;; amdgpu-corpus repo=ROCm/aiter kind=compiled arch=gfx1100 opt=O3
	.text
	.amdgcn_target "amdgcn-amd-amdhsa--gfx1100"
	.amdhsa_code_object_version 6
	.section	.text._ZN7ck_tileL11flush_cacheEv,"axG",@progbits,_ZN7ck_tileL11flush_cacheEv,comdat
	.globl	_ZN7ck_tileL11flush_cacheEv     ; -- Begin function _ZN7ck_tileL11flush_cacheEv
	.p2align	8
	.type	_ZN7ck_tileL11flush_cacheEv,@function
_ZN7ck_tileL11flush_cacheEv:            ; @_ZN7ck_tileL11flush_cacheEv
; %bb.0:
	;;#ASMSTART
	s_icache_inv 
	s_nop 0 
	s_nop 0 
	;; [unrolled: 1-line block ×16, first 2 shown]
	
	;;#ASMEND
	s_endpgm
	.section	.rodata,"a",@progbits
	.p2align	6, 0x0
	.amdhsa_kernel _ZN7ck_tileL11flush_cacheEv
		.amdhsa_group_segment_fixed_size 0
		.amdhsa_private_segment_fixed_size 0
		.amdhsa_kernarg_size 0
		.amdhsa_user_sgpr_count 15
		.amdhsa_user_sgpr_dispatch_ptr 0
		.amdhsa_user_sgpr_queue_ptr 0
		.amdhsa_user_sgpr_kernarg_segment_ptr 0
		.amdhsa_user_sgpr_dispatch_id 0
		.amdhsa_user_sgpr_private_segment_size 0
		.amdhsa_wavefront_size32 1
		.amdhsa_uses_dynamic_stack 0
		.amdhsa_enable_private_segment 0
		.amdhsa_system_sgpr_workgroup_id_x 1
		.amdhsa_system_sgpr_workgroup_id_y 0
		.amdhsa_system_sgpr_workgroup_id_z 0
		.amdhsa_system_sgpr_workgroup_info 0
		.amdhsa_system_vgpr_workitem_id 0
		.amdhsa_next_free_vgpr 1
		.amdhsa_next_free_sgpr 1
		.amdhsa_reserve_vcc 0
		.amdhsa_float_round_mode_32 0
		.amdhsa_float_round_mode_16_64 0
		.amdhsa_float_denorm_mode_32 3
		.amdhsa_float_denorm_mode_16_64 3
		.amdhsa_dx10_clamp 1
		.amdhsa_ieee_mode 1
		.amdhsa_fp16_overflow 0
		.amdhsa_workgroup_processor_mode 1
		.amdhsa_memory_ordered 1
		.amdhsa_forward_progress 0
		.amdhsa_shared_vgpr_count 0
		.amdhsa_exception_fp_ieee_invalid_op 0
		.amdhsa_exception_fp_denorm_src 0
		.amdhsa_exception_fp_ieee_div_zero 0
		.amdhsa_exception_fp_ieee_overflow 0
		.amdhsa_exception_fp_ieee_underflow 0
		.amdhsa_exception_fp_ieee_inexact 0
		.amdhsa_exception_int_div_zero 0
	.end_amdhsa_kernel
	.section	.text._ZN7ck_tileL11flush_cacheEv,"axG",@progbits,_ZN7ck_tileL11flush_cacheEv,comdat
.Lfunc_end0:
	.size	_ZN7ck_tileL11flush_cacheEv, .Lfunc_end0-_ZN7ck_tileL11flush_cacheEv
                                        ; -- End function
	.section	.AMDGPU.csdata,"",@progbits
; Kernel info:
; codeLenInByte = 344
; NumSgprs: 0
; NumVgprs: 0
; ScratchSize: 0
; MemoryBound: 0
; FloatMode: 240
; IeeeMode: 1
; LDSByteSize: 0 bytes/workgroup (compile time only)
; SGPRBlocks: 0
; VGPRBlocks: 0
; NumSGPRsForWavesPerEU: 1
; NumVGPRsForWavesPerEU: 1
; Occupancy: 16
; WaveLimiterHint : 0
; COMPUTE_PGM_RSRC2:SCRATCH_EN: 0
; COMPUTE_PGM_RSRC2:USER_SGPR: 15
; COMPUTE_PGM_RSRC2:TRAP_HANDLER: 0
; COMPUTE_PGM_RSRC2:TGID_X_EN: 1
; COMPUTE_PGM_RSRC2:TGID_Y_EN: 0
; COMPUTE_PGM_RSRC2:TGID_Z_EN: 0
; COMPUTE_PGM_RSRC2:TIDIG_COMP_CNT: 0
	.section	.text._ZN4vllm3moe17topkGatingSoftmaxIfLi1ELi1ELi8ELi4ELb1ELi0ELNS0_23SharedExpertScoringFuncE0EEEvPKT_PKbPfiPiS9_iiiiii,"axG",@progbits,_ZN4vllm3moe17topkGatingSoftmaxIfLi1ELi1ELi8ELi4ELb1ELi0ELNS0_23SharedExpertScoringFuncE0EEEvPKT_PKbPfiPiS9_iiiiii,comdat
	.protected	_ZN4vllm3moe17topkGatingSoftmaxIfLi1ELi1ELi8ELi4ELb1ELi0ELNS0_23SharedExpertScoringFuncE0EEEvPKT_PKbPfiPiS9_iiiiii ; -- Begin function _ZN4vllm3moe17topkGatingSoftmaxIfLi1ELi1ELi8ELi4ELb1ELi0ELNS0_23SharedExpertScoringFuncE0EEEvPKT_PKbPfiPiS9_iiiiii
	.globl	_ZN4vllm3moe17topkGatingSoftmaxIfLi1ELi1ELi8ELi4ELb1ELi0ELNS0_23SharedExpertScoringFuncE0EEEvPKT_PKbPfiPiS9_iiiiii
	.p2align	8
	.type	_ZN4vllm3moe17topkGatingSoftmaxIfLi1ELi1ELi8ELi4ELb1ELi0ELNS0_23SharedExpertScoringFuncE0EEEvPKT_PKbPfiPiS9_iiiiii,@function
_ZN4vllm3moe17topkGatingSoftmaxIfLi1ELi1ELi8ELi4ELb1ELi0ELNS0_23SharedExpertScoringFuncE0EEEvPKT_PKbPfiPiS9_iiiiii: ; @_ZN4vllm3moe17topkGatingSoftmaxIfLi1ELi1ELi8ELi4ELb1ELi0ELNS0_23SharedExpertScoringFuncE0EEEvPKT_PKbPfiPiS9_iiiiii
; %bb.0:
	s_load_b32 s14, s[0:1], 0x18
	v_bfe_u32 v1, v0, 10, 10
	v_and_b32_e32 v8, 0x3ff, v0
	s_lshl_b32 s15, s15, 8
	s_mov_b32 s2, exec_lo
	s_delay_alu instid0(VALU_DEP_2) | instskip(NEXT) | instid1(VALU_DEP_1)
	v_lshlrev_b32_e32 v7, 5, v1
	v_add3_u32 v6, v7, v8, s15
	s_waitcnt lgkmcnt(0)
	s_delay_alu instid0(VALU_DEP_1)
	v_cmpx_gt_i32_e64 s14, v6
	s_cbranch_execz .LBB1_13
; %bb.1:
	s_clause 0x1
	s_load_b128 s[8:11], s[0:1], 0x0
	s_load_b64 s[12:13], s[0:1], 0x10
	s_waitcnt lgkmcnt(0)
	s_cmp_eq_u64 s[10:11], 0
	s_cbranch_scc1 .LBB1_3
; %bb.2:
	v_ashrrev_i32_e32 v1, 31, v6
	v_add_co_u32 v0, vcc_lo, s10, v6
	s_delay_alu instid0(VALU_DEP_2) | instskip(SKIP_3) | instid1(VALU_DEP_1)
	v_add_co_ci_u32_e32 v1, vcc_lo, s11, v1, vcc_lo
	global_load_u8 v0, v[0:1], off
	s_waitcnt vmcnt(0)
	v_and_b32_e32 v0, 1, v0
	v_cmp_eq_u32_e32 vcc_lo, 1, v0
	s_xor_b32 s2, vcc_lo, -1
	s_delay_alu instid0(SALU_CYCLE_1)
	s_or_not1_b32 s11, s2, exec_lo
	s_branch .LBB1_4
.LBB1_3:
	s_mov_b32 s11, -1
.LBB1_4:
	s_load_b128 s[4:7], s[0:1], 0x30
	s_waitcnt lgkmcnt(0)
	s_cmp_gt_i32 s4, 0
	s_cselect_b32 s10, -1, 0
	s_cmp_lt_i32 s4, 1
	s_cbranch_scc1 .LBB1_9
; %bb.5:
	s_clause 0x1
	s_load_b64 s[16:17], s[0:1], 0x40
	s_load_b128 s[0:3], s[0:1], 0x20
	v_mul_lo_u32 v2, v6, s4
	s_cmp_lt_i32 s5, 1
	s_waitcnt lgkmcnt(0)
	v_mul_lo_u32 v0, v6, s17
	v_mul_lo_u32 v12, v6, s16
	s_delay_alu instid0(VALU_DEP_2) | instskip(NEXT) | instid1(VALU_DEP_2)
	v_ashrrev_i32_e32 v1, 31, v0
	v_ashrrev_i32_e32 v13, 31, v12
	s_delay_alu instid0(VALU_DEP_2) | instskip(NEXT) | instid1(VALU_DEP_1)
	v_lshlrev_b64 v[0:1], 2, v[0:1]
	v_add_co_u32 v0, vcc_lo, s8, v0
	s_delay_alu instid0(VALU_DEP_2)
	v_add_co_ci_u32_e32 v1, vcc_lo, s9, v1, vcc_lo
	s_cselect_b32 s8, -1, 0
	s_cmp_gt_i32 s6, 0
	s_cselect_b32 s6, -1, 0
	global_load_b32 v11, v[0:1], off
	v_mul_lo_u32 v0, v6, s7
	s_and_b32 s6, s8, s6
	s_sub_i32 s5, 0, s5
	s_and_b32 s6, s11, s6
	s_cmp_eq_u32 s4, 1
	v_cndmask_b32_e64 v10, 1, s5, s6
	s_waitcnt vmcnt(0)
	v_sub_f32_e32 v9, v11, v11
	s_delay_alu instid0(VALU_DEP_1) | instskip(NEXT) | instid1(VALU_DEP_1)
	v_mul_f32_e32 v1, 0x3fb8aa3b, v9
	v_fma_f32 v3, 0x3fb8aa3b, v9, -v1
	v_rndne_f32_e32 v4, v1
	s_delay_alu instid0(VALU_DEP_2) | instskip(NEXT) | instid1(VALU_DEP_2)
	v_fmac_f32_e32 v3, 0x32a5705f, v9
	v_sub_f32_e32 v1, v1, v4
	v_cvt_i32_f32_e32 v15, v4
	s_delay_alu instid0(VALU_DEP_2) | instskip(SKIP_1) | instid1(VALU_DEP_2)
	v_add_f32_e32 v3, v1, v3
	v_ashrrev_i32_e32 v1, 31, v0
	v_exp_f32_e32 v14, v3
	s_delay_alu instid0(VALU_DEP_1) | instskip(SKIP_1) | instid1(VALU_DEP_1)
	v_lshlrev_b64 v[0:1], 2, v[0:1]
	v_ashrrev_i32_e32 v3, 31, v2
	v_lshlrev_b64 v[4:5], 2, v[2:3]
	s_delay_alu instid0(VALU_DEP_3) | instskip(SKIP_2) | instid1(TRANS32_DEP_1)
	v_add_co_u32 v0, vcc_lo, s12, v0
	v_lshlrev_b64 v[2:3], 2, v[12:13]
	v_add_co_ci_u32_e32 v1, vcc_lo, s13, v1, vcc_lo
	v_ldexp_f32 v12, v14, v15
	v_cmp_ngt_f32_e32 vcc_lo, 0xc2ce8ed0, v9
	s_delay_alu instid0(VALU_DEP_2) | instskip(SKIP_3) | instid1(VALU_DEP_4)
	v_cndmask_b32_e32 v14, 0, v12, vcc_lo
	v_add_co_u32 v12, vcc_lo, s0, v2
	v_add_co_ci_u32_e32 v13, vcc_lo, s1, v3, vcc_lo
	v_cmp_nlt_f32_e32 vcc_lo, 0x42b17218, v9
	v_cndmask_b32_e32 v9, 0x7f800000, v14, vcc_lo
	v_add_co_u32 v14, vcc_lo, s2, v4
	v_add_co_ci_u32_e32 v15, vcc_lo, s3, v5, vcc_lo
	global_store_b32 v[12:13], v10, off
	global_store_b32 v[0:1], v9, off
	;; [unrolled: 1-line block ×3, first 2 shown]
	s_cbranch_scc1 .LBB1_8
; %bb.6:
	v_sub_f32_e32 v11, 0xff800000, v11
	v_add_co_u32 v4, vcc_lo, v4, s2
	v_add_co_ci_u32_e32 v5, vcc_lo, s3, v5, vcc_lo
	s_delay_alu instid0(VALU_DEP_3) | instskip(SKIP_1) | instid1(SALU_CYCLE_1)
	v_mul_f32_e32 v12, 0x3fb8aa3b, v11
	s_add_i32 s15, s15, s14
	v_add3_u32 v7, s15, v8, v7
	s_delay_alu instid0(VALU_DEP_2) | instskip(SKIP_1) | instid1(VALU_DEP_1)
	v_fma_f32 v13, 0x3fb8aa3b, v11, -v12
	v_rndne_f32_e32 v14, v12
	v_dual_sub_f32 v12, v12, v14 :: v_dual_fmac_f32 v13, 0x32a5705f, v11
	s_delay_alu instid0(VALU_DEP_1) | instskip(SKIP_3) | instid1(VALU_DEP_4)
	v_add_f32_e32 v12, v12, v13
	v_add_co_u32 v13, vcc_lo, v2, s0
	v_cvt_i32_f32_e32 v2, v14
	v_add_co_ci_u32_e32 v15, vcc_lo, s1, v3, vcc_lo
	v_exp_f32_e32 v12, v12
	v_add_co_u32 v0, vcc_lo, v0, 4
	v_add_co_ci_u32_e32 v1, vcc_lo, 0, v1, vcc_lo
	s_add_i32 s0, s4, -1
	s_waitcnt_depctr 0xfff
	v_ldexp_f32 v12, v12, v2
	v_add_co_u32 v2, vcc_lo, v4, 4
	v_add_co_ci_u32_e32 v3, vcc_lo, 0, v5, vcc_lo
	v_cmp_ngt_f32_e32 vcc_lo, 0xc2ce8ed0, v11
	s_delay_alu instid0(VALU_DEP_4) | instskip(SKIP_3) | instid1(VALU_DEP_4)
	v_cndmask_b32_e32 v12, 0, v12, vcc_lo
	v_add_co_u32 v4, vcc_lo, v13, 4
	v_add_co_ci_u32_e32 v5, vcc_lo, 0, v15, vcc_lo
	v_cmp_nlt_f32_e32 vcc_lo, 0x42b17218, v11
	v_cndmask_b32_e32 v11, 0x7f800000, v12, vcc_lo
	.p2align	6
.LBB1_7:                                ; =>This Inner Loop Header: Depth=1
	global_store_b32 v[0:1], v11, off
	global_store_b32 v[4:5], v10, off
	global_store_b32 v[2:3], v7, off
	v_add_co_u32 v2, vcc_lo, v2, 4
	v_add_co_ci_u32_e32 v3, vcc_lo, 0, v3, vcc_lo
	v_add_co_u32 v4, vcc_lo, v4, 4
	v_add_co_ci_u32_e32 v5, vcc_lo, 0, v5, vcc_lo
	v_add_co_u32 v0, vcc_lo, v0, 4
	v_add_f32_e32 v9, v9, v11
	v_add_co_ci_u32_e32 v1, vcc_lo, 0, v1, vcc_lo
	v_add_nc_u32_e32 v7, s14, v7
	s_add_i32 s0, s0, -1
	s_delay_alu instid0(SALU_CYCLE_1)
	s_cmp_eq_u32 s0, 0
	s_cbranch_scc0 .LBB1_7
.LBB1_8:
	v_cmp_neq_f32_e32 vcc_lo, 0, v9
	s_and_b32 exec_lo, exec_lo, vcc_lo
	s_cbranch_execnz .LBB1_10
	s_branch .LBB1_13
.LBB1_9:
	v_mov_b32_e32 v9, 0
	s_delay_alu instid0(VALU_DEP_1)
	v_cmp_neq_f32_e32 vcc_lo, 0, v9
	s_and_b32 exec_lo, exec_lo, vcc_lo
	s_cbranch_execz .LBB1_13
.LBB1_10:
	s_and_not1_b32 vcc_lo, exec_lo, s10
	s_cbranch_vccnz .LBB1_13
; %bb.11:
	v_div_scale_f32 v1, null, v9, v9, 1.0
	v_div_scale_f32 v3, vcc_lo, 1.0, v9, 1.0
	s_delay_alu instid0(VALU_DEP_2) | instskip(SKIP_2) | instid1(VALU_DEP_1)
	v_rcp_f32_e32 v2, v1
	s_waitcnt_depctr 0xfff
	v_fma_f32 v0, -v1, v2, 1.0
	v_fmac_f32_e32 v2, v0, v2
	v_mul_lo_u32 v0, v6, s7
	s_delay_alu instid0(VALU_DEP_2) | instskip(NEXT) | instid1(VALU_DEP_1)
	v_mul_f32_e32 v4, v3, v2
	v_fma_f32 v5, -v1, v4, v3
	s_delay_alu instid0(VALU_DEP_1) | instskip(NEXT) | instid1(VALU_DEP_1)
	v_fmac_f32_e32 v4, v5, v2
	v_fma_f32 v3, -v1, v4, v3
	v_ashrrev_i32_e32 v1, 31, v0
	s_delay_alu instid0(VALU_DEP_2) | instskip(NEXT) | instid1(VALU_DEP_2)
	v_div_fmas_f32 v2, v3, v2, v4
	v_lshlrev_b64 v[0:1], 2, v[0:1]
	s_delay_alu instid0(VALU_DEP_2) | instskip(NEXT) | instid1(VALU_DEP_2)
	v_div_fixup_f32 v2, v2, v9, 1.0
	v_add_co_u32 v0, vcc_lo, s12, v0
	s_delay_alu instid0(VALU_DEP_3)
	v_add_co_ci_u32_e32 v1, vcc_lo, s13, v1, vcc_lo
.LBB1_12:                               ; =>This Inner Loop Header: Depth=1
	global_load_b32 v3, v[0:1], off
	s_add_i32 s4, s4, -1
	s_delay_alu instid0(SALU_CYCLE_1)
	s_cmp_lg_u32 s4, 0
	s_waitcnt vmcnt(0)
	v_mul_f32_e32 v3, v2, v3
	global_store_b32 v[0:1], v3, off
	v_add_co_u32 v0, vcc_lo, v0, 4
	v_add_co_ci_u32_e32 v1, vcc_lo, 0, v1, vcc_lo
	s_cbranch_scc1 .LBB1_12
.LBB1_13:
	s_nop 0
	s_sendmsg sendmsg(MSG_DEALLOC_VGPRS)
	s_endpgm
	.section	.rodata,"a",@progbits
	.p2align	6, 0x0
	.amdhsa_kernel _ZN4vllm3moe17topkGatingSoftmaxIfLi1ELi1ELi8ELi4ELb1ELi0ELNS0_23SharedExpertScoringFuncE0EEEvPKT_PKbPfiPiS9_iiiiii
		.amdhsa_group_segment_fixed_size 0
		.amdhsa_private_segment_fixed_size 0
		.amdhsa_kernarg_size 72
		.amdhsa_user_sgpr_count 15
		.amdhsa_user_sgpr_dispatch_ptr 0
		.amdhsa_user_sgpr_queue_ptr 0
		.amdhsa_user_sgpr_kernarg_segment_ptr 1
		.amdhsa_user_sgpr_dispatch_id 0
		.amdhsa_user_sgpr_private_segment_size 0
		.amdhsa_wavefront_size32 1
		.amdhsa_uses_dynamic_stack 0
		.amdhsa_enable_private_segment 0
		.amdhsa_system_sgpr_workgroup_id_x 1
		.amdhsa_system_sgpr_workgroup_id_y 0
		.amdhsa_system_sgpr_workgroup_id_z 0
		.amdhsa_system_sgpr_workgroup_info 0
		.amdhsa_system_vgpr_workitem_id 1
		.amdhsa_next_free_vgpr 16
		.amdhsa_next_free_sgpr 18
		.amdhsa_reserve_vcc 1
		.amdhsa_float_round_mode_32 0
		.amdhsa_float_round_mode_16_64 0
		.amdhsa_float_denorm_mode_32 3
		.amdhsa_float_denorm_mode_16_64 3
		.amdhsa_dx10_clamp 1
		.amdhsa_ieee_mode 1
		.amdhsa_fp16_overflow 0
		.amdhsa_workgroup_processor_mode 1
		.amdhsa_memory_ordered 1
		.amdhsa_forward_progress 0
		.amdhsa_shared_vgpr_count 0
		.amdhsa_exception_fp_ieee_invalid_op 0
		.amdhsa_exception_fp_denorm_src 0
		.amdhsa_exception_fp_ieee_div_zero 0
		.amdhsa_exception_fp_ieee_overflow 0
		.amdhsa_exception_fp_ieee_underflow 0
		.amdhsa_exception_fp_ieee_inexact 0
		.amdhsa_exception_int_div_zero 0
	.end_amdhsa_kernel
	.section	.text._ZN4vllm3moe17topkGatingSoftmaxIfLi1ELi1ELi8ELi4ELb1ELi0ELNS0_23SharedExpertScoringFuncE0EEEvPKT_PKbPfiPiS9_iiiiii,"axG",@progbits,_ZN4vllm3moe17topkGatingSoftmaxIfLi1ELi1ELi8ELi4ELb1ELi0ELNS0_23SharedExpertScoringFuncE0EEEvPKT_PKbPfiPiS9_iiiiii,comdat
.Lfunc_end1:
	.size	_ZN4vllm3moe17topkGatingSoftmaxIfLi1ELi1ELi8ELi4ELb1ELi0ELNS0_23SharedExpertScoringFuncE0EEEvPKT_PKbPfiPiS9_iiiiii, .Lfunc_end1-_ZN4vllm3moe17topkGatingSoftmaxIfLi1ELi1ELi8ELi4ELb1ELi0ELNS0_23SharedExpertScoringFuncE0EEEvPKT_PKbPfiPiS9_iiiiii
                                        ; -- End function
	.section	.AMDGPU.csdata,"",@progbits
; Kernel info:
; codeLenInByte = 1056
; NumSgprs: 20
; NumVgprs: 16
; ScratchSize: 0
; MemoryBound: 0
; FloatMode: 240
; IeeeMode: 1
; LDSByteSize: 0 bytes/workgroup (compile time only)
; SGPRBlocks: 2
; VGPRBlocks: 1
; NumSGPRsForWavesPerEU: 20
; NumVGPRsForWavesPerEU: 16
; Occupancy: 16
; WaveLimiterHint : 0
; COMPUTE_PGM_RSRC2:SCRATCH_EN: 0
; COMPUTE_PGM_RSRC2:USER_SGPR: 15
; COMPUTE_PGM_RSRC2:TRAP_HANDLER: 0
; COMPUTE_PGM_RSRC2:TGID_X_EN: 1
; COMPUTE_PGM_RSRC2:TGID_Y_EN: 0
; COMPUTE_PGM_RSRC2:TGID_Z_EN: 0
; COMPUTE_PGM_RSRC2:TIDIG_COMP_CNT: 1
	.section	.text._ZN4vllm3moe17topkGatingSoftmaxIfLi1ELi1ELi8ELi4ELb0ELi0ELNS0_23SharedExpertScoringFuncE0EEEvPKT_PKbPfiPiS9_iiiiii,"axG",@progbits,_ZN4vllm3moe17topkGatingSoftmaxIfLi1ELi1ELi8ELi4ELb0ELi0ELNS0_23SharedExpertScoringFuncE0EEEvPKT_PKbPfiPiS9_iiiiii,comdat
	.protected	_ZN4vllm3moe17topkGatingSoftmaxIfLi1ELi1ELi8ELi4ELb0ELi0ELNS0_23SharedExpertScoringFuncE0EEEvPKT_PKbPfiPiS9_iiiiii ; -- Begin function _ZN4vllm3moe17topkGatingSoftmaxIfLi1ELi1ELi8ELi4ELb0ELi0ELNS0_23SharedExpertScoringFuncE0EEEvPKT_PKbPfiPiS9_iiiiii
	.globl	_ZN4vllm3moe17topkGatingSoftmaxIfLi1ELi1ELi8ELi4ELb0ELi0ELNS0_23SharedExpertScoringFuncE0EEEvPKT_PKbPfiPiS9_iiiiii
	.p2align	8
	.type	_ZN4vllm3moe17topkGatingSoftmaxIfLi1ELi1ELi8ELi4ELb0ELi0ELNS0_23SharedExpertScoringFuncE0EEEvPKT_PKbPfiPiS9_iiiiii,@function
_ZN4vllm3moe17topkGatingSoftmaxIfLi1ELi1ELi8ELi4ELb0ELi0ELNS0_23SharedExpertScoringFuncE0EEEvPKT_PKbPfiPiS9_iiiiii: ; @_ZN4vllm3moe17topkGatingSoftmaxIfLi1ELi1ELi8ELi4ELb0ELi0ELNS0_23SharedExpertScoringFuncE0EEEvPKT_PKbPfiPiS9_iiiiii
; %bb.0:
	s_load_b32 s10, s[0:1], 0x18
	v_bfe_u32 v1, v0, 10, 10
	v_and_b32_e32 v9, 0x3ff, v0
	s_lshl_b32 s12, s15, 8
	s_mov_b32 s2, exec_lo
	s_delay_alu instid0(VALU_DEP_2) | instskip(NEXT) | instid1(VALU_DEP_1)
	v_lshlrev_b32_e32 v8, 5, v1
	v_add3_u32 v6, v8, v9, s12
	s_waitcnt lgkmcnt(0)
	s_delay_alu instid0(VALU_DEP_1)
	v_cmpx_gt_i32_e64 s10, v6
	s_cbranch_execz .LBB2_14
; %bb.1:
	s_clause 0x1
	s_load_b128 s[4:7], s[0:1], 0x0
	s_load_b64 s[8:9], s[0:1], 0x10
	s_waitcnt lgkmcnt(0)
	s_cmp_eq_u64 s[6:7], 0
	s_cbranch_scc1 .LBB2_3
; %bb.2:
	v_ashrrev_i32_e32 v1, 31, v6
	v_add_co_u32 v0, vcc_lo, s6, v6
	s_delay_alu instid0(VALU_DEP_2) | instskip(SKIP_3) | instid1(VALU_DEP_1)
	v_add_co_ci_u32_e32 v1, vcc_lo, s7, v1, vcc_lo
	global_load_u8 v0, v[0:1], off
	s_waitcnt vmcnt(0)
	v_and_b32_e32 v0, 1, v0
	v_cmp_eq_u32_e32 vcc_lo, 1, v0
	s_xor_b32 s2, vcc_lo, -1
	s_delay_alu instid0(SALU_CYCLE_1)
	s_or_not1_b32 s13, s2, exec_lo
	s_branch .LBB2_4
.LBB2_3:
	s_mov_b32 s13, -1
.LBB2_4:
	s_load_b64 s[2:3], s[0:1], 0x40
	s_waitcnt lgkmcnt(0)
	v_mul_lo_u32 v0, v6, s3
	s_delay_alu instid0(VALU_DEP_1) | instskip(NEXT) | instid1(VALU_DEP_1)
	v_ashrrev_i32_e32 v1, 31, v0
	v_lshlrev_b64 v[0:1], 2, v[0:1]
	s_delay_alu instid0(VALU_DEP_1) | instskip(NEXT) | instid1(VALU_DEP_2)
	v_add_co_u32 v0, vcc_lo, s4, v0
	v_add_co_ci_u32_e32 v1, vcc_lo, s5, v1, vcc_lo
	s_load_b128 s[4:7], s[0:1], 0x30
	global_load_b32 v7, v[0:1], off
	s_waitcnt lgkmcnt(0)
	s_cmp_gt_i32 s4, 0
	s_cselect_b32 s11, -1, 0
	s_cmp_lt_i32 s4, 1
	s_cbranch_scc1 .LBB2_9
; %bb.5:
	s_waitcnt vmcnt(0)
	v_sub_f32_e32 v10, v7, v7
	v_mul_lo_u32 v0, v6, s7
	v_mul_lo_u32 v2, v6, s2
	s_load_b128 s[0:3], s[0:1], 0x20
	v_mul_lo_u32 v4, v6, s4
	v_mul_f32_e32 v1, 0x3fb8aa3b, v10
	s_cmp_lt_i32 s5, 1
	s_cselect_b32 s14, -1, 0
	s_cmp_gt_i32 s6, 0
	s_delay_alu instid0(VALU_DEP_1) | instskip(SKIP_1) | instid1(VALU_DEP_4)
	v_rndne_f32_e32 v11, v1
	v_fma_f32 v3, 0x3fb8aa3b, v10, -v1
	v_ashrrev_i32_e32 v5, 31, v4
	s_cselect_b32 s6, -1, 0
	s_sub_i32 s5, 0, s5
	v_sub_f32_e32 v1, v1, v11
	v_fmac_f32_e32 v3, 0x32a5705f, v10
	v_cvt_i32_f32_e32 v13, v11
	v_lshlrev_b64 v[4:5], 2, v[4:5]
	s_and_b32 s6, s14, s6
	s_delay_alu instid0(VALU_DEP_3)
	v_add_f32_e32 v3, v1, v3
	v_ashrrev_i32_e32 v1, 31, v0
	s_and_b32 s6, s13, s6
	s_cmp_eq_u32 s4, 1
	v_cndmask_b32_e64 v11, 1, s5, s6
	v_exp_f32_e32 v12, v3
	v_lshlrev_b64 v[0:1], 2, v[0:1]
	v_ashrrev_i32_e32 v3, 31, v2
	s_delay_alu instid0(VALU_DEP_1) | instskip(NEXT) | instid1(VALU_DEP_3)
	v_lshlrev_b64 v[2:3], 2, v[2:3]
	v_add_co_u32 v0, vcc_lo, s8, v0
	s_delay_alu instid0(VALU_DEP_4) | instskip(SKIP_3) | instid1(VALU_DEP_2)
	v_add_co_ci_u32_e32 v1, vcc_lo, s9, v1, vcc_lo
	s_waitcnt_depctr 0xfff
	v_ldexp_f32 v12, v12, v13
	v_cmp_ngt_f32_e32 vcc_lo, 0xc2ce8ed0, v10
	v_cndmask_b32_e32 v14, 0, v12, vcc_lo
	s_waitcnt lgkmcnt(0)
	v_add_co_u32 v12, vcc_lo, s0, v2
	v_add_co_ci_u32_e32 v13, vcc_lo, s1, v3, vcc_lo
	v_cmp_nlt_f32_e32 vcc_lo, 0x42b17218, v10
	v_cndmask_b32_e32 v10, 0x7f800000, v14, vcc_lo
	v_add_co_u32 v14, vcc_lo, s2, v4
	v_add_co_ci_u32_e32 v15, vcc_lo, s3, v5, vcc_lo
	global_store_b32 v[12:13], v11, off
	global_store_b32 v[0:1], v10, off
	;; [unrolled: 1-line block ×3, first 2 shown]
	s_cbranch_scc1 .LBB2_8
; %bb.6:
	v_sub_f32_e32 v12, 0xff800000, v7
	v_add_co_u32 v4, vcc_lo, v4, s2
	v_add_co_ci_u32_e32 v5, vcc_lo, s3, v5, vcc_lo
	s_delay_alu instid0(VALU_DEP_3) | instskip(SKIP_1) | instid1(SALU_CYCLE_1)
	v_mul_f32_e32 v13, 0x3fb8aa3b, v12
	s_add_i32 s12, s12, s10
	v_add3_u32 v8, s12, v9, v8
	s_delay_alu instid0(VALU_DEP_2) | instskip(SKIP_1) | instid1(VALU_DEP_1)
	v_fma_f32 v14, 0x3fb8aa3b, v12, -v13
	v_rndne_f32_e32 v15, v13
	v_dual_fmac_f32 v14, 0x32a5705f, v12 :: v_dual_sub_f32 v13, v13, v15
	s_delay_alu instid0(VALU_DEP_1) | instskip(SKIP_3) | instid1(VALU_DEP_4)
	v_add_f32_e32 v13, v13, v14
	v_add_co_u32 v14, vcc_lo, v2, s0
	v_cvt_i32_f32_e32 v2, v15
	v_add_co_ci_u32_e32 v16, vcc_lo, s1, v3, vcc_lo
	v_exp_f32_e32 v13, v13
	v_add_co_u32 v0, vcc_lo, v0, 4
	v_add_co_ci_u32_e32 v1, vcc_lo, 0, v1, vcc_lo
	s_add_i32 s0, s4, -1
	s_waitcnt_depctr 0xfff
	v_ldexp_f32 v13, v13, v2
	v_add_co_u32 v2, vcc_lo, v4, 4
	v_add_co_ci_u32_e32 v3, vcc_lo, 0, v5, vcc_lo
	v_cmp_ngt_f32_e32 vcc_lo, 0xc2ce8ed0, v12
	s_delay_alu instid0(VALU_DEP_4) | instskip(SKIP_3) | instid1(VALU_DEP_4)
	v_cndmask_b32_e32 v13, 0, v13, vcc_lo
	v_add_co_u32 v4, vcc_lo, v14, 4
	v_add_co_ci_u32_e32 v5, vcc_lo, 0, v16, vcc_lo
	v_cmp_nlt_f32_e32 vcc_lo, 0x42b17218, v12
	v_cndmask_b32_e32 v12, 0x7f800000, v13, vcc_lo
	.p2align	6
.LBB2_7:                                ; =>This Inner Loop Header: Depth=1
	global_store_b32 v[0:1], v12, off
	global_store_b32 v[4:5], v11, off
	;; [unrolled: 1-line block ×3, first 2 shown]
	v_add_co_u32 v2, vcc_lo, v2, 4
	v_add_co_ci_u32_e32 v3, vcc_lo, 0, v3, vcc_lo
	v_add_co_u32 v4, vcc_lo, v4, 4
	v_add_co_ci_u32_e32 v5, vcc_lo, 0, v5, vcc_lo
	v_add_co_u32 v0, vcc_lo, v0, 4
	v_add_f32_e32 v10, v10, v12
	v_add_co_ci_u32_e32 v1, vcc_lo, 0, v1, vcc_lo
	v_add_nc_u32_e32 v8, s10, v8
	s_add_i32 s0, s0, -1
	s_delay_alu instid0(SALU_CYCLE_1)
	s_cmp_eq_u32 s0, 0
	s_cbranch_scc0 .LBB2_7
.LBB2_8:
	v_mov_b32_e32 v0, 0xff800000
	s_branch .LBB2_10
.LBB2_9:
	v_mov_b32_e32 v10, 0
	s_waitcnt vmcnt(0)
	v_mov_b32_e32 v0, v7
.LBB2_10:
	s_delay_alu instid0(VALU_DEP_1) | instskip(NEXT) | instid1(VALU_DEP_1)
	v_sub_f32_e32 v0, v0, v7
	v_mul_f32_e32 v1, 0x3fb8aa3b, v0
	s_delay_alu instid0(VALU_DEP_1) | instskip(SKIP_1) | instid1(VALU_DEP_1)
	v_fma_f32 v2, 0x3fb8aa3b, v0, -v1
	v_rndne_f32_e32 v3, v1
	v_dual_fmamk_f32 v2, v0, 0x32a5705f, v2 :: v_dual_sub_f32 v1, v1, v3
	s_delay_alu instid0(VALU_DEP_1) | instskip(SKIP_2) | instid1(VALU_DEP_3)
	v_add_f32_e32 v1, v1, v2
	v_cvt_i32_f32_e32 v2, v3
	v_cmp_ngt_f32_e32 vcc_lo, 0xc2ce8ed0, v0
	v_exp_f32_e32 v1, v1
	s_waitcnt_depctr 0xfff
	v_ldexp_f32 v1, v1, v2
	s_delay_alu instid0(VALU_DEP_1) | instskip(SKIP_1) | instid1(VALU_DEP_2)
	v_cndmask_b32_e32 v1, 0, v1, vcc_lo
	v_cmp_nlt_f32_e32 vcc_lo, 0x42b17218, v0
	v_cndmask_b32_e32 v0, 0x7f800000, v1, vcc_lo
	s_delay_alu instid0(VALU_DEP_1) | instskip(NEXT) | instid1(VALU_DEP_1)
	v_add_f32_e32 v0, v10, v0
	v_cmp_neq_f32_e32 vcc_lo, 0, v0
	s_and_b32 exec_lo, exec_lo, vcc_lo
	s_cbranch_execz .LBB2_14
; %bb.11:
	s_and_not1_b32 vcc_lo, exec_lo, s11
	s_cbranch_vccnz .LBB2_14
; %bb.12:
	v_div_scale_f32 v2, null, v0, v0, 1.0
	v_div_scale_f32 v4, vcc_lo, 1.0, v0, 1.0
	s_delay_alu instid0(VALU_DEP_2) | instskip(SKIP_2) | instid1(VALU_DEP_1)
	v_rcp_f32_e32 v3, v2
	s_waitcnt_depctr 0xfff
	v_fma_f32 v1, -v2, v3, 1.0
	v_fmac_f32_e32 v3, v1, v3
	v_mul_lo_u32 v1, v6, s7
	s_delay_alu instid0(VALU_DEP_2) | instskip(NEXT) | instid1(VALU_DEP_1)
	v_mul_f32_e32 v5, v4, v3
	v_fma_f32 v7, -v2, v5, v4
	s_delay_alu instid0(VALU_DEP_1) | instskip(NEXT) | instid1(VALU_DEP_1)
	v_fmac_f32_e32 v5, v7, v3
	v_fma_f32 v4, -v2, v5, v4
	v_ashrrev_i32_e32 v2, 31, v1
	s_delay_alu instid0(VALU_DEP_2) | instskip(NEXT) | instid1(VALU_DEP_2)
	v_div_fmas_f32 v5, v4, v3, v5
	v_lshlrev_b64 v[3:4], 2, v[1:2]
	s_delay_alu instid0(VALU_DEP_2) | instskip(NEXT) | instid1(VALU_DEP_2)
	v_div_fixup_f32 v2, v5, v0, 1.0
	v_add_co_u32 v0, vcc_lo, s8, v3
	s_delay_alu instid0(VALU_DEP_3)
	v_add_co_ci_u32_e32 v1, vcc_lo, s9, v4, vcc_lo
.LBB2_13:                               ; =>This Inner Loop Header: Depth=1
	global_load_b32 v3, v[0:1], off
	s_add_i32 s4, s4, -1
	s_delay_alu instid0(SALU_CYCLE_1)
	s_cmp_lg_u32 s4, 0
	s_waitcnt vmcnt(0)
	v_mul_f32_e32 v3, v2, v3
	global_store_b32 v[0:1], v3, off
	v_add_co_u32 v0, vcc_lo, v0, 4
	v_add_co_ci_u32_e32 v1, vcc_lo, 0, v1, vcc_lo
	s_cbranch_scc1 .LBB2_13
.LBB2_14:
	s_nop 0
	s_sendmsg sendmsg(MSG_DEALLOC_VGPRS)
	s_endpgm
	.section	.rodata,"a",@progbits
	.p2align	6, 0x0
	.amdhsa_kernel _ZN4vllm3moe17topkGatingSoftmaxIfLi1ELi1ELi8ELi4ELb0ELi0ELNS0_23SharedExpertScoringFuncE0EEEvPKT_PKbPfiPiS9_iiiiii
		.amdhsa_group_segment_fixed_size 0
		.amdhsa_private_segment_fixed_size 0
		.amdhsa_kernarg_size 72
		.amdhsa_user_sgpr_count 15
		.amdhsa_user_sgpr_dispatch_ptr 0
		.amdhsa_user_sgpr_queue_ptr 0
		.amdhsa_user_sgpr_kernarg_segment_ptr 1
		.amdhsa_user_sgpr_dispatch_id 0
		.amdhsa_user_sgpr_private_segment_size 0
		.amdhsa_wavefront_size32 1
		.amdhsa_uses_dynamic_stack 0
		.amdhsa_enable_private_segment 0
		.amdhsa_system_sgpr_workgroup_id_x 1
		.amdhsa_system_sgpr_workgroup_id_y 0
		.amdhsa_system_sgpr_workgroup_id_z 0
		.amdhsa_system_sgpr_workgroup_info 0
		.amdhsa_system_vgpr_workitem_id 1
		.amdhsa_next_free_vgpr 17
		.amdhsa_next_free_sgpr 16
		.amdhsa_reserve_vcc 1
		.amdhsa_float_round_mode_32 0
		.amdhsa_float_round_mode_16_64 0
		.amdhsa_float_denorm_mode_32 3
		.amdhsa_float_denorm_mode_16_64 3
		.amdhsa_dx10_clamp 1
		.amdhsa_ieee_mode 1
		.amdhsa_fp16_overflow 0
		.amdhsa_workgroup_processor_mode 1
		.amdhsa_memory_ordered 1
		.amdhsa_forward_progress 0
		.amdhsa_shared_vgpr_count 0
		.amdhsa_exception_fp_ieee_invalid_op 0
		.amdhsa_exception_fp_denorm_src 0
		.amdhsa_exception_fp_ieee_div_zero 0
		.amdhsa_exception_fp_ieee_overflow 0
		.amdhsa_exception_fp_ieee_underflow 0
		.amdhsa_exception_fp_ieee_inexact 0
		.amdhsa_exception_int_div_zero 0
	.end_amdhsa_kernel
	.section	.text._ZN4vllm3moe17topkGatingSoftmaxIfLi1ELi1ELi8ELi4ELb0ELi0ELNS0_23SharedExpertScoringFuncE0EEEvPKT_PKbPfiPiS9_iiiiii,"axG",@progbits,_ZN4vllm3moe17topkGatingSoftmaxIfLi1ELi1ELi8ELi4ELb0ELi0ELNS0_23SharedExpertScoringFuncE0EEEvPKT_PKbPfiPiS9_iiiiii,comdat
.Lfunc_end2:
	.size	_ZN4vllm3moe17topkGatingSoftmaxIfLi1ELi1ELi8ELi4ELb0ELi0ELNS0_23SharedExpertScoringFuncE0EEEvPKT_PKbPfiPiS9_iiiiii, .Lfunc_end2-_ZN4vllm3moe17topkGatingSoftmaxIfLi1ELi1ELi8ELi4ELb0ELi0ELNS0_23SharedExpertScoringFuncE0EEEvPKT_PKbPfiPiS9_iiiiii
                                        ; -- End function
	.section	.AMDGPU.csdata,"",@progbits
; Kernel info:
; codeLenInByte = 1164
; NumSgprs: 18
; NumVgprs: 17
; ScratchSize: 0
; MemoryBound: 0
; FloatMode: 240
; IeeeMode: 1
; LDSByteSize: 0 bytes/workgroup (compile time only)
; SGPRBlocks: 2
; VGPRBlocks: 2
; NumSGPRsForWavesPerEU: 18
; NumVGPRsForWavesPerEU: 17
; Occupancy: 16
; WaveLimiterHint : 0
; COMPUTE_PGM_RSRC2:SCRATCH_EN: 0
; COMPUTE_PGM_RSRC2:USER_SGPR: 15
; COMPUTE_PGM_RSRC2:TRAP_HANDLER: 0
; COMPUTE_PGM_RSRC2:TGID_X_EN: 1
; COMPUTE_PGM_RSRC2:TGID_Y_EN: 0
; COMPUTE_PGM_RSRC2:TGID_Z_EN: 0
; COMPUTE_PGM_RSRC2:TIDIG_COMP_CNT: 1
	.section	.text._ZN4vllm3moe17topkGatingSoftmaxIfLi1ELi1ELi8ELi4ELb1ELi1ELNS0_23SharedExpertScoringFuncE1EEEvPKT_PKbPfiPiS9_iiiiii,"axG",@progbits,_ZN4vllm3moe17topkGatingSoftmaxIfLi1ELi1ELi8ELi4ELb1ELi1ELNS0_23SharedExpertScoringFuncE1EEEvPKT_PKbPfiPiS9_iiiiii,comdat
	.protected	_ZN4vllm3moe17topkGatingSoftmaxIfLi1ELi1ELi8ELi4ELb1ELi1ELNS0_23SharedExpertScoringFuncE1EEEvPKT_PKbPfiPiS9_iiiiii ; -- Begin function _ZN4vllm3moe17topkGatingSoftmaxIfLi1ELi1ELi8ELi4ELb1ELi1ELNS0_23SharedExpertScoringFuncE1EEEvPKT_PKbPfiPiS9_iiiiii
	.globl	_ZN4vllm3moe17topkGatingSoftmaxIfLi1ELi1ELi8ELi4ELb1ELi1ELNS0_23SharedExpertScoringFuncE1EEEvPKT_PKbPfiPiS9_iiiiii
	.p2align	8
	.type	_ZN4vllm3moe17topkGatingSoftmaxIfLi1ELi1ELi8ELi4ELb1ELi1ELNS0_23SharedExpertScoringFuncE1EEEvPKT_PKbPfiPiS9_iiiiii,@function
_ZN4vllm3moe17topkGatingSoftmaxIfLi1ELi1ELi8ELi4ELb1ELi1ELNS0_23SharedExpertScoringFuncE1EEEvPKT_PKbPfiPiS9_iiiiii: ; @_ZN4vllm3moe17topkGatingSoftmaxIfLi1ELi1ELi8ELi4ELb1ELi1ELNS0_23SharedExpertScoringFuncE1EEEvPKT_PKbPfiPiS9_iiiiii
; %bb.0:
	s_load_b32 s12, s[0:1], 0x18
	v_bfe_u32 v1, v0, 10, 10
	v_and_b32_e32 v10, 0x3ff, v0
	s_lshl_b32 s13, s15, 8
	s_mov_b32 s2, exec_lo
	s_delay_alu instid0(VALU_DEP_2) | instskip(NEXT) | instid1(VALU_DEP_1)
	v_lshlrev_b32_e32 v9, 5, v1
	v_add3_u32 v11, v9, v10, s13
	s_waitcnt lgkmcnt(0)
	s_delay_alu instid0(VALU_DEP_1)
	v_cmpx_gt_i32_e64 s12, v11
	s_cbranch_execz .LBB3_12
; %bb.1:
	s_clause 0x1
	s_load_b128 s[4:7], s[0:1], 0x0
	s_load_b64 s[8:9], s[0:1], 0x10
	s_waitcnt lgkmcnt(0)
	s_cmp_eq_u64 s[6:7], 0
	s_cbranch_scc1 .LBB3_3
; %bb.2:
	v_ashrrev_i32_e32 v1, 31, v11
	v_add_co_u32 v0, vcc_lo, s6, v11
	s_delay_alu instid0(VALU_DEP_2) | instskip(SKIP_3) | instid1(VALU_DEP_1)
	v_add_co_ci_u32_e32 v1, vcc_lo, s7, v1, vcc_lo
	global_load_u8 v0, v[0:1], off
	s_waitcnt vmcnt(0)
	v_and_b32_e32 v0, 1, v0
	v_cmp_eq_u32_e32 vcc_lo, 1, v0
	s_xor_b32 s2, vcc_lo, -1
	s_delay_alu instid0(SALU_CYCLE_1)
	s_or_not1_b32 s14, s2, exec_lo
	s_branch .LBB3_4
.LBB3_3:
	s_mov_b32 s14, -1
.LBB3_4:
	s_load_b64 s[10:11], s[0:1], 0x40
	v_mov_b32_e32 v12, 0
	s_waitcnt lgkmcnt(0)
	v_mul_lo_u32 v0, v11, s11
	s_delay_alu instid0(VALU_DEP_1) | instskip(NEXT) | instid1(VALU_DEP_1)
	v_ashrrev_i32_e32 v1, 31, v0
	v_lshlrev_b64 v[0:1], 2, v[0:1]
	s_delay_alu instid0(VALU_DEP_1) | instskip(NEXT) | instid1(VALU_DEP_2)
	v_add_co_u32 v0, vcc_lo, s4, v0
	v_add_co_ci_u32_e32 v1, vcc_lo, s5, v1, vcc_lo
	s_load_b128 s[4:7], s[0:1], 0x30
	global_load_b64 v[2:3], v[0:1], off
	s_waitcnt lgkmcnt(0)
	s_cmp_gt_i32 s4, 0
	s_waitcnt vmcnt(0)
	v_mul_f32_e32 v0, 0xbfb8aa3b, v3
	v_cmp_nlt_f32_e32 vcc_lo, 0x42ce8ed0, v3
	s_delay_alu instid0(VALU_DEP_2) | instskip(SKIP_1) | instid1(VALU_DEP_1)
	v_fma_f32 v1, 0xbfb8aa3b, v3, -v0
	v_rndne_f32_e32 v4, v0
	v_dual_fmamk_f32 v1, v3, 0xb2a5705f, v1 :: v_dual_sub_f32 v0, v0, v4
	s_delay_alu instid0(VALU_DEP_1) | instskip(SKIP_1) | instid1(VALU_DEP_2)
	v_add_f32_e32 v0, v0, v1
	v_cvt_i32_f32_e32 v1, v4
	v_exp_f32_e32 v0, v0
	s_waitcnt_depctr 0xfff
	v_ldexp_f32 v0, v0, v1
	s_delay_alu instid0(VALU_DEP_1) | instskip(SKIP_1) | instid1(VALU_DEP_2)
	v_cndmask_b32_e32 v0, 0, v0, vcc_lo
	v_cmp_ngt_f32_e32 vcc_lo, 0xc2b17218, v3
	v_cndmask_b32_e32 v0, 0x7f800000, v0, vcc_lo
	s_delay_alu instid0(VALU_DEP_1) | instskip(NEXT) | instid1(VALU_DEP_1)
	v_add_f32_e32 v1, 1.0, v0
	v_div_scale_f32 v5, null, v1, v1, 1.0
	s_delay_alu instid0(VALU_DEP_1) | instskip(SKIP_2) | instid1(VALU_DEP_1)
	v_rcp_f32_e32 v6, v5
	s_waitcnt_depctr 0xfff
	v_fma_f32 v0, -v5, v6, 1.0
	v_fmac_f32_e32 v6, v0, v6
	v_div_scale_f32 v7, vcc_lo, 1.0, v1, 1.0
	v_mul_lo_u32 v0, v11, s7
	s_cselect_b32 s7, -1, 0
	s_cmp_lt_i32 s4, 1
	s_delay_alu instid0(VALU_DEP_1) | instskip(NEXT) | instid1(VALU_DEP_1)
	v_dual_mul_f32 v8, v7, v6 :: v_dual_add_nc_u32 v3, s4, v0
	v_fma_f32 v4, -v5, v8, v7
	s_delay_alu instid0(VALU_DEP_1) | instskip(NEXT) | instid1(VALU_DEP_3)
	v_fmac_f32_e32 v8, v4, v6
	v_ashrrev_i32_e32 v4, 31, v3
	s_delay_alu instid0(VALU_DEP_2) | instskip(NEXT) | instid1(VALU_DEP_2)
	v_fma_f32 v5, -v5, v8, v7
	v_lshlrev_b64 v[3:4], 2, v[3:4]
	s_delay_alu instid0(VALU_DEP_2) | instskip(NEXT) | instid1(VALU_DEP_2)
	v_div_fmas_f32 v5, v5, v6, v8
	v_add_co_u32 v3, vcc_lo, s8, v3
	s_delay_alu instid0(VALU_DEP_3) | instskip(NEXT) | instid1(VALU_DEP_3)
	v_add_co_ci_u32_e32 v4, vcc_lo, s9, v4, vcc_lo
	v_div_fixup_f32 v1, v5, v1, 1.0
	global_store_b32 v[3:4], v1, off
	s_cbranch_scc1 .LBB3_8
; %bb.5:
	v_sub_f32_e32 v12, v2, v2
	v_mul_lo_u32 v3, v11, s10
	s_load_b128 s[0:3], s[0:1], 0x20
	v_mul_lo_u32 v7, v11, s4
	s_cmp_lt_i32 s5, 1
	v_mul_f32_e32 v1, 0x3fb8aa3b, v12
	s_cselect_b32 s10, -1, 0
	s_cmp_gt_i32 s6, 0
	s_cselect_b32 s6, -1, 0
	s_delay_alu instid0(VALU_DEP_1)
	v_rndne_f32_e32 v5, v1
	v_fma_f32 v4, 0x3fb8aa3b, v12, -v1
	v_ashrrev_i32_e32 v8, 31, v7
	s_and_b32 s6, s10, s6
	s_sub_i32 s5, 0, s5
	v_sub_f32_e32 v6, v1, v5
	v_fmac_f32_e32 v4, 0x32a5705f, v12
	v_ashrrev_i32_e32 v1, 31, v0
	v_lshlrev_b64 v[7:8], 2, v[7:8]
	s_and_b32 s6, s14, s6
	s_cmp_eq_u32 s4, 1
	v_add_f32_e32 v4, v6, v4
	v_lshlrev_b64 v[14:15], 2, v[0:1]
	v_cvt_i32_f32_e32 v1, v5
	v_cndmask_b32_e64 v13, 1, s5, s6
	s_delay_alu instid0(VALU_DEP_4) | instskip(SKIP_1) | instid1(VALU_DEP_1)
	v_exp_f32_e32 v16, v4
	v_ashrrev_i32_e32 v4, 31, v3
	v_lshlrev_b64 v[5:6], 2, v[3:4]
	v_add_co_u32 v3, vcc_lo, s8, v14
	v_add_co_ci_u32_e32 v4, vcc_lo, s9, v15, vcc_lo
	s_waitcnt_depctr 0xfff
	v_ldexp_f32 v1, v16, v1
	v_cmp_ngt_f32_e32 vcc_lo, 0xc2ce8ed0, v12
	s_delay_alu instid0(VALU_DEP_2)
	v_cndmask_b32_e32 v1, 0, v1, vcc_lo
	s_waitcnt lgkmcnt(0)
	v_add_co_u32 v14, vcc_lo, s0, v5
	v_add_co_ci_u32_e32 v15, vcc_lo, s1, v6, vcc_lo
	v_cmp_nlt_f32_e32 vcc_lo, 0x42b17218, v12
	v_cndmask_b32_e32 v12, 0x7f800000, v1, vcc_lo
	v_add_co_u32 v16, vcc_lo, s2, v7
	v_add_co_ci_u32_e32 v17, vcc_lo, s3, v8, vcc_lo
	global_store_b32 v[14:15], v13, off
	global_store_b32 v[3:4], v12, off
	;; [unrolled: 1-line block ×3, first 2 shown]
	s_cbranch_scc1 .LBB3_8
; %bb.6:
	v_sub_f32_e32 v11, 0xff800000, v2
	v_add_co_u32 v7, vcc_lo, v7, s2
	v_add_co_ci_u32_e32 v8, vcc_lo, s3, v8, vcc_lo
	s_delay_alu instid0(VALU_DEP_3) | instskip(SKIP_2) | instid1(VALU_DEP_3)
	v_mul_f32_e32 v1, 0x3fb8aa3b, v11
	v_add_co_u32 v5, vcc_lo, v5, s0
	v_add_co_ci_u32_e32 v6, vcc_lo, s1, v6, vcc_lo
	v_fma_f32 v2, 0x3fb8aa3b, v11, -v1
	v_rndne_f32_e32 v14, v1
	s_add_i32 s13, s13, s12
	s_add_i32 s0, s4, -1
	s_delay_alu instid0(VALU_DEP_1) | instskip(SKIP_1) | instid1(VALU_DEP_2)
	v_dual_fmac_f32 v2, 0x32a5705f, v11 :: v_dual_sub_f32 v1, v1, v14
	v_cvt_i32_f32_e32 v14, v14
	v_add_f32_e32 v1, v1, v2
	s_delay_alu instid0(VALU_DEP_1)
	v_exp_f32_e32 v15, v1
	v_add_co_u32 v1, vcc_lo, v3, 4
	v_add_co_ci_u32_e32 v2, vcc_lo, 0, v4, vcc_lo
	v_add_co_u32 v3, vcc_lo, v7, 4
	v_add_co_ci_u32_e32 v4, vcc_lo, 0, v8, vcc_lo
	v_cmp_ngt_f32_e32 vcc_lo, 0xc2ce8ed0, v11
	s_waitcnt_depctr 0xfff
	v_ldexp_f32 v14, v15, v14
	v_add3_u32 v8, s13, v10, v9
	s_delay_alu instid0(VALU_DEP_2) | instskip(SKIP_3) | instid1(VALU_DEP_4)
	v_cndmask_b32_e32 v7, 0, v14, vcc_lo
	v_add_co_u32 v5, vcc_lo, v5, 4
	v_add_co_ci_u32_e32 v6, vcc_lo, 0, v6, vcc_lo
	v_cmp_nlt_f32_e32 vcc_lo, 0x42b17218, v11
	v_cndmask_b32_e32 v7, 0x7f800000, v7, vcc_lo
	.p2align	6
.LBB3_7:                                ; =>This Inner Loop Header: Depth=1
	global_store_b32 v[1:2], v7, off
	global_store_b32 v[5:6], v13, off
	;; [unrolled: 1-line block ×3, first 2 shown]
	v_add_co_u32 v3, vcc_lo, v3, 4
	v_add_co_ci_u32_e32 v4, vcc_lo, 0, v4, vcc_lo
	v_add_co_u32 v5, vcc_lo, v5, 4
	v_add_co_ci_u32_e32 v6, vcc_lo, 0, v6, vcc_lo
	v_add_co_u32 v1, vcc_lo, v1, 4
	v_add_f32_e32 v12, v12, v7
	v_add_co_ci_u32_e32 v2, vcc_lo, 0, v2, vcc_lo
	v_add_nc_u32_e32 v8, s12, v8
	s_add_i32 s0, s0, -1
	s_delay_alu instid0(SALU_CYCLE_1)
	s_cmp_eq_u32 s0, 0
	s_cbranch_scc0 .LBB3_7
.LBB3_8:
	v_cmp_neq_f32_e32 vcc_lo, 0, v12
	s_and_b32 exec_lo, exec_lo, vcc_lo
	s_cbranch_execz .LBB3_12
; %bb.9:
	s_and_not1_b32 vcc_lo, exec_lo, s7
	s_cbranch_vccnz .LBB3_12
; %bb.10:
	v_div_scale_f32 v1, null, v12, v12, 1.0
	v_div_scale_f32 v4, vcc_lo, 1.0, v12, 1.0
	s_delay_alu instid0(VALU_DEP_2) | instskip(SKIP_2) | instid1(VALU_DEP_1)
	v_rcp_f32_e32 v2, v1
	s_waitcnt_depctr 0xfff
	v_fma_f32 v3, -v1, v2, 1.0
	v_fmac_f32_e32 v2, v3, v2
	s_delay_alu instid0(VALU_DEP_1) | instskip(NEXT) | instid1(VALU_DEP_1)
	v_mul_f32_e32 v3, v4, v2
	v_fma_f32 v5, -v1, v3, v4
	s_delay_alu instid0(VALU_DEP_1) | instskip(NEXT) | instid1(VALU_DEP_1)
	v_fmac_f32_e32 v3, v5, v2
	v_fma_f32 v4, -v1, v3, v4
	v_ashrrev_i32_e32 v1, 31, v0
	s_delay_alu instid0(VALU_DEP_2) | instskip(NEXT) | instid1(VALU_DEP_2)
	v_div_fmas_f32 v2, v4, v2, v3
	v_lshlrev_b64 v[0:1], 2, v[0:1]
	s_delay_alu instid0(VALU_DEP_2) | instskip(NEXT) | instid1(VALU_DEP_2)
	v_div_fixup_f32 v2, v2, v12, 1.0
	v_add_co_u32 v0, vcc_lo, s8, v0
	s_delay_alu instid0(VALU_DEP_3)
	v_add_co_ci_u32_e32 v1, vcc_lo, s9, v1, vcc_lo
.LBB3_11:                               ; =>This Inner Loop Header: Depth=1
	global_load_b32 v3, v[0:1], off
	s_add_i32 s4, s4, -1
	s_delay_alu instid0(SALU_CYCLE_1)
	s_cmp_lg_u32 s4, 0
	s_waitcnt vmcnt(0)
	v_mul_f32_e32 v3, v2, v3
	global_store_b32 v[0:1], v3, off
	v_add_co_u32 v0, vcc_lo, v0, 4
	v_add_co_ci_u32_e32 v1, vcc_lo, 0, v1, vcc_lo
	s_cbranch_scc1 .LBB3_11
.LBB3_12:
	s_nop 0
	s_sendmsg sendmsg(MSG_DEALLOC_VGPRS)
	s_endpgm
	.section	.rodata,"a",@progbits
	.p2align	6, 0x0
	.amdhsa_kernel _ZN4vllm3moe17topkGatingSoftmaxIfLi1ELi1ELi8ELi4ELb1ELi1ELNS0_23SharedExpertScoringFuncE1EEEvPKT_PKbPfiPiS9_iiiiii
		.amdhsa_group_segment_fixed_size 0
		.amdhsa_private_segment_fixed_size 0
		.amdhsa_kernarg_size 72
		.amdhsa_user_sgpr_count 15
		.amdhsa_user_sgpr_dispatch_ptr 0
		.amdhsa_user_sgpr_queue_ptr 0
		.amdhsa_user_sgpr_kernarg_segment_ptr 1
		.amdhsa_user_sgpr_dispatch_id 0
		.amdhsa_user_sgpr_private_segment_size 0
		.amdhsa_wavefront_size32 1
		.amdhsa_uses_dynamic_stack 0
		.amdhsa_enable_private_segment 0
		.amdhsa_system_sgpr_workgroup_id_x 1
		.amdhsa_system_sgpr_workgroup_id_y 0
		.amdhsa_system_sgpr_workgroup_id_z 0
		.amdhsa_system_sgpr_workgroup_info 0
		.amdhsa_system_vgpr_workitem_id 1
		.amdhsa_next_free_vgpr 18
		.amdhsa_next_free_sgpr 16
		.amdhsa_reserve_vcc 1
		.amdhsa_float_round_mode_32 0
		.amdhsa_float_round_mode_16_64 0
		.amdhsa_float_denorm_mode_32 3
		.amdhsa_float_denorm_mode_16_64 3
		.amdhsa_dx10_clamp 1
		.amdhsa_ieee_mode 1
		.amdhsa_fp16_overflow 0
		.amdhsa_workgroup_processor_mode 1
		.amdhsa_memory_ordered 1
		.amdhsa_forward_progress 0
		.amdhsa_shared_vgpr_count 0
		.amdhsa_exception_fp_ieee_invalid_op 0
		.amdhsa_exception_fp_denorm_src 0
		.amdhsa_exception_fp_ieee_div_zero 0
		.amdhsa_exception_fp_ieee_overflow 0
		.amdhsa_exception_fp_ieee_underflow 0
		.amdhsa_exception_fp_ieee_inexact 0
		.amdhsa_exception_int_div_zero 0
	.end_amdhsa_kernel
	.section	.text._ZN4vllm3moe17topkGatingSoftmaxIfLi1ELi1ELi8ELi4ELb1ELi1ELNS0_23SharedExpertScoringFuncE1EEEvPKT_PKbPfiPiS9_iiiiii,"axG",@progbits,_ZN4vllm3moe17topkGatingSoftmaxIfLi1ELi1ELi8ELi4ELb1ELi1ELNS0_23SharedExpertScoringFuncE1EEEvPKT_PKbPfiPiS9_iiiiii,comdat
.Lfunc_end3:
	.size	_ZN4vllm3moe17topkGatingSoftmaxIfLi1ELi1ELi8ELi4ELb1ELi1ELNS0_23SharedExpertScoringFuncE1EEEvPKT_PKbPfiPiS9_iiiiii, .Lfunc_end3-_ZN4vllm3moe17topkGatingSoftmaxIfLi1ELi1ELi8ELi4ELb1ELi1ELNS0_23SharedExpertScoringFuncE1EEEvPKT_PKbPfiPiS9_iiiiii
                                        ; -- End function
	.section	.AMDGPU.csdata,"",@progbits
; Kernel info:
; codeLenInByte = 1260
; NumSgprs: 18
; NumVgprs: 18
; ScratchSize: 0
; MemoryBound: 0
; FloatMode: 240
; IeeeMode: 1
; LDSByteSize: 0 bytes/workgroup (compile time only)
; SGPRBlocks: 2
; VGPRBlocks: 2
; NumSGPRsForWavesPerEU: 18
; NumVGPRsForWavesPerEU: 18
; Occupancy: 16
; WaveLimiterHint : 0
; COMPUTE_PGM_RSRC2:SCRATCH_EN: 0
; COMPUTE_PGM_RSRC2:USER_SGPR: 15
; COMPUTE_PGM_RSRC2:TRAP_HANDLER: 0
; COMPUTE_PGM_RSRC2:TGID_X_EN: 1
; COMPUTE_PGM_RSRC2:TGID_Y_EN: 0
; COMPUTE_PGM_RSRC2:TGID_Z_EN: 0
; COMPUTE_PGM_RSRC2:TIDIG_COMP_CNT: 1
	.section	.text._ZN4vllm3moe17topkGatingSoftmaxIfLi1ELi1ELi8ELi4ELb0ELi1ELNS0_23SharedExpertScoringFuncE1EEEvPKT_PKbPfiPiS9_iiiiii,"axG",@progbits,_ZN4vllm3moe17topkGatingSoftmaxIfLi1ELi1ELi8ELi4ELb0ELi1ELNS0_23SharedExpertScoringFuncE1EEEvPKT_PKbPfiPiS9_iiiiii,comdat
	.protected	_ZN4vllm3moe17topkGatingSoftmaxIfLi1ELi1ELi8ELi4ELb0ELi1ELNS0_23SharedExpertScoringFuncE1EEEvPKT_PKbPfiPiS9_iiiiii ; -- Begin function _ZN4vllm3moe17topkGatingSoftmaxIfLi1ELi1ELi8ELi4ELb0ELi1ELNS0_23SharedExpertScoringFuncE1EEEvPKT_PKbPfiPiS9_iiiiii
	.globl	_ZN4vllm3moe17topkGatingSoftmaxIfLi1ELi1ELi8ELi4ELb0ELi1ELNS0_23SharedExpertScoringFuncE1EEEvPKT_PKbPfiPiS9_iiiiii
	.p2align	8
	.type	_ZN4vllm3moe17topkGatingSoftmaxIfLi1ELi1ELi8ELi4ELb0ELi1ELNS0_23SharedExpertScoringFuncE1EEEvPKT_PKbPfiPiS9_iiiiii,@function
_ZN4vllm3moe17topkGatingSoftmaxIfLi1ELi1ELi8ELi4ELb0ELi1ELNS0_23SharedExpertScoringFuncE1EEEvPKT_PKbPfiPiS9_iiiiii: ; @_ZN4vllm3moe17topkGatingSoftmaxIfLi1ELi1ELi8ELi4ELb0ELi1ELNS0_23SharedExpertScoringFuncE1EEEvPKT_PKbPfiPiS9_iiiiii
; %bb.0:
	s_load_b32 s12, s[0:1], 0x18
	v_bfe_u32 v1, v0, 10, 10
	v_and_b32_e32 v10, 0x3ff, v0
	s_lshl_b32 s13, s15, 8
	s_mov_b32 s2, exec_lo
	s_delay_alu instid0(VALU_DEP_2) | instskip(NEXT) | instid1(VALU_DEP_1)
	v_lshlrev_b32_e32 v9, 5, v1
	v_add3_u32 v11, v9, v10, s13
	s_waitcnt lgkmcnt(0)
	s_delay_alu instid0(VALU_DEP_1)
	v_cmpx_gt_i32_e64 s12, v11
	s_cbranch_execz .LBB4_13
; %bb.1:
	s_clause 0x1
	s_load_b128 s[4:7], s[0:1], 0x0
	s_load_b64 s[8:9], s[0:1], 0x10
	s_waitcnt lgkmcnt(0)
	s_cmp_eq_u64 s[6:7], 0
	s_cbranch_scc1 .LBB4_3
; %bb.2:
	v_ashrrev_i32_e32 v1, 31, v11
	v_add_co_u32 v0, vcc_lo, s6, v11
	s_delay_alu instid0(VALU_DEP_2) | instskip(SKIP_3) | instid1(VALU_DEP_1)
	v_add_co_ci_u32_e32 v1, vcc_lo, s7, v1, vcc_lo
	global_load_u8 v0, v[0:1], off
	s_waitcnt vmcnt(0)
	v_and_b32_e32 v0, 1, v0
	v_cmp_eq_u32_e32 vcc_lo, 1, v0
	s_xor_b32 s2, vcc_lo, -1
	s_delay_alu instid0(SALU_CYCLE_1)
	s_or_not1_b32 s14, s2, exec_lo
	s_branch .LBB4_4
.LBB4_3:
	s_mov_b32 s14, -1
.LBB4_4:
	s_load_b64 s[10:11], s[0:1], 0x40
	s_waitcnt lgkmcnt(0)
	v_mul_lo_u32 v0, v11, s11
	s_delay_alu instid0(VALU_DEP_1) | instskip(NEXT) | instid1(VALU_DEP_1)
	v_ashrrev_i32_e32 v1, 31, v0
	v_lshlrev_b64 v[0:1], 2, v[0:1]
	s_delay_alu instid0(VALU_DEP_1) | instskip(NEXT) | instid1(VALU_DEP_2)
	v_add_co_u32 v0, vcc_lo, s4, v0
	v_add_co_ci_u32_e32 v1, vcc_lo, s5, v1, vcc_lo
	s_load_b128 s[4:7], s[0:1], 0x30
	global_load_b64 v[2:3], v[0:1], off
	s_waitcnt lgkmcnt(0)
	s_cmp_gt_i32 s4, 0
	s_waitcnt vmcnt(0)
	v_mul_f32_e32 v0, 0xbfb8aa3b, v3
	v_cmp_nlt_f32_e32 vcc_lo, 0x42ce8ed0, v3
	s_delay_alu instid0(VALU_DEP_2) | instskip(SKIP_1) | instid1(VALU_DEP_1)
	v_fma_f32 v1, 0xbfb8aa3b, v3, -v0
	v_rndne_f32_e32 v4, v0
	v_dual_fmamk_f32 v1, v3, 0xb2a5705f, v1 :: v_dual_sub_f32 v0, v0, v4
	s_delay_alu instid0(VALU_DEP_1) | instskip(SKIP_1) | instid1(VALU_DEP_2)
	v_add_f32_e32 v0, v0, v1
	v_cvt_i32_f32_e32 v1, v4
	v_exp_f32_e32 v0, v0
	s_waitcnt_depctr 0xfff
	v_ldexp_f32 v0, v0, v1
	s_delay_alu instid0(VALU_DEP_1) | instskip(SKIP_1) | instid1(VALU_DEP_2)
	v_cndmask_b32_e32 v0, 0, v0, vcc_lo
	v_cmp_ngt_f32_e32 vcc_lo, 0xc2b17218, v3
	v_cndmask_b32_e32 v0, 0x7f800000, v0, vcc_lo
	s_delay_alu instid0(VALU_DEP_1) | instskip(NEXT) | instid1(VALU_DEP_1)
	v_add_f32_e32 v1, 1.0, v0
	v_div_scale_f32 v5, null, v1, v1, 1.0
	s_delay_alu instid0(VALU_DEP_1) | instskip(SKIP_2) | instid1(VALU_DEP_1)
	v_rcp_f32_e32 v6, v5
	s_waitcnt_depctr 0xfff
	v_fma_f32 v0, -v5, v6, 1.0
	v_fmac_f32_e32 v6, v0, v6
	v_div_scale_f32 v7, vcc_lo, 1.0, v1, 1.0
	v_mul_lo_u32 v0, v11, s7
	s_cselect_b32 s7, -1, 0
	s_cmp_lt_i32 s4, 1
	s_delay_alu instid0(VALU_DEP_1) | instskip(NEXT) | instid1(VALU_DEP_1)
	v_dual_mul_f32 v8, v7, v6 :: v_dual_add_nc_u32 v3, s4, v0
	v_fma_f32 v4, -v5, v8, v7
	s_delay_alu instid0(VALU_DEP_1) | instskip(NEXT) | instid1(VALU_DEP_3)
	v_fmac_f32_e32 v8, v4, v6
	v_ashrrev_i32_e32 v4, 31, v3
	s_delay_alu instid0(VALU_DEP_2) | instskip(NEXT) | instid1(VALU_DEP_2)
	v_fma_f32 v5, -v5, v8, v7
	v_lshlrev_b64 v[3:4], 2, v[3:4]
	s_delay_alu instid0(VALU_DEP_2) | instskip(NEXT) | instid1(VALU_DEP_2)
	v_div_fmas_f32 v7, v5, v6, v8
	v_add_co_u32 v5, vcc_lo, s8, v3
	s_delay_alu instid0(VALU_DEP_3) | instskip(NEXT) | instid1(VALU_DEP_3)
	v_add_co_ci_u32_e32 v6, vcc_lo, s9, v4, vcc_lo
	v_div_fixup_f32 v4, v7, v1, 1.0
	v_mov_b32_e32 v1, 0
	v_mov_b32_e32 v3, v2
	global_store_b32 v[5:6], v4, off
	s_cbranch_scc1 .LBB4_9
; %bb.5:
	v_sub_f32_e32 v15, v2, v2
	v_mul_lo_u32 v3, v11, s10
	s_load_b128 s[0:3], s[0:1], 0x20
	v_mul_lo_u32 v7, v11, s4
	s_cmp_lt_i32 s5, 1
	v_mul_f32_e32 v1, 0x3fb8aa3b, v15
	s_cselect_b32 s10, -1, 0
	s_cmp_gt_i32 s6, 0
	s_cselect_b32 s6, -1, 0
	s_delay_alu instid0(VALU_DEP_1) | instskip(NEXT) | instid1(VALU_DEP_3)
	v_rndne_f32_e32 v5, v1
	v_ashrrev_i32_e32 v8, 31, v7
	s_and_b32 s6, s10, s6
	s_sub_i32 s5, 0, s5
	s_and_b32 s6, s14, s6
	v_sub_f32_e32 v6, v1, v5
	v_fma_f32 v4, 0x3fb8aa3b, v15, -v1
	v_ashrrev_i32_e32 v1, 31, v0
	v_lshlrev_b64 v[7:8], 2, v[7:8]
	v_cndmask_b32_e64 v12, 1, s5, s6
	s_cmp_eq_u32 s4, 1
	v_fmac_f32_e32 v4, 0x32a5705f, v15
	v_lshlrev_b64 v[13:14], 2, v[0:1]
	v_cvt_i32_f32_e32 v1, v5
	s_delay_alu instid0(VALU_DEP_3) | instskip(NEXT) | instid1(VALU_DEP_1)
	v_add_f32_e32 v4, v6, v4
	v_exp_f32_e32 v16, v4
	v_ashrrev_i32_e32 v4, 31, v3
	s_delay_alu instid0(VALU_DEP_1)
	v_lshlrev_b64 v[5:6], 2, v[3:4]
	v_add_co_u32 v3, vcc_lo, s8, v13
	v_add_co_ci_u32_e32 v4, vcc_lo, s9, v14, vcc_lo
	s_waitcnt_depctr 0xfff
	v_ldexp_f32 v1, v16, v1
	v_cmp_ngt_f32_e32 vcc_lo, 0xc2ce8ed0, v15
	s_delay_alu instid0(VALU_DEP_2)
	v_cndmask_b32_e32 v1, 0, v1, vcc_lo
	s_waitcnt lgkmcnt(0)
	v_add_co_u32 v13, vcc_lo, s0, v5
	v_add_co_ci_u32_e32 v14, vcc_lo, s1, v6, vcc_lo
	v_cmp_nlt_f32_e32 vcc_lo, 0x42b17218, v15
	v_cndmask_b32_e32 v1, 0x7f800000, v1, vcc_lo
	v_add_co_u32 v15, vcc_lo, s2, v7
	v_add_co_ci_u32_e32 v16, vcc_lo, s3, v8, vcc_lo
	global_store_b32 v[13:14], v12, off
	global_store_b32 v[3:4], v1, off
	;; [unrolled: 1-line block ×3, first 2 shown]
	s_cbranch_scc1 .LBB4_8
; %bb.6:
	v_sub_f32_e32 v11, 0xff800000, v2
	v_add_co_u32 v7, vcc_lo, v7, s2
	v_add_co_ci_u32_e32 v8, vcc_lo, s3, v8, vcc_lo
	s_delay_alu instid0(VALU_DEP_3) | instskip(SKIP_1) | instid1(SALU_CYCLE_1)
	v_mul_f32_e32 v13, 0x3fb8aa3b, v11
	s_add_i32 s13, s13, s12
	v_add3_u32 v9, s13, v10, v9
	s_delay_alu instid0(VALU_DEP_2) | instskip(SKIP_1) | instid1(VALU_DEP_2)
	v_fma_f32 v14, 0x3fb8aa3b, v11, -v13
	v_rndne_f32_e32 v15, v13
	v_fmac_f32_e32 v14, 0x32a5705f, v11
	s_delay_alu instid0(VALU_DEP_2) | instskip(NEXT) | instid1(VALU_DEP_1)
	v_sub_f32_e32 v13, v13, v15
	v_add_f32_e32 v13, v13, v14
	v_add_co_u32 v14, vcc_lo, v5, s0
	v_cvt_i32_f32_e32 v5, v15
	v_add_co_ci_u32_e32 v16, vcc_lo, s1, v6, vcc_lo
	s_delay_alu instid0(VALU_DEP_4)
	v_exp_f32_e32 v13, v13
	v_add_co_u32 v3, vcc_lo, v3, 4
	v_add_co_ci_u32_e32 v4, vcc_lo, 0, v4, vcc_lo
	s_add_i32 s0, s4, -1
	s_waitcnt_depctr 0xfff
	v_ldexp_f32 v13, v13, v5
	v_add_co_u32 v5, vcc_lo, v7, 4
	v_add_co_ci_u32_e32 v6, vcc_lo, 0, v8, vcc_lo
	v_cmp_ngt_f32_e32 vcc_lo, 0xc2ce8ed0, v11
	s_delay_alu instid0(VALU_DEP_4) | instskip(SKIP_3) | instid1(VALU_DEP_4)
	v_cndmask_b32_e32 v13, 0, v13, vcc_lo
	v_add_co_u32 v7, vcc_lo, v14, 4
	v_add_co_ci_u32_e32 v8, vcc_lo, 0, v16, vcc_lo
	v_cmp_nlt_f32_e32 vcc_lo, 0x42b17218, v11
	v_cndmask_b32_e32 v11, 0x7f800000, v13, vcc_lo
	.p2align	6
.LBB4_7:                                ; =>This Inner Loop Header: Depth=1
	global_store_b32 v[3:4], v11, off
	global_store_b32 v[7:8], v12, off
	;; [unrolled: 1-line block ×3, first 2 shown]
	v_add_co_u32 v5, vcc_lo, v5, 4
	v_add_co_ci_u32_e32 v6, vcc_lo, 0, v6, vcc_lo
	v_add_co_u32 v7, vcc_lo, v7, 4
	v_add_co_ci_u32_e32 v8, vcc_lo, 0, v8, vcc_lo
	v_add_co_u32 v3, vcc_lo, v3, 4
	v_add_f32_e32 v1, v1, v11
	v_add_co_ci_u32_e32 v4, vcc_lo, 0, v4, vcc_lo
	v_add_nc_u32_e32 v9, s12, v9
	s_add_i32 s0, s0, -1
	s_delay_alu instid0(SALU_CYCLE_1)
	s_cmp_eq_u32 s0, 0
	s_cbranch_scc0 .LBB4_7
.LBB4_8:
	v_mov_b32_e32 v3, 0xff800000
.LBB4_9:
	s_delay_alu instid0(VALU_DEP_1) | instskip(NEXT) | instid1(VALU_DEP_1)
	v_sub_f32_e32 v2, v3, v2
	v_mul_f32_e32 v3, 0x3fb8aa3b, v2
	v_cmp_ngt_f32_e32 vcc_lo, 0xc2ce8ed0, v2
	s_delay_alu instid0(VALU_DEP_2) | instskip(SKIP_1) | instid1(VALU_DEP_1)
	v_fma_f32 v4, 0x3fb8aa3b, v2, -v3
	v_rndne_f32_e32 v5, v3
	v_dual_fmamk_f32 v4, v2, 0x32a5705f, v4 :: v_dual_sub_f32 v3, v3, v5
	s_delay_alu instid0(VALU_DEP_1) | instskip(SKIP_1) | instid1(VALU_DEP_2)
	v_add_f32_e32 v3, v3, v4
	v_cvt_i32_f32_e32 v4, v5
	v_exp_f32_e32 v3, v3
	s_waitcnt_depctr 0xfff
	v_ldexp_f32 v3, v3, v4
	s_delay_alu instid0(VALU_DEP_1) | instskip(SKIP_1) | instid1(VALU_DEP_2)
	v_cndmask_b32_e32 v3, 0, v3, vcc_lo
	v_cmp_nlt_f32_e32 vcc_lo, 0x42b17218, v2
	v_cndmask_b32_e32 v2, 0x7f800000, v3, vcc_lo
	s_delay_alu instid0(VALU_DEP_1) | instskip(NEXT) | instid1(VALU_DEP_1)
	v_add_f32_e32 v2, v1, v2
	v_cmp_neq_f32_e32 vcc_lo, 0, v2
	s_and_b32 exec_lo, exec_lo, vcc_lo
	s_cbranch_execz .LBB4_13
; %bb.10:
	s_and_not1_b32 vcc_lo, exec_lo, s7
	s_cbranch_vccnz .LBB4_13
; %bb.11:
	v_div_scale_f32 v1, null, v2, v2, 1.0
	v_div_scale_f32 v5, vcc_lo, 1.0, v2, 1.0
	s_delay_alu instid0(VALU_DEP_2) | instskip(SKIP_2) | instid1(VALU_DEP_1)
	v_rcp_f32_e32 v3, v1
	s_waitcnt_depctr 0xfff
	v_fma_f32 v4, -v1, v3, 1.0
	v_fmac_f32_e32 v3, v4, v3
	s_delay_alu instid0(VALU_DEP_1) | instskip(NEXT) | instid1(VALU_DEP_1)
	v_mul_f32_e32 v4, v5, v3
	v_fma_f32 v6, -v1, v4, v5
	s_delay_alu instid0(VALU_DEP_1) | instskip(NEXT) | instid1(VALU_DEP_1)
	v_fmac_f32_e32 v4, v6, v3
	v_fma_f32 v5, -v1, v4, v5
	v_ashrrev_i32_e32 v1, 31, v0
	s_delay_alu instid0(VALU_DEP_2) | instskip(NEXT) | instid1(VALU_DEP_2)
	v_div_fmas_f32 v3, v5, v3, v4
	v_lshlrev_b64 v[0:1], 2, v[0:1]
	s_delay_alu instid0(VALU_DEP_2) | instskip(NEXT) | instid1(VALU_DEP_2)
	v_div_fixup_f32 v2, v3, v2, 1.0
	v_add_co_u32 v0, vcc_lo, s8, v0
	s_delay_alu instid0(VALU_DEP_3)
	v_add_co_ci_u32_e32 v1, vcc_lo, s9, v1, vcc_lo
.LBB4_12:                               ; =>This Inner Loop Header: Depth=1
	global_load_b32 v3, v[0:1], off
	s_add_i32 s4, s4, -1
	s_delay_alu instid0(SALU_CYCLE_1)
	s_cmp_lg_u32 s4, 0
	s_waitcnt vmcnt(0)
	v_mul_f32_e32 v3, v2, v3
	global_store_b32 v[0:1], v3, off
	v_add_co_u32 v0, vcc_lo, v0, 4
	v_add_co_ci_u32_e32 v1, vcc_lo, 0, v1, vcc_lo
	s_cbranch_scc1 .LBB4_12
.LBB4_13:
	s_nop 0
	s_sendmsg sendmsg(MSG_DEALLOC_VGPRS)
	s_endpgm
	.section	.rodata,"a",@progbits
	.p2align	6, 0x0
	.amdhsa_kernel _ZN4vllm3moe17topkGatingSoftmaxIfLi1ELi1ELi8ELi4ELb0ELi1ELNS0_23SharedExpertScoringFuncE1EEEvPKT_PKbPfiPiS9_iiiiii
		.amdhsa_group_segment_fixed_size 0
		.amdhsa_private_segment_fixed_size 0
		.amdhsa_kernarg_size 72
		.amdhsa_user_sgpr_count 15
		.amdhsa_user_sgpr_dispatch_ptr 0
		.amdhsa_user_sgpr_queue_ptr 0
		.amdhsa_user_sgpr_kernarg_segment_ptr 1
		.amdhsa_user_sgpr_dispatch_id 0
		.amdhsa_user_sgpr_private_segment_size 0
		.amdhsa_wavefront_size32 1
		.amdhsa_uses_dynamic_stack 0
		.amdhsa_enable_private_segment 0
		.amdhsa_system_sgpr_workgroup_id_x 1
		.amdhsa_system_sgpr_workgroup_id_y 0
		.amdhsa_system_sgpr_workgroup_id_z 0
		.amdhsa_system_sgpr_workgroup_info 0
		.amdhsa_system_vgpr_workitem_id 1
		.amdhsa_next_free_vgpr 17
		.amdhsa_next_free_sgpr 16
		.amdhsa_reserve_vcc 1
		.amdhsa_float_round_mode_32 0
		.amdhsa_float_round_mode_16_64 0
		.amdhsa_float_denorm_mode_32 3
		.amdhsa_float_denorm_mode_16_64 3
		.amdhsa_dx10_clamp 1
		.amdhsa_ieee_mode 1
		.amdhsa_fp16_overflow 0
		.amdhsa_workgroup_processor_mode 1
		.amdhsa_memory_ordered 1
		.amdhsa_forward_progress 0
		.amdhsa_shared_vgpr_count 0
		.amdhsa_exception_fp_ieee_invalid_op 0
		.amdhsa_exception_fp_denorm_src 0
		.amdhsa_exception_fp_ieee_div_zero 0
		.amdhsa_exception_fp_ieee_overflow 0
		.amdhsa_exception_fp_ieee_underflow 0
		.amdhsa_exception_fp_ieee_inexact 0
		.amdhsa_exception_int_div_zero 0
	.end_amdhsa_kernel
	.section	.text._ZN4vllm3moe17topkGatingSoftmaxIfLi1ELi1ELi8ELi4ELb0ELi1ELNS0_23SharedExpertScoringFuncE1EEEvPKT_PKbPfiPiS9_iiiiii,"axG",@progbits,_ZN4vllm3moe17topkGatingSoftmaxIfLi1ELi1ELi8ELi4ELb0ELi1ELNS0_23SharedExpertScoringFuncE1EEEvPKT_PKbPfiPiS9_iiiiii,comdat
.Lfunc_end4:
	.size	_ZN4vllm3moe17topkGatingSoftmaxIfLi1ELi1ELi8ELi4ELb0ELi1ELNS0_23SharedExpertScoringFuncE1EEEvPKT_PKbPfiPiS9_iiiiii, .Lfunc_end4-_ZN4vllm3moe17topkGatingSoftmaxIfLi1ELi1ELi8ELi4ELb0ELi1ELNS0_23SharedExpertScoringFuncE1EEEvPKT_PKbPfiPiS9_iiiiii
                                        ; -- End function
	.section	.AMDGPU.csdata,"",@progbits
; Kernel info:
; codeLenInByte = 1396
; NumSgprs: 18
; NumVgprs: 17
; ScratchSize: 0
; MemoryBound: 0
; FloatMode: 240
; IeeeMode: 1
; LDSByteSize: 0 bytes/workgroup (compile time only)
; SGPRBlocks: 2
; VGPRBlocks: 2
; NumSGPRsForWavesPerEU: 18
; NumVGPRsForWavesPerEU: 17
; Occupancy: 16
; WaveLimiterHint : 0
; COMPUTE_PGM_RSRC2:SCRATCH_EN: 0
; COMPUTE_PGM_RSRC2:USER_SGPR: 15
; COMPUTE_PGM_RSRC2:TRAP_HANDLER: 0
; COMPUTE_PGM_RSRC2:TGID_X_EN: 1
; COMPUTE_PGM_RSRC2:TGID_Y_EN: 0
; COMPUTE_PGM_RSRC2:TGID_Z_EN: 0
; COMPUTE_PGM_RSRC2:TIDIG_COMP_CNT: 1
	.section	.text._ZN4vllm3moe17topkGatingSoftmaxIfLi1ELi1ELi8ELi4ELb1ELi2ELNS0_23SharedExpertScoringFuncE1EEEvPKT_PKbPfiPiS9_iiiiii,"axG",@progbits,_ZN4vllm3moe17topkGatingSoftmaxIfLi1ELi1ELi8ELi4ELb1ELi2ELNS0_23SharedExpertScoringFuncE1EEEvPKT_PKbPfiPiS9_iiiiii,comdat
	.protected	_ZN4vllm3moe17topkGatingSoftmaxIfLi1ELi1ELi8ELi4ELb1ELi2ELNS0_23SharedExpertScoringFuncE1EEEvPKT_PKbPfiPiS9_iiiiii ; -- Begin function _ZN4vllm3moe17topkGatingSoftmaxIfLi1ELi1ELi8ELi4ELb1ELi2ELNS0_23SharedExpertScoringFuncE1EEEvPKT_PKbPfiPiS9_iiiiii
	.globl	_ZN4vllm3moe17topkGatingSoftmaxIfLi1ELi1ELi8ELi4ELb1ELi2ELNS0_23SharedExpertScoringFuncE1EEEvPKT_PKbPfiPiS9_iiiiii
	.p2align	8
	.type	_ZN4vllm3moe17topkGatingSoftmaxIfLi1ELi1ELi8ELi4ELb1ELi2ELNS0_23SharedExpertScoringFuncE1EEEvPKT_PKbPfiPiS9_iiiiii,@function
_ZN4vllm3moe17topkGatingSoftmaxIfLi1ELi1ELi8ELi4ELb1ELi2ELNS0_23SharedExpertScoringFuncE1EEEvPKT_PKbPfiPiS9_iiiiii: ; @_ZN4vllm3moe17topkGatingSoftmaxIfLi1ELi1ELi8ELi4ELb1ELi2ELNS0_23SharedExpertScoringFuncE1EEEvPKT_PKbPfiPiS9_iiiiii
; %bb.0:
	s_load_b32 s12, s[0:1], 0x18
	v_bfe_u32 v1, v0, 10, 10
	v_and_b32_e32 v10, 0x3ff, v0
	s_lshl_b32 s13, s15, 8
	s_mov_b32 s2, exec_lo
	s_delay_alu instid0(VALU_DEP_2) | instskip(NEXT) | instid1(VALU_DEP_1)
	v_lshlrev_b32_e32 v9, 5, v1
	v_add3_u32 v11, v9, v10, s13
	s_waitcnt lgkmcnt(0)
	s_delay_alu instid0(VALU_DEP_1)
	v_cmpx_gt_i32_e64 s12, v11
	s_cbranch_execz .LBB5_12
; %bb.1:
	s_clause 0x1
	s_load_b128 s[4:7], s[0:1], 0x0
	s_load_b64 s[8:9], s[0:1], 0x10
	s_waitcnt lgkmcnt(0)
	s_cmp_eq_u64 s[6:7], 0
	s_cbranch_scc1 .LBB5_3
; %bb.2:
	v_ashrrev_i32_e32 v1, 31, v11
	v_add_co_u32 v0, vcc_lo, s6, v11
	s_delay_alu instid0(VALU_DEP_2) | instskip(SKIP_3) | instid1(VALU_DEP_1)
	v_add_co_ci_u32_e32 v1, vcc_lo, s7, v1, vcc_lo
	global_load_u8 v0, v[0:1], off
	s_waitcnt vmcnt(0)
	v_and_b32_e32 v0, 1, v0
	v_cmp_eq_u32_e32 vcc_lo, 1, v0
	s_xor_b32 s2, vcc_lo, -1
	s_delay_alu instid0(SALU_CYCLE_1)
	s_or_not1_b32 s14, s2, exec_lo
	s_branch .LBB5_4
.LBB5_3:
	s_mov_b32 s14, -1
.LBB5_4:
	s_load_b64 s[10:11], s[0:1], 0x40
	s_waitcnt lgkmcnt(0)
	v_mul_lo_u32 v0, v11, s11
	s_delay_alu instid0(VALU_DEP_1) | instskip(NEXT) | instid1(VALU_DEP_1)
	v_ashrrev_i32_e32 v1, 31, v0
	v_lshlrev_b64 v[0:1], 2, v[0:1]
	s_delay_alu instid0(VALU_DEP_1) | instskip(NEXT) | instid1(VALU_DEP_2)
	v_add_co_u32 v4, vcc_lo, s4, v0
	v_add_co_ci_u32_e32 v5, vcc_lo, s5, v1, vcc_lo
	s_load_b128 s[4:7], s[0:1], 0x30
	global_load_b64 v[2:3], v[4:5], off
	s_waitcnt lgkmcnt(0)
	s_cmp_gt_i32 s4, 0
	s_waitcnt vmcnt(0)
	v_mul_f32_e32 v0, 0xbfb8aa3b, v3
	v_cmp_nlt_f32_e32 vcc_lo, 0x42ce8ed0, v3
	s_delay_alu instid0(VALU_DEP_2) | instskip(SKIP_1) | instid1(VALU_DEP_1)
	v_fma_f32 v1, 0xbfb8aa3b, v3, -v0
	v_rndne_f32_e32 v6, v0
	v_dual_fmac_f32 v1, 0xb2a5705f, v3 :: v_dual_sub_f32 v0, v0, v6
	s_delay_alu instid0(VALU_DEP_1) | instskip(SKIP_1) | instid1(VALU_DEP_2)
	v_add_f32_e32 v0, v0, v1
	v_cvt_i32_f32_e32 v1, v6
	v_exp_f32_e32 v0, v0
	s_waitcnt_depctr 0xfff
	v_ldexp_f32 v0, v0, v1
	s_delay_alu instid0(VALU_DEP_1) | instskip(SKIP_1) | instid1(VALU_DEP_2)
	v_cndmask_b32_e32 v0, 0, v0, vcc_lo
	v_cmp_ngt_f32_e32 vcc_lo, 0xc2b17218, v3
	v_cndmask_b32_e32 v0, 0x7f800000, v0, vcc_lo
	s_delay_alu instid0(VALU_DEP_1) | instskip(NEXT) | instid1(VALU_DEP_1)
	v_add_f32_e32 v1, 1.0, v0
	v_div_scale_f32 v3, null, v1, v1, 1.0
	v_div_scale_f32 v12, vcc_lo, 1.0, v1, 1.0
	s_delay_alu instid0(VALU_DEP_2) | instskip(SKIP_2) | instid1(VALU_DEP_1)
	v_rcp_f32_e32 v8, v3
	s_waitcnt_depctr 0xfff
	v_fma_f32 v0, -v3, v8, 1.0
	v_fmac_f32_e32 v8, v0, v8
	v_mul_lo_u32 v0, v11, s7
	s_cselect_b32 s7, -1, 0
	s_cmp_lt_i32 s4, 1
	s_delay_alu instid0(VALU_DEP_2) | instskip(NEXT) | instid1(VALU_DEP_2)
	v_mul_f32_e32 v13, v12, v8
	v_add_nc_u32_e32 v6, s4, v0
	s_delay_alu instid0(VALU_DEP_2) | instskip(NEXT) | instid1(VALU_DEP_1)
	v_fma_f32 v7, -v3, v13, v12
	v_fmac_f32_e32 v13, v7, v8
	s_delay_alu instid0(VALU_DEP_3) | instskip(NEXT) | instid1(VALU_DEP_2)
	v_ashrrev_i32_e32 v7, 31, v6
	v_fma_f32 v3, -v3, v13, v12
	s_delay_alu instid0(VALU_DEP_2) | instskip(NEXT) | instid1(VALU_DEP_2)
	v_lshlrev_b64 v[6:7], 2, v[6:7]
	v_div_fmas_f32 v3, v3, v8, v13
	s_delay_alu instid0(VALU_DEP_2) | instskip(NEXT) | instid1(VALU_DEP_3)
	v_add_co_u32 v6, vcc_lo, s8, v6
	v_add_co_ci_u32_e32 v7, vcc_lo, s9, v7, vcc_lo
	s_delay_alu instid0(VALU_DEP_3)
	v_div_fixup_f32 v1, v3, v1, 1.0
	global_store_b32 v[6:7], v1, off
	global_load_b32 v1, v[4:5], off offset:8
	s_waitcnt vmcnt(0)
	v_mul_f32_e32 v3, 0xbfb8aa3b, v1
	v_cmp_nlt_f32_e32 vcc_lo, 0x42ce8ed0, v1
	s_delay_alu instid0(VALU_DEP_2) | instskip(SKIP_1) | instid1(VALU_DEP_2)
	v_fma_f32 v4, 0xbfb8aa3b, v1, -v3
	v_rndne_f32_e32 v5, v3
	v_fmac_f32_e32 v4, 0xb2a5705f, v1
	s_delay_alu instid0(VALU_DEP_2) | instskip(NEXT) | instid1(VALU_DEP_1)
	v_sub_f32_e32 v3, v3, v5
	v_add_f32_e32 v3, v3, v4
	v_cvt_i32_f32_e32 v4, v5
	s_delay_alu instid0(VALU_DEP_2) | instskip(SKIP_2) | instid1(VALU_DEP_1)
	v_exp_f32_e32 v3, v3
	s_waitcnt_depctr 0xfff
	v_ldexp_f32 v3, v3, v4
	v_cndmask_b32_e32 v3, 0, v3, vcc_lo
	v_cmp_ngt_f32_e32 vcc_lo, 0xc2b17218, v1
	s_delay_alu instid0(VALU_DEP_2) | instskip(NEXT) | instid1(VALU_DEP_1)
	v_cndmask_b32_e32 v1, 0x7f800000, v3, vcc_lo
	v_add_f32_e32 v1, 1.0, v1
	s_delay_alu instid0(VALU_DEP_1) | instskip(SKIP_1) | instid1(VALU_DEP_2)
	v_div_scale_f32 v3, null, v1, v1, 1.0
	v_div_scale_f32 v8, vcc_lo, 1.0, v1, 1.0
	v_rcp_f32_e32 v4, v3
	s_waitcnt_depctr 0xfff
	v_fma_f32 v5, -v3, v4, 1.0
	s_delay_alu instid0(VALU_DEP_1) | instskip(NEXT) | instid1(VALU_DEP_1)
	v_fmac_f32_e32 v4, v5, v4
	v_mul_f32_e32 v5, v8, v4
	s_delay_alu instid0(VALU_DEP_1) | instskip(NEXT) | instid1(VALU_DEP_1)
	v_fma_f32 v12, -v3, v5, v8
	v_dual_fmac_f32 v5, v12, v4 :: v_dual_mov_b32 v12, 0
	s_delay_alu instid0(VALU_DEP_1) | instskip(NEXT) | instid1(VALU_DEP_1)
	v_fma_f32 v3, -v3, v5, v8
	v_div_fmas_f32 v3, v3, v4, v5
	s_delay_alu instid0(VALU_DEP_1)
	v_div_fixup_f32 v1, v3, v1, 1.0
	global_store_b32 v[6:7], v1, off offset:4
	s_cbranch_scc1 .LBB5_8
; %bb.5:
	v_sub_f32_e32 v12, v2, v2
	v_mul_lo_u32 v3, v11, s10
	s_load_b128 s[0:3], s[0:1], 0x20
	v_mul_lo_u32 v7, v11, s4
	s_cmp_lt_i32 s5, 1
	v_mul_f32_e32 v1, 0x3fb8aa3b, v12
	s_cselect_b32 s10, -1, 0
	s_cmp_gt_i32 s6, 0
	s_cselect_b32 s6, -1, 0
	s_delay_alu instid0(VALU_DEP_1)
	v_rndne_f32_e32 v5, v1
	v_fma_f32 v4, 0x3fb8aa3b, v12, -v1
	v_ashrrev_i32_e32 v8, 31, v7
	s_and_b32 s6, s10, s6
	s_sub_i32 s5, 0, s5
	v_sub_f32_e32 v6, v1, v5
	v_fmac_f32_e32 v4, 0x32a5705f, v12
	v_ashrrev_i32_e32 v1, 31, v0
	v_lshlrev_b64 v[7:8], 2, v[7:8]
	s_and_b32 s6, s14, s6
	s_cmp_eq_u32 s4, 1
	v_add_f32_e32 v4, v6, v4
	v_lshlrev_b64 v[14:15], 2, v[0:1]
	v_cvt_i32_f32_e32 v1, v5
	v_cndmask_b32_e64 v13, 1, s5, s6
	s_delay_alu instid0(VALU_DEP_4) | instskip(SKIP_1) | instid1(VALU_DEP_1)
	v_exp_f32_e32 v16, v4
	v_ashrrev_i32_e32 v4, 31, v3
	v_lshlrev_b64 v[5:6], 2, v[3:4]
	v_add_co_u32 v3, vcc_lo, s8, v14
	v_add_co_ci_u32_e32 v4, vcc_lo, s9, v15, vcc_lo
	s_waitcnt_depctr 0xfff
	v_ldexp_f32 v1, v16, v1
	v_cmp_ngt_f32_e32 vcc_lo, 0xc2ce8ed0, v12
	s_delay_alu instid0(VALU_DEP_2)
	v_cndmask_b32_e32 v1, 0, v1, vcc_lo
	s_waitcnt lgkmcnt(0)
	v_add_co_u32 v14, vcc_lo, s0, v5
	v_add_co_ci_u32_e32 v15, vcc_lo, s1, v6, vcc_lo
	v_cmp_nlt_f32_e32 vcc_lo, 0x42b17218, v12
	v_cndmask_b32_e32 v12, 0x7f800000, v1, vcc_lo
	v_add_co_u32 v16, vcc_lo, s2, v7
	v_add_co_ci_u32_e32 v17, vcc_lo, s3, v8, vcc_lo
	global_store_b32 v[14:15], v13, off
	global_store_b32 v[3:4], v12, off
	;; [unrolled: 1-line block ×3, first 2 shown]
	s_cbranch_scc1 .LBB5_8
; %bb.6:
	v_sub_f32_e32 v11, 0xff800000, v2
	v_add_co_u32 v7, vcc_lo, v7, s2
	v_add_co_ci_u32_e32 v8, vcc_lo, s3, v8, vcc_lo
	s_delay_alu instid0(VALU_DEP_3) | instskip(SKIP_2) | instid1(VALU_DEP_3)
	v_mul_f32_e32 v1, 0x3fb8aa3b, v11
	v_add_co_u32 v5, vcc_lo, v5, s0
	v_add_co_ci_u32_e32 v6, vcc_lo, s1, v6, vcc_lo
	v_fma_f32 v2, 0x3fb8aa3b, v11, -v1
	v_rndne_f32_e32 v14, v1
	s_add_i32 s13, s13, s12
	s_add_i32 s0, s4, -1
	s_delay_alu instid0(VALU_DEP_1) | instskip(SKIP_1) | instid1(VALU_DEP_2)
	v_dual_fmac_f32 v2, 0x32a5705f, v11 :: v_dual_sub_f32 v1, v1, v14
	v_cvt_i32_f32_e32 v14, v14
	v_add_f32_e32 v1, v1, v2
	s_delay_alu instid0(VALU_DEP_1)
	v_exp_f32_e32 v15, v1
	v_add_co_u32 v1, vcc_lo, v3, 4
	v_add_co_ci_u32_e32 v2, vcc_lo, 0, v4, vcc_lo
	v_add_co_u32 v3, vcc_lo, v7, 4
	v_add_co_ci_u32_e32 v4, vcc_lo, 0, v8, vcc_lo
	v_cmp_ngt_f32_e32 vcc_lo, 0xc2ce8ed0, v11
	s_waitcnt_depctr 0xfff
	v_ldexp_f32 v14, v15, v14
	v_add3_u32 v8, s13, v10, v9
	s_delay_alu instid0(VALU_DEP_2) | instskip(SKIP_3) | instid1(VALU_DEP_4)
	v_cndmask_b32_e32 v7, 0, v14, vcc_lo
	v_add_co_u32 v5, vcc_lo, v5, 4
	v_add_co_ci_u32_e32 v6, vcc_lo, 0, v6, vcc_lo
	v_cmp_nlt_f32_e32 vcc_lo, 0x42b17218, v11
	v_cndmask_b32_e32 v7, 0x7f800000, v7, vcc_lo
	.p2align	6
.LBB5_7:                                ; =>This Inner Loop Header: Depth=1
	global_store_b32 v[1:2], v7, off
	global_store_b32 v[5:6], v13, off
	;; [unrolled: 1-line block ×3, first 2 shown]
	v_add_co_u32 v3, vcc_lo, v3, 4
	v_add_co_ci_u32_e32 v4, vcc_lo, 0, v4, vcc_lo
	v_add_co_u32 v5, vcc_lo, v5, 4
	v_add_co_ci_u32_e32 v6, vcc_lo, 0, v6, vcc_lo
	v_add_co_u32 v1, vcc_lo, v1, 4
	v_add_f32_e32 v12, v12, v7
	v_add_co_ci_u32_e32 v2, vcc_lo, 0, v2, vcc_lo
	v_add_nc_u32_e32 v8, s12, v8
	s_add_i32 s0, s0, -1
	s_delay_alu instid0(SALU_CYCLE_1)
	s_cmp_eq_u32 s0, 0
	s_cbranch_scc0 .LBB5_7
.LBB5_8:
	v_cmp_neq_f32_e32 vcc_lo, 0, v12
	s_and_b32 exec_lo, exec_lo, vcc_lo
	s_cbranch_execz .LBB5_12
; %bb.9:
	s_and_not1_b32 vcc_lo, exec_lo, s7
	s_cbranch_vccnz .LBB5_12
; %bb.10:
	v_div_scale_f32 v1, null, v12, v12, 1.0
	v_div_scale_f32 v4, vcc_lo, 1.0, v12, 1.0
	s_delay_alu instid0(VALU_DEP_2) | instskip(SKIP_2) | instid1(VALU_DEP_1)
	v_rcp_f32_e32 v2, v1
	s_waitcnt_depctr 0xfff
	v_fma_f32 v3, -v1, v2, 1.0
	v_fmac_f32_e32 v2, v3, v2
	s_delay_alu instid0(VALU_DEP_1) | instskip(NEXT) | instid1(VALU_DEP_1)
	v_mul_f32_e32 v3, v4, v2
	v_fma_f32 v5, -v1, v3, v4
	s_delay_alu instid0(VALU_DEP_1) | instskip(NEXT) | instid1(VALU_DEP_1)
	v_fmac_f32_e32 v3, v5, v2
	v_fma_f32 v4, -v1, v3, v4
	v_ashrrev_i32_e32 v1, 31, v0
	s_delay_alu instid0(VALU_DEP_2) | instskip(NEXT) | instid1(VALU_DEP_2)
	v_div_fmas_f32 v2, v4, v2, v3
	v_lshlrev_b64 v[0:1], 2, v[0:1]
	s_delay_alu instid0(VALU_DEP_2) | instskip(NEXT) | instid1(VALU_DEP_2)
	v_div_fixup_f32 v2, v2, v12, 1.0
	v_add_co_u32 v0, vcc_lo, s8, v0
	s_delay_alu instid0(VALU_DEP_3)
	v_add_co_ci_u32_e32 v1, vcc_lo, s9, v1, vcc_lo
.LBB5_11:                               ; =>This Inner Loop Header: Depth=1
	global_load_b32 v3, v[0:1], off
	s_add_i32 s4, s4, -1
	s_delay_alu instid0(SALU_CYCLE_1)
	s_cmp_lg_u32 s4, 0
	s_waitcnt vmcnt(0)
	v_mul_f32_e32 v3, v2, v3
	global_store_b32 v[0:1], v3, off
	v_add_co_u32 v0, vcc_lo, v0, 4
	v_add_co_ci_u32_e32 v1, vcc_lo, 0, v1, vcc_lo
	s_cbranch_scc1 .LBB5_11
.LBB5_12:
	s_nop 0
	s_sendmsg sendmsg(MSG_DEALLOC_VGPRS)
	s_endpgm
	.section	.rodata,"a",@progbits
	.p2align	6, 0x0
	.amdhsa_kernel _ZN4vllm3moe17topkGatingSoftmaxIfLi1ELi1ELi8ELi4ELb1ELi2ELNS0_23SharedExpertScoringFuncE1EEEvPKT_PKbPfiPiS9_iiiiii
		.amdhsa_group_segment_fixed_size 0
		.amdhsa_private_segment_fixed_size 0
		.amdhsa_kernarg_size 72
		.amdhsa_user_sgpr_count 15
		.amdhsa_user_sgpr_dispatch_ptr 0
		.amdhsa_user_sgpr_queue_ptr 0
		.amdhsa_user_sgpr_kernarg_segment_ptr 1
		.amdhsa_user_sgpr_dispatch_id 0
		.amdhsa_user_sgpr_private_segment_size 0
		.amdhsa_wavefront_size32 1
		.amdhsa_uses_dynamic_stack 0
		.amdhsa_enable_private_segment 0
		.amdhsa_system_sgpr_workgroup_id_x 1
		.amdhsa_system_sgpr_workgroup_id_y 0
		.amdhsa_system_sgpr_workgroup_id_z 0
		.amdhsa_system_sgpr_workgroup_info 0
		.amdhsa_system_vgpr_workitem_id 1
		.amdhsa_next_free_vgpr 18
		.amdhsa_next_free_sgpr 16
		.amdhsa_reserve_vcc 1
		.amdhsa_float_round_mode_32 0
		.amdhsa_float_round_mode_16_64 0
		.amdhsa_float_denorm_mode_32 3
		.amdhsa_float_denorm_mode_16_64 3
		.amdhsa_dx10_clamp 1
		.amdhsa_ieee_mode 1
		.amdhsa_fp16_overflow 0
		.amdhsa_workgroup_processor_mode 1
		.amdhsa_memory_ordered 1
		.amdhsa_forward_progress 0
		.amdhsa_shared_vgpr_count 0
		.amdhsa_exception_fp_ieee_invalid_op 0
		.amdhsa_exception_fp_denorm_src 0
		.amdhsa_exception_fp_ieee_div_zero 0
		.amdhsa_exception_fp_ieee_overflow 0
		.amdhsa_exception_fp_ieee_underflow 0
		.amdhsa_exception_fp_ieee_inexact 0
		.amdhsa_exception_int_div_zero 0
	.end_amdhsa_kernel
	.section	.text._ZN4vllm3moe17topkGatingSoftmaxIfLi1ELi1ELi8ELi4ELb1ELi2ELNS0_23SharedExpertScoringFuncE1EEEvPKT_PKbPfiPiS9_iiiiii,"axG",@progbits,_ZN4vllm3moe17topkGatingSoftmaxIfLi1ELi1ELi8ELi4ELb1ELi2ELNS0_23SharedExpertScoringFuncE1EEEvPKT_PKbPfiPiS9_iiiiii,comdat
.Lfunc_end5:
	.size	_ZN4vllm3moe17topkGatingSoftmaxIfLi1ELi1ELi8ELi4ELb1ELi2ELNS0_23SharedExpertScoringFuncE1EEEvPKT_PKbPfiPiS9_iiiiii, .Lfunc_end5-_ZN4vllm3moe17topkGatingSoftmaxIfLi1ELi1ELi8ELi4ELb1ELi2ELNS0_23SharedExpertScoringFuncE1EEEvPKT_PKbPfiPiS9_iiiiii
                                        ; -- End function
	.section	.AMDGPU.csdata,"",@progbits
; Kernel info:
; codeLenInByte = 1488
; NumSgprs: 18
; NumVgprs: 18
; ScratchSize: 0
; MemoryBound: 0
; FloatMode: 240
; IeeeMode: 1
; LDSByteSize: 0 bytes/workgroup (compile time only)
; SGPRBlocks: 2
; VGPRBlocks: 2
; NumSGPRsForWavesPerEU: 18
; NumVGPRsForWavesPerEU: 18
; Occupancy: 16
; WaveLimiterHint : 0
; COMPUTE_PGM_RSRC2:SCRATCH_EN: 0
; COMPUTE_PGM_RSRC2:USER_SGPR: 15
; COMPUTE_PGM_RSRC2:TRAP_HANDLER: 0
; COMPUTE_PGM_RSRC2:TGID_X_EN: 1
; COMPUTE_PGM_RSRC2:TGID_Y_EN: 0
; COMPUTE_PGM_RSRC2:TGID_Z_EN: 0
; COMPUTE_PGM_RSRC2:TIDIG_COMP_CNT: 1
	.section	.text._ZN4vllm3moe17topkGatingSoftmaxIfLi1ELi1ELi8ELi4ELb0ELi2ELNS0_23SharedExpertScoringFuncE1EEEvPKT_PKbPfiPiS9_iiiiii,"axG",@progbits,_ZN4vllm3moe17topkGatingSoftmaxIfLi1ELi1ELi8ELi4ELb0ELi2ELNS0_23SharedExpertScoringFuncE1EEEvPKT_PKbPfiPiS9_iiiiii,comdat
	.protected	_ZN4vllm3moe17topkGatingSoftmaxIfLi1ELi1ELi8ELi4ELb0ELi2ELNS0_23SharedExpertScoringFuncE1EEEvPKT_PKbPfiPiS9_iiiiii ; -- Begin function _ZN4vllm3moe17topkGatingSoftmaxIfLi1ELi1ELi8ELi4ELb0ELi2ELNS0_23SharedExpertScoringFuncE1EEEvPKT_PKbPfiPiS9_iiiiii
	.globl	_ZN4vllm3moe17topkGatingSoftmaxIfLi1ELi1ELi8ELi4ELb0ELi2ELNS0_23SharedExpertScoringFuncE1EEEvPKT_PKbPfiPiS9_iiiiii
	.p2align	8
	.type	_ZN4vllm3moe17topkGatingSoftmaxIfLi1ELi1ELi8ELi4ELb0ELi2ELNS0_23SharedExpertScoringFuncE1EEEvPKT_PKbPfiPiS9_iiiiii,@function
_ZN4vllm3moe17topkGatingSoftmaxIfLi1ELi1ELi8ELi4ELb0ELi2ELNS0_23SharedExpertScoringFuncE1EEEvPKT_PKbPfiPiS9_iiiiii: ; @_ZN4vllm3moe17topkGatingSoftmaxIfLi1ELi1ELi8ELi4ELb0ELi2ELNS0_23SharedExpertScoringFuncE1EEEvPKT_PKbPfiPiS9_iiiiii
; %bb.0:
	s_load_b32 s12, s[0:1], 0x18
	v_bfe_u32 v1, v0, 10, 10
	v_and_b32_e32 v10, 0x3ff, v0
	s_lshl_b32 s13, s15, 8
	s_mov_b32 s2, exec_lo
	s_delay_alu instid0(VALU_DEP_2) | instskip(NEXT) | instid1(VALU_DEP_1)
	v_lshlrev_b32_e32 v9, 5, v1
	v_add3_u32 v11, v9, v10, s13
	s_waitcnt lgkmcnt(0)
	s_delay_alu instid0(VALU_DEP_1)
	v_cmpx_gt_i32_e64 s12, v11
	s_cbranch_execz .LBB6_13
; %bb.1:
	s_clause 0x1
	s_load_b128 s[4:7], s[0:1], 0x0
	s_load_b64 s[8:9], s[0:1], 0x10
	s_waitcnt lgkmcnt(0)
	s_cmp_eq_u64 s[6:7], 0
	s_cbranch_scc1 .LBB6_3
; %bb.2:
	v_ashrrev_i32_e32 v1, 31, v11
	v_add_co_u32 v0, vcc_lo, s6, v11
	s_delay_alu instid0(VALU_DEP_2) | instskip(SKIP_3) | instid1(VALU_DEP_1)
	v_add_co_ci_u32_e32 v1, vcc_lo, s7, v1, vcc_lo
	global_load_u8 v0, v[0:1], off
	s_waitcnt vmcnt(0)
	v_and_b32_e32 v0, 1, v0
	v_cmp_eq_u32_e32 vcc_lo, 1, v0
	s_xor_b32 s2, vcc_lo, -1
	s_delay_alu instid0(SALU_CYCLE_1)
	s_or_not1_b32 s14, s2, exec_lo
	s_branch .LBB6_4
.LBB6_3:
	s_mov_b32 s14, -1
.LBB6_4:
	s_load_b64 s[10:11], s[0:1], 0x40
	s_waitcnt lgkmcnt(0)
	v_mul_lo_u32 v0, v11, s11
	s_delay_alu instid0(VALU_DEP_1) | instskip(NEXT) | instid1(VALU_DEP_1)
	v_ashrrev_i32_e32 v1, 31, v0
	v_lshlrev_b64 v[0:1], 2, v[0:1]
	s_delay_alu instid0(VALU_DEP_1) | instskip(NEXT) | instid1(VALU_DEP_2)
	v_add_co_u32 v4, vcc_lo, s4, v0
	v_add_co_ci_u32_e32 v5, vcc_lo, s5, v1, vcc_lo
	s_load_b128 s[4:7], s[0:1], 0x30
	global_load_b64 v[2:3], v[4:5], off
	s_waitcnt lgkmcnt(0)
	s_cmp_gt_i32 s4, 0
	s_waitcnt vmcnt(0)
	v_mul_f32_e32 v0, 0xbfb8aa3b, v3
	v_cmp_nlt_f32_e32 vcc_lo, 0x42ce8ed0, v3
	s_delay_alu instid0(VALU_DEP_2) | instskip(SKIP_1) | instid1(VALU_DEP_1)
	v_fma_f32 v1, 0xbfb8aa3b, v3, -v0
	v_rndne_f32_e32 v6, v0
	v_dual_fmac_f32 v1, 0xb2a5705f, v3 :: v_dual_sub_f32 v0, v0, v6
	s_delay_alu instid0(VALU_DEP_1) | instskip(SKIP_1) | instid1(VALU_DEP_2)
	v_add_f32_e32 v0, v0, v1
	v_cvt_i32_f32_e32 v1, v6
	v_exp_f32_e32 v0, v0
	s_waitcnt_depctr 0xfff
	v_ldexp_f32 v0, v0, v1
	s_delay_alu instid0(VALU_DEP_1) | instskip(SKIP_1) | instid1(VALU_DEP_2)
	v_cndmask_b32_e32 v0, 0, v0, vcc_lo
	v_cmp_ngt_f32_e32 vcc_lo, 0xc2b17218, v3
	v_cndmask_b32_e32 v0, 0x7f800000, v0, vcc_lo
	s_delay_alu instid0(VALU_DEP_1) | instskip(NEXT) | instid1(VALU_DEP_1)
	v_add_f32_e32 v1, 1.0, v0
	v_div_scale_f32 v3, null, v1, v1, 1.0
	v_div_scale_f32 v12, vcc_lo, 1.0, v1, 1.0
	s_delay_alu instid0(VALU_DEP_2) | instskip(SKIP_2) | instid1(VALU_DEP_1)
	v_rcp_f32_e32 v8, v3
	s_waitcnt_depctr 0xfff
	v_fma_f32 v0, -v3, v8, 1.0
	v_fmac_f32_e32 v8, v0, v8
	v_mul_lo_u32 v0, v11, s7
	s_cselect_b32 s7, -1, 0
	s_cmp_lt_i32 s4, 1
	s_delay_alu instid0(VALU_DEP_2) | instskip(NEXT) | instid1(VALU_DEP_2)
	v_mul_f32_e32 v13, v12, v8
	v_add_nc_u32_e32 v6, s4, v0
	s_delay_alu instid0(VALU_DEP_2) | instskip(NEXT) | instid1(VALU_DEP_1)
	v_fma_f32 v7, -v3, v13, v12
	v_fmac_f32_e32 v13, v7, v8
	s_delay_alu instid0(VALU_DEP_3) | instskip(NEXT) | instid1(VALU_DEP_2)
	v_ashrrev_i32_e32 v7, 31, v6
	v_fma_f32 v3, -v3, v13, v12
	s_delay_alu instid0(VALU_DEP_2) | instskip(NEXT) | instid1(VALU_DEP_2)
	v_lshlrev_b64 v[6:7], 2, v[6:7]
	v_div_fmas_f32 v3, v3, v8, v13
	s_delay_alu instid0(VALU_DEP_2) | instskip(NEXT) | instid1(VALU_DEP_3)
	v_add_co_u32 v6, vcc_lo, s8, v6
	v_add_co_ci_u32_e32 v7, vcc_lo, s9, v7, vcc_lo
	s_delay_alu instid0(VALU_DEP_3)
	v_div_fixup_f32 v1, v3, v1, 1.0
	global_store_b32 v[6:7], v1, off
	global_load_b32 v1, v[4:5], off offset:8
	s_waitcnt vmcnt(0)
	v_mul_f32_e32 v3, 0xbfb8aa3b, v1
	v_cmp_nlt_f32_e32 vcc_lo, 0x42ce8ed0, v1
	s_delay_alu instid0(VALU_DEP_2) | instskip(SKIP_1) | instid1(VALU_DEP_2)
	v_fma_f32 v4, 0xbfb8aa3b, v1, -v3
	v_rndne_f32_e32 v5, v3
	v_fmac_f32_e32 v4, 0xb2a5705f, v1
	s_delay_alu instid0(VALU_DEP_2) | instskip(NEXT) | instid1(VALU_DEP_1)
	v_sub_f32_e32 v3, v3, v5
	v_add_f32_e32 v3, v3, v4
	v_cvt_i32_f32_e32 v4, v5
	s_delay_alu instid0(VALU_DEP_2) | instskip(SKIP_2) | instid1(VALU_DEP_1)
	v_exp_f32_e32 v3, v3
	s_waitcnt_depctr 0xfff
	v_ldexp_f32 v3, v3, v4
	v_cndmask_b32_e32 v3, 0, v3, vcc_lo
	v_cmp_ngt_f32_e32 vcc_lo, 0xc2b17218, v1
	s_delay_alu instid0(VALU_DEP_2) | instskip(NEXT) | instid1(VALU_DEP_1)
	v_cndmask_b32_e32 v1, 0x7f800000, v3, vcc_lo
	v_add_f32_e32 v1, 1.0, v1
	s_delay_alu instid0(VALU_DEP_1) | instskip(SKIP_1) | instid1(VALU_DEP_2)
	v_div_scale_f32 v3, null, v1, v1, 1.0
	v_div_scale_f32 v8, vcc_lo, 1.0, v1, 1.0
	v_rcp_f32_e32 v4, v3
	s_waitcnt_depctr 0xfff
	v_fma_f32 v5, -v3, v4, 1.0
	s_delay_alu instid0(VALU_DEP_1) | instskip(NEXT) | instid1(VALU_DEP_1)
	v_fmac_f32_e32 v4, v5, v4
	v_mul_f32_e32 v5, v8, v4
	s_delay_alu instid0(VALU_DEP_1) | instskip(NEXT) | instid1(VALU_DEP_1)
	v_fma_f32 v12, -v3, v5, v8
	v_fmac_f32_e32 v5, v12, v4
	s_delay_alu instid0(VALU_DEP_1) | instskip(NEXT) | instid1(VALU_DEP_1)
	v_fma_f32 v3, -v3, v5, v8
	v_div_fmas_f32 v3, v3, v4, v5
	s_delay_alu instid0(VALU_DEP_1)
	v_div_fixup_f32 v4, v3, v1, 1.0
	v_mov_b32_e32 v1, 0
	v_mov_b32_e32 v3, v2
	global_store_b32 v[6:7], v4, off offset:4
	s_cbranch_scc1 .LBB6_9
; %bb.5:
	v_sub_f32_e32 v15, v2, v2
	v_mul_lo_u32 v3, v11, s10
	s_load_b128 s[0:3], s[0:1], 0x20
	v_mul_lo_u32 v7, v11, s4
	s_cmp_lt_i32 s5, 1
	v_mul_f32_e32 v1, 0x3fb8aa3b, v15
	s_cselect_b32 s10, -1, 0
	s_cmp_gt_i32 s6, 0
	s_cselect_b32 s6, -1, 0
	s_delay_alu instid0(VALU_DEP_1) | instskip(NEXT) | instid1(VALU_DEP_3)
	v_rndne_f32_e32 v5, v1
	v_ashrrev_i32_e32 v8, 31, v7
	s_and_b32 s6, s10, s6
	s_sub_i32 s5, 0, s5
	s_and_b32 s6, s14, s6
	v_sub_f32_e32 v6, v1, v5
	v_fma_f32 v4, 0x3fb8aa3b, v15, -v1
	v_ashrrev_i32_e32 v1, 31, v0
	v_lshlrev_b64 v[7:8], 2, v[7:8]
	v_cndmask_b32_e64 v12, 1, s5, s6
	s_cmp_eq_u32 s4, 1
	v_fmac_f32_e32 v4, 0x32a5705f, v15
	v_lshlrev_b64 v[13:14], 2, v[0:1]
	v_cvt_i32_f32_e32 v1, v5
	s_delay_alu instid0(VALU_DEP_3) | instskip(NEXT) | instid1(VALU_DEP_1)
	v_add_f32_e32 v4, v6, v4
	v_exp_f32_e32 v16, v4
	v_ashrrev_i32_e32 v4, 31, v3
	s_delay_alu instid0(VALU_DEP_1)
	v_lshlrev_b64 v[5:6], 2, v[3:4]
	v_add_co_u32 v3, vcc_lo, s8, v13
	v_add_co_ci_u32_e32 v4, vcc_lo, s9, v14, vcc_lo
	s_waitcnt_depctr 0xfff
	v_ldexp_f32 v1, v16, v1
	v_cmp_ngt_f32_e32 vcc_lo, 0xc2ce8ed0, v15
	s_delay_alu instid0(VALU_DEP_2)
	v_cndmask_b32_e32 v1, 0, v1, vcc_lo
	s_waitcnt lgkmcnt(0)
	v_add_co_u32 v13, vcc_lo, s0, v5
	v_add_co_ci_u32_e32 v14, vcc_lo, s1, v6, vcc_lo
	v_cmp_nlt_f32_e32 vcc_lo, 0x42b17218, v15
	v_cndmask_b32_e32 v1, 0x7f800000, v1, vcc_lo
	v_add_co_u32 v15, vcc_lo, s2, v7
	v_add_co_ci_u32_e32 v16, vcc_lo, s3, v8, vcc_lo
	global_store_b32 v[13:14], v12, off
	global_store_b32 v[3:4], v1, off
	;; [unrolled: 1-line block ×3, first 2 shown]
	s_cbranch_scc1 .LBB6_8
; %bb.6:
	v_sub_f32_e32 v11, 0xff800000, v2
	v_add_co_u32 v7, vcc_lo, v7, s2
	v_add_co_ci_u32_e32 v8, vcc_lo, s3, v8, vcc_lo
	s_delay_alu instid0(VALU_DEP_3) | instskip(SKIP_1) | instid1(SALU_CYCLE_1)
	v_mul_f32_e32 v13, 0x3fb8aa3b, v11
	s_add_i32 s13, s13, s12
	v_add3_u32 v9, s13, v10, v9
	s_delay_alu instid0(VALU_DEP_2) | instskip(SKIP_1) | instid1(VALU_DEP_2)
	v_fma_f32 v14, 0x3fb8aa3b, v11, -v13
	v_rndne_f32_e32 v15, v13
	v_fmac_f32_e32 v14, 0x32a5705f, v11
	s_delay_alu instid0(VALU_DEP_2) | instskip(NEXT) | instid1(VALU_DEP_1)
	v_sub_f32_e32 v13, v13, v15
	v_add_f32_e32 v13, v13, v14
	v_add_co_u32 v14, vcc_lo, v5, s0
	v_cvt_i32_f32_e32 v5, v15
	v_add_co_ci_u32_e32 v16, vcc_lo, s1, v6, vcc_lo
	s_delay_alu instid0(VALU_DEP_4)
	v_exp_f32_e32 v13, v13
	v_add_co_u32 v3, vcc_lo, v3, 4
	v_add_co_ci_u32_e32 v4, vcc_lo, 0, v4, vcc_lo
	s_add_i32 s0, s4, -1
	s_waitcnt_depctr 0xfff
	v_ldexp_f32 v13, v13, v5
	v_add_co_u32 v5, vcc_lo, v7, 4
	v_add_co_ci_u32_e32 v6, vcc_lo, 0, v8, vcc_lo
	v_cmp_ngt_f32_e32 vcc_lo, 0xc2ce8ed0, v11
	s_delay_alu instid0(VALU_DEP_4) | instskip(SKIP_3) | instid1(VALU_DEP_4)
	v_cndmask_b32_e32 v13, 0, v13, vcc_lo
	v_add_co_u32 v7, vcc_lo, v14, 4
	v_add_co_ci_u32_e32 v8, vcc_lo, 0, v16, vcc_lo
	v_cmp_nlt_f32_e32 vcc_lo, 0x42b17218, v11
	v_cndmask_b32_e32 v11, 0x7f800000, v13, vcc_lo
	.p2align	6
.LBB6_7:                                ; =>This Inner Loop Header: Depth=1
	global_store_b32 v[3:4], v11, off
	global_store_b32 v[7:8], v12, off
	;; [unrolled: 1-line block ×3, first 2 shown]
	v_add_co_u32 v5, vcc_lo, v5, 4
	v_add_co_ci_u32_e32 v6, vcc_lo, 0, v6, vcc_lo
	v_add_co_u32 v7, vcc_lo, v7, 4
	v_add_co_ci_u32_e32 v8, vcc_lo, 0, v8, vcc_lo
	v_add_co_u32 v3, vcc_lo, v3, 4
	v_add_f32_e32 v1, v1, v11
	v_add_co_ci_u32_e32 v4, vcc_lo, 0, v4, vcc_lo
	v_add_nc_u32_e32 v9, s12, v9
	s_add_i32 s0, s0, -1
	s_delay_alu instid0(SALU_CYCLE_1)
	s_cmp_eq_u32 s0, 0
	s_cbranch_scc0 .LBB6_7
.LBB6_8:
	v_mov_b32_e32 v3, 0xff800000
.LBB6_9:
	s_delay_alu instid0(VALU_DEP_1) | instskip(NEXT) | instid1(VALU_DEP_1)
	v_sub_f32_e32 v2, v3, v2
	v_mul_f32_e32 v3, 0x3fb8aa3b, v2
	v_cmp_ngt_f32_e32 vcc_lo, 0xc2ce8ed0, v2
	s_delay_alu instid0(VALU_DEP_2) | instskip(SKIP_1) | instid1(VALU_DEP_1)
	v_fma_f32 v4, 0x3fb8aa3b, v2, -v3
	v_rndne_f32_e32 v5, v3
	v_dual_fmamk_f32 v4, v2, 0x32a5705f, v4 :: v_dual_sub_f32 v3, v3, v5
	s_delay_alu instid0(VALU_DEP_1) | instskip(SKIP_1) | instid1(VALU_DEP_2)
	v_add_f32_e32 v3, v3, v4
	v_cvt_i32_f32_e32 v4, v5
	v_exp_f32_e32 v3, v3
	s_waitcnt_depctr 0xfff
	v_ldexp_f32 v3, v3, v4
	s_delay_alu instid0(VALU_DEP_1) | instskip(SKIP_1) | instid1(VALU_DEP_2)
	v_cndmask_b32_e32 v3, 0, v3, vcc_lo
	v_cmp_nlt_f32_e32 vcc_lo, 0x42b17218, v2
	v_cndmask_b32_e32 v2, 0x7f800000, v3, vcc_lo
	s_delay_alu instid0(VALU_DEP_1) | instskip(NEXT) | instid1(VALU_DEP_1)
	v_add_f32_e32 v2, v1, v2
	v_cmp_neq_f32_e32 vcc_lo, 0, v2
	s_and_b32 exec_lo, exec_lo, vcc_lo
	s_cbranch_execz .LBB6_13
; %bb.10:
	s_and_not1_b32 vcc_lo, exec_lo, s7
	s_cbranch_vccnz .LBB6_13
; %bb.11:
	v_div_scale_f32 v1, null, v2, v2, 1.0
	v_div_scale_f32 v5, vcc_lo, 1.0, v2, 1.0
	s_delay_alu instid0(VALU_DEP_2) | instskip(SKIP_2) | instid1(VALU_DEP_1)
	v_rcp_f32_e32 v3, v1
	s_waitcnt_depctr 0xfff
	v_fma_f32 v4, -v1, v3, 1.0
	v_fmac_f32_e32 v3, v4, v3
	s_delay_alu instid0(VALU_DEP_1) | instskip(NEXT) | instid1(VALU_DEP_1)
	v_mul_f32_e32 v4, v5, v3
	v_fma_f32 v6, -v1, v4, v5
	s_delay_alu instid0(VALU_DEP_1) | instskip(NEXT) | instid1(VALU_DEP_1)
	v_fmac_f32_e32 v4, v6, v3
	v_fma_f32 v5, -v1, v4, v5
	v_ashrrev_i32_e32 v1, 31, v0
	s_delay_alu instid0(VALU_DEP_2) | instskip(NEXT) | instid1(VALU_DEP_2)
	v_div_fmas_f32 v3, v5, v3, v4
	v_lshlrev_b64 v[0:1], 2, v[0:1]
	s_delay_alu instid0(VALU_DEP_2) | instskip(NEXT) | instid1(VALU_DEP_2)
	v_div_fixup_f32 v2, v3, v2, 1.0
	v_add_co_u32 v0, vcc_lo, s8, v0
	s_delay_alu instid0(VALU_DEP_3)
	v_add_co_ci_u32_e32 v1, vcc_lo, s9, v1, vcc_lo
.LBB6_12:                               ; =>This Inner Loop Header: Depth=1
	global_load_b32 v3, v[0:1], off
	s_add_i32 s4, s4, -1
	s_delay_alu instid0(SALU_CYCLE_1)
	s_cmp_lg_u32 s4, 0
	s_waitcnt vmcnt(0)
	v_mul_f32_e32 v3, v2, v3
	global_store_b32 v[0:1], v3, off
	v_add_co_u32 v0, vcc_lo, v0, 4
	v_add_co_ci_u32_e32 v1, vcc_lo, 0, v1, vcc_lo
	s_cbranch_scc1 .LBB6_12
.LBB6_13:
	s_nop 0
	s_sendmsg sendmsg(MSG_DEALLOC_VGPRS)
	s_endpgm
	.section	.rodata,"a",@progbits
	.p2align	6, 0x0
	.amdhsa_kernel _ZN4vllm3moe17topkGatingSoftmaxIfLi1ELi1ELi8ELi4ELb0ELi2ELNS0_23SharedExpertScoringFuncE1EEEvPKT_PKbPfiPiS9_iiiiii
		.amdhsa_group_segment_fixed_size 0
		.amdhsa_private_segment_fixed_size 0
		.amdhsa_kernarg_size 72
		.amdhsa_user_sgpr_count 15
		.amdhsa_user_sgpr_dispatch_ptr 0
		.amdhsa_user_sgpr_queue_ptr 0
		.amdhsa_user_sgpr_kernarg_segment_ptr 1
		.amdhsa_user_sgpr_dispatch_id 0
		.amdhsa_user_sgpr_private_segment_size 0
		.amdhsa_wavefront_size32 1
		.amdhsa_uses_dynamic_stack 0
		.amdhsa_enable_private_segment 0
		.amdhsa_system_sgpr_workgroup_id_x 1
		.amdhsa_system_sgpr_workgroup_id_y 0
		.amdhsa_system_sgpr_workgroup_id_z 0
		.amdhsa_system_sgpr_workgroup_info 0
		.amdhsa_system_vgpr_workitem_id 1
		.amdhsa_next_free_vgpr 17
		.amdhsa_next_free_sgpr 16
		.amdhsa_reserve_vcc 1
		.amdhsa_float_round_mode_32 0
		.amdhsa_float_round_mode_16_64 0
		.amdhsa_float_denorm_mode_32 3
		.amdhsa_float_denorm_mode_16_64 3
		.amdhsa_dx10_clamp 1
		.amdhsa_ieee_mode 1
		.amdhsa_fp16_overflow 0
		.amdhsa_workgroup_processor_mode 1
		.amdhsa_memory_ordered 1
		.amdhsa_forward_progress 0
		.amdhsa_shared_vgpr_count 0
		.amdhsa_exception_fp_ieee_invalid_op 0
		.amdhsa_exception_fp_denorm_src 0
		.amdhsa_exception_fp_ieee_div_zero 0
		.amdhsa_exception_fp_ieee_overflow 0
		.amdhsa_exception_fp_ieee_underflow 0
		.amdhsa_exception_fp_ieee_inexact 0
		.amdhsa_exception_int_div_zero 0
	.end_amdhsa_kernel
	.section	.text._ZN4vllm3moe17topkGatingSoftmaxIfLi1ELi1ELi8ELi4ELb0ELi2ELNS0_23SharedExpertScoringFuncE1EEEvPKT_PKbPfiPiS9_iiiiii,"axG",@progbits,_ZN4vllm3moe17topkGatingSoftmaxIfLi1ELi1ELi8ELi4ELb0ELi2ELNS0_23SharedExpertScoringFuncE1EEEvPKT_PKbPfiPiS9_iiiiii,comdat
.Lfunc_end6:
	.size	_ZN4vllm3moe17topkGatingSoftmaxIfLi1ELi1ELi8ELi4ELb0ELi2ELNS0_23SharedExpertScoringFuncE1EEEvPKT_PKbPfiPiS9_iiiiii, .Lfunc_end6-_ZN4vllm3moe17topkGatingSoftmaxIfLi1ELi1ELi8ELi4ELb0ELi2ELNS0_23SharedExpertScoringFuncE1EEEvPKT_PKbPfiPiS9_iiiiii
                                        ; -- End function
	.section	.AMDGPU.csdata,"",@progbits
; Kernel info:
; codeLenInByte = 1624
; NumSgprs: 18
; NumVgprs: 17
; ScratchSize: 0
; MemoryBound: 0
; FloatMode: 240
; IeeeMode: 1
; LDSByteSize: 0 bytes/workgroup (compile time only)
; SGPRBlocks: 2
; VGPRBlocks: 2
; NumSGPRsForWavesPerEU: 18
; NumVGPRsForWavesPerEU: 17
; Occupancy: 16
; WaveLimiterHint : 0
; COMPUTE_PGM_RSRC2:SCRATCH_EN: 0
; COMPUTE_PGM_RSRC2:USER_SGPR: 15
; COMPUTE_PGM_RSRC2:TRAP_HANDLER: 0
; COMPUTE_PGM_RSRC2:TGID_X_EN: 1
; COMPUTE_PGM_RSRC2:TGID_Y_EN: 0
; COMPUTE_PGM_RSRC2:TGID_Z_EN: 0
; COMPUTE_PGM_RSRC2:TIDIG_COMP_CNT: 1
	.section	.text._ZN4vllm3moe17topkGatingSoftmaxIfLi1ELi1ELi8ELi4ELb1ELi4ELNS0_23SharedExpertScoringFuncE1EEEvPKT_PKbPfiPiS9_iiiiii,"axG",@progbits,_ZN4vllm3moe17topkGatingSoftmaxIfLi1ELi1ELi8ELi4ELb1ELi4ELNS0_23SharedExpertScoringFuncE1EEEvPKT_PKbPfiPiS9_iiiiii,comdat
	.protected	_ZN4vllm3moe17topkGatingSoftmaxIfLi1ELi1ELi8ELi4ELb1ELi4ELNS0_23SharedExpertScoringFuncE1EEEvPKT_PKbPfiPiS9_iiiiii ; -- Begin function _ZN4vllm3moe17topkGatingSoftmaxIfLi1ELi1ELi8ELi4ELb1ELi4ELNS0_23SharedExpertScoringFuncE1EEEvPKT_PKbPfiPiS9_iiiiii
	.globl	_ZN4vllm3moe17topkGatingSoftmaxIfLi1ELi1ELi8ELi4ELb1ELi4ELNS0_23SharedExpertScoringFuncE1EEEvPKT_PKbPfiPiS9_iiiiii
	.p2align	8
	.type	_ZN4vllm3moe17topkGatingSoftmaxIfLi1ELi1ELi8ELi4ELb1ELi4ELNS0_23SharedExpertScoringFuncE1EEEvPKT_PKbPfiPiS9_iiiiii,@function
_ZN4vllm3moe17topkGatingSoftmaxIfLi1ELi1ELi8ELi4ELb1ELi4ELNS0_23SharedExpertScoringFuncE1EEEvPKT_PKbPfiPiS9_iiiiii: ; @_ZN4vllm3moe17topkGatingSoftmaxIfLi1ELi1ELi8ELi4ELb1ELi4ELNS0_23SharedExpertScoringFuncE1EEEvPKT_PKbPfiPiS9_iiiiii
; %bb.0:
	s_load_b32 s12, s[0:1], 0x18
	v_bfe_u32 v1, v0, 10, 10
	v_and_b32_e32 v10, 0x3ff, v0
	s_lshl_b32 s13, s15, 8
	s_mov_b32 s2, exec_lo
	s_delay_alu instid0(VALU_DEP_2) | instskip(NEXT) | instid1(VALU_DEP_1)
	v_lshlrev_b32_e32 v9, 5, v1
	v_add3_u32 v11, v9, v10, s13
	s_waitcnt lgkmcnt(0)
	s_delay_alu instid0(VALU_DEP_1)
	v_cmpx_gt_i32_e64 s12, v11
	s_cbranch_execz .LBB7_12
; %bb.1:
	s_clause 0x1
	s_load_b128 s[4:7], s[0:1], 0x0
	s_load_b64 s[8:9], s[0:1], 0x10
	s_waitcnt lgkmcnt(0)
	s_cmp_eq_u64 s[6:7], 0
	s_cbranch_scc1 .LBB7_3
; %bb.2:
	v_ashrrev_i32_e32 v1, 31, v11
	v_add_co_u32 v0, vcc_lo, s6, v11
	s_delay_alu instid0(VALU_DEP_2) | instskip(SKIP_3) | instid1(VALU_DEP_1)
	v_add_co_ci_u32_e32 v1, vcc_lo, s7, v1, vcc_lo
	global_load_u8 v0, v[0:1], off
	s_waitcnt vmcnt(0)
	v_and_b32_e32 v0, 1, v0
	v_cmp_eq_u32_e32 vcc_lo, 1, v0
	s_xor_b32 s2, vcc_lo, -1
	s_delay_alu instid0(SALU_CYCLE_1)
	s_or_not1_b32 s14, s2, exec_lo
	s_branch .LBB7_4
.LBB7_3:
	s_mov_b32 s14, -1
.LBB7_4:
	s_load_b64 s[10:11], s[0:1], 0x40
	s_waitcnt lgkmcnt(0)
	v_mul_lo_u32 v0, v11, s11
	s_delay_alu instid0(VALU_DEP_1) | instskip(NEXT) | instid1(VALU_DEP_1)
	v_ashrrev_i32_e32 v1, 31, v0
	v_lshlrev_b64 v[0:1], 2, v[0:1]
	s_delay_alu instid0(VALU_DEP_1) | instskip(NEXT) | instid1(VALU_DEP_2)
	v_add_co_u32 v4, vcc_lo, s4, v0
	v_add_co_ci_u32_e32 v5, vcc_lo, s5, v1, vcc_lo
	s_load_b128 s[4:7], s[0:1], 0x30
	global_load_b64 v[2:3], v[4:5], off
	s_waitcnt lgkmcnt(0)
	s_cmp_gt_i32 s4, 0
	s_waitcnt vmcnt(0)
	v_mul_f32_e32 v0, 0xbfb8aa3b, v3
	v_cmp_nlt_f32_e32 vcc_lo, 0x42ce8ed0, v3
	s_delay_alu instid0(VALU_DEP_2) | instskip(SKIP_1) | instid1(VALU_DEP_1)
	v_fma_f32 v1, 0xbfb8aa3b, v3, -v0
	v_rndne_f32_e32 v6, v0
	v_dual_fmac_f32 v1, 0xb2a5705f, v3 :: v_dual_sub_f32 v0, v0, v6
	s_delay_alu instid0(VALU_DEP_1) | instskip(SKIP_1) | instid1(VALU_DEP_2)
	v_add_f32_e32 v0, v0, v1
	v_cvt_i32_f32_e32 v1, v6
	v_exp_f32_e32 v0, v0
	s_waitcnt_depctr 0xfff
	v_ldexp_f32 v0, v0, v1
	s_delay_alu instid0(VALU_DEP_1) | instskip(SKIP_1) | instid1(VALU_DEP_2)
	v_cndmask_b32_e32 v0, 0, v0, vcc_lo
	v_cmp_ngt_f32_e32 vcc_lo, 0xc2b17218, v3
	v_cndmask_b32_e32 v0, 0x7f800000, v0, vcc_lo
	s_delay_alu instid0(VALU_DEP_1) | instskip(NEXT) | instid1(VALU_DEP_1)
	v_add_f32_e32 v1, 1.0, v0
	v_div_scale_f32 v3, null, v1, v1, 1.0
	v_div_scale_f32 v12, vcc_lo, 1.0, v1, 1.0
	s_delay_alu instid0(VALU_DEP_2) | instskip(SKIP_2) | instid1(VALU_DEP_1)
	v_rcp_f32_e32 v8, v3
	s_waitcnt_depctr 0xfff
	v_fma_f32 v0, -v3, v8, 1.0
	v_fmac_f32_e32 v8, v0, v8
	v_mul_lo_u32 v0, v11, s7
	s_cselect_b32 s7, -1, 0
	s_cmp_lt_i32 s4, 1
	s_delay_alu instid0(VALU_DEP_2) | instskip(NEXT) | instid1(VALU_DEP_2)
	v_mul_f32_e32 v13, v12, v8
	v_add_nc_u32_e32 v6, s4, v0
	s_delay_alu instid0(VALU_DEP_2) | instskip(NEXT) | instid1(VALU_DEP_1)
	v_fma_f32 v7, -v3, v13, v12
	v_fmac_f32_e32 v13, v7, v8
	s_delay_alu instid0(VALU_DEP_3) | instskip(NEXT) | instid1(VALU_DEP_2)
	v_ashrrev_i32_e32 v7, 31, v6
	v_fma_f32 v3, -v3, v13, v12
	s_delay_alu instid0(VALU_DEP_2) | instskip(NEXT) | instid1(VALU_DEP_2)
	v_lshlrev_b64 v[6:7], 2, v[6:7]
	v_div_fmas_f32 v3, v3, v8, v13
	s_delay_alu instid0(VALU_DEP_2) | instskip(NEXT) | instid1(VALU_DEP_3)
	v_add_co_u32 v6, vcc_lo, s8, v6
	v_add_co_ci_u32_e32 v7, vcc_lo, s9, v7, vcc_lo
	s_delay_alu instid0(VALU_DEP_3)
	v_div_fixup_f32 v1, v3, v1, 1.0
	global_store_b32 v[6:7], v1, off
	global_load_b32 v1, v[4:5], off offset:8
	s_waitcnt vmcnt(0)
	v_mul_f32_e32 v3, 0xbfb8aa3b, v1
	v_cmp_nlt_f32_e32 vcc_lo, 0x42ce8ed0, v1
	s_delay_alu instid0(VALU_DEP_2) | instskip(SKIP_1) | instid1(VALU_DEP_1)
	v_fma_f32 v8, 0xbfb8aa3b, v1, -v3
	v_rndne_f32_e32 v12, v3
	v_dual_fmac_f32 v8, 0xb2a5705f, v1 :: v_dual_sub_f32 v3, v3, v12
	s_delay_alu instid0(VALU_DEP_1) | instskip(SKIP_1) | instid1(VALU_DEP_2)
	v_add_f32_e32 v3, v3, v8
	v_cvt_i32_f32_e32 v8, v12
	v_exp_f32_e32 v3, v3
	s_waitcnt_depctr 0xfff
	v_ldexp_f32 v3, v3, v8
	s_delay_alu instid0(VALU_DEP_1) | instskip(SKIP_1) | instid1(VALU_DEP_2)
	v_cndmask_b32_e32 v3, 0, v3, vcc_lo
	v_cmp_ngt_f32_e32 vcc_lo, 0xc2b17218, v1
	v_cndmask_b32_e32 v1, 0x7f800000, v3, vcc_lo
	s_delay_alu instid0(VALU_DEP_1) | instskip(NEXT) | instid1(VALU_DEP_1)
	v_add_f32_e32 v1, 1.0, v1
	v_div_scale_f32 v3, null, v1, v1, 1.0
	v_div_scale_f32 v13, vcc_lo, 1.0, v1, 1.0
	s_delay_alu instid0(VALU_DEP_2) | instskip(SKIP_2) | instid1(VALU_DEP_1)
	v_rcp_f32_e32 v8, v3
	s_waitcnt_depctr 0xfff
	v_fma_f32 v12, -v3, v8, 1.0
	v_fmac_f32_e32 v8, v12, v8
	s_delay_alu instid0(VALU_DEP_1) | instskip(NEXT) | instid1(VALU_DEP_1)
	v_mul_f32_e32 v12, v13, v8
	v_fma_f32 v14, -v3, v12, v13
	s_delay_alu instid0(VALU_DEP_1) | instskip(NEXT) | instid1(VALU_DEP_1)
	v_fmac_f32_e32 v12, v14, v8
	v_fma_f32 v3, -v3, v12, v13
	s_delay_alu instid0(VALU_DEP_1) | instskip(NEXT) | instid1(VALU_DEP_1)
	v_div_fmas_f32 v3, v3, v8, v12
	v_div_fixup_f32 v1, v3, v1, 1.0
	global_store_b32 v[6:7], v1, off offset:4
	global_load_b32 v1, v[4:5], off offset:12
	s_waitcnt vmcnt(0)
	v_mul_f32_e32 v3, 0xbfb8aa3b, v1
	v_cmp_nlt_f32_e32 vcc_lo, 0x42ce8ed0, v1
	s_delay_alu instid0(VALU_DEP_2) | instskip(SKIP_1) | instid1(VALU_DEP_1)
	v_fma_f32 v8, 0xbfb8aa3b, v1, -v3
	v_rndne_f32_e32 v12, v3
	v_dual_fmac_f32 v8, 0xb2a5705f, v1 :: v_dual_sub_f32 v3, v3, v12
	s_delay_alu instid0(VALU_DEP_1) | instskip(SKIP_1) | instid1(VALU_DEP_2)
	v_add_f32_e32 v3, v3, v8
	v_cvt_i32_f32_e32 v8, v12
	v_exp_f32_e32 v3, v3
	s_waitcnt_depctr 0xfff
	v_ldexp_f32 v3, v3, v8
	s_delay_alu instid0(VALU_DEP_1) | instskip(SKIP_1) | instid1(VALU_DEP_2)
	v_cndmask_b32_e32 v3, 0, v3, vcc_lo
	v_cmp_ngt_f32_e32 vcc_lo, 0xc2b17218, v1
	v_cndmask_b32_e32 v1, 0x7f800000, v3, vcc_lo
	s_delay_alu instid0(VALU_DEP_1) | instskip(NEXT) | instid1(VALU_DEP_1)
	v_add_f32_e32 v1, 1.0, v1
	v_div_scale_f32 v3, null, v1, v1, 1.0
	s_delay_alu instid0(VALU_DEP_1) | instskip(SKIP_2) | instid1(VALU_DEP_1)
	v_rcp_f32_e32 v8, v3
	s_waitcnt_depctr 0xfff
	v_fma_f32 v12, -v3, v8, 1.0
	v_fmac_f32_e32 v8, v12, v8
	v_div_scale_f32 v13, vcc_lo, 1.0, v1, 1.0
	s_delay_alu instid0(VALU_DEP_1) | instskip(NEXT) | instid1(VALU_DEP_1)
	v_mul_f32_e32 v12, v13, v8
	v_fma_f32 v14, -v3, v12, v13
	s_delay_alu instid0(VALU_DEP_1) | instskip(NEXT) | instid1(VALU_DEP_1)
	v_fmac_f32_e32 v12, v14, v8
	v_fma_f32 v3, -v3, v12, v13
	s_delay_alu instid0(VALU_DEP_1) | instskip(NEXT) | instid1(VALU_DEP_1)
	v_div_fmas_f32 v3, v3, v8, v12
	v_div_fixup_f32 v1, v3, v1, 1.0
	global_store_b32 v[6:7], v1, off offset:8
	global_load_b32 v1, v[4:5], off offset:16
	s_waitcnt vmcnt(0)
	v_mul_f32_e32 v3, 0xbfb8aa3b, v1
	v_cmp_nlt_f32_e32 vcc_lo, 0x42ce8ed0, v1
	s_delay_alu instid0(VALU_DEP_2) | instskip(SKIP_1) | instid1(VALU_DEP_2)
	v_fma_f32 v4, 0xbfb8aa3b, v1, -v3
	v_rndne_f32_e32 v5, v3
	v_fmac_f32_e32 v4, 0xb2a5705f, v1
	s_delay_alu instid0(VALU_DEP_2) | instskip(NEXT) | instid1(VALU_DEP_1)
	v_sub_f32_e32 v3, v3, v5
	v_add_f32_e32 v3, v3, v4
	v_cvt_i32_f32_e32 v4, v5
	s_delay_alu instid0(VALU_DEP_2) | instskip(SKIP_2) | instid1(VALU_DEP_1)
	v_exp_f32_e32 v3, v3
	s_waitcnt_depctr 0xfff
	v_ldexp_f32 v3, v3, v4
	v_cndmask_b32_e32 v3, 0, v3, vcc_lo
	v_cmp_ngt_f32_e32 vcc_lo, 0xc2b17218, v1
	s_delay_alu instid0(VALU_DEP_2) | instskip(NEXT) | instid1(VALU_DEP_1)
	v_cndmask_b32_e32 v1, 0x7f800000, v3, vcc_lo
	v_add_f32_e32 v1, 1.0, v1
	s_delay_alu instid0(VALU_DEP_1) | instskip(SKIP_1) | instid1(VALU_DEP_2)
	v_div_scale_f32 v3, null, v1, v1, 1.0
	v_div_scale_f32 v8, vcc_lo, 1.0, v1, 1.0
	v_rcp_f32_e32 v4, v3
	s_waitcnt_depctr 0xfff
	v_fma_f32 v5, -v3, v4, 1.0
	s_delay_alu instid0(VALU_DEP_1) | instskip(NEXT) | instid1(VALU_DEP_1)
	v_fmac_f32_e32 v4, v5, v4
	v_mul_f32_e32 v5, v8, v4
	s_delay_alu instid0(VALU_DEP_1) | instskip(NEXT) | instid1(VALU_DEP_1)
	v_fma_f32 v12, -v3, v5, v8
	v_dual_fmac_f32 v5, v12, v4 :: v_dual_mov_b32 v12, 0
	s_delay_alu instid0(VALU_DEP_1) | instskip(NEXT) | instid1(VALU_DEP_1)
	v_fma_f32 v3, -v3, v5, v8
	v_div_fmas_f32 v3, v3, v4, v5
	s_delay_alu instid0(VALU_DEP_1)
	v_div_fixup_f32 v1, v3, v1, 1.0
	global_store_b32 v[6:7], v1, off offset:12
	s_cbranch_scc1 .LBB7_8
; %bb.5:
	v_sub_f32_e32 v12, v2, v2
	v_mul_lo_u32 v3, v11, s10
	s_load_b128 s[0:3], s[0:1], 0x20
	v_mul_lo_u32 v7, v11, s4
	s_cmp_lt_i32 s5, 1
	v_mul_f32_e32 v1, 0x3fb8aa3b, v12
	s_cselect_b32 s10, -1, 0
	s_cmp_gt_i32 s6, 0
	s_cselect_b32 s6, -1, 0
	s_delay_alu instid0(VALU_DEP_1)
	v_rndne_f32_e32 v5, v1
	v_fma_f32 v4, 0x3fb8aa3b, v12, -v1
	v_ashrrev_i32_e32 v8, 31, v7
	s_and_b32 s6, s10, s6
	s_sub_i32 s5, 0, s5
	v_sub_f32_e32 v6, v1, v5
	v_fmac_f32_e32 v4, 0x32a5705f, v12
	v_ashrrev_i32_e32 v1, 31, v0
	v_lshlrev_b64 v[7:8], 2, v[7:8]
	s_and_b32 s6, s14, s6
	s_cmp_eq_u32 s4, 1
	v_add_f32_e32 v4, v6, v4
	v_lshlrev_b64 v[14:15], 2, v[0:1]
	v_cvt_i32_f32_e32 v1, v5
	v_cndmask_b32_e64 v13, 1, s5, s6
	s_delay_alu instid0(VALU_DEP_4) | instskip(SKIP_1) | instid1(VALU_DEP_1)
	v_exp_f32_e32 v16, v4
	v_ashrrev_i32_e32 v4, 31, v3
	v_lshlrev_b64 v[5:6], 2, v[3:4]
	v_add_co_u32 v3, vcc_lo, s8, v14
	v_add_co_ci_u32_e32 v4, vcc_lo, s9, v15, vcc_lo
	s_waitcnt_depctr 0xfff
	v_ldexp_f32 v1, v16, v1
	v_cmp_ngt_f32_e32 vcc_lo, 0xc2ce8ed0, v12
	s_delay_alu instid0(VALU_DEP_2)
	v_cndmask_b32_e32 v1, 0, v1, vcc_lo
	s_waitcnt lgkmcnt(0)
	v_add_co_u32 v14, vcc_lo, s0, v5
	v_add_co_ci_u32_e32 v15, vcc_lo, s1, v6, vcc_lo
	v_cmp_nlt_f32_e32 vcc_lo, 0x42b17218, v12
	v_cndmask_b32_e32 v12, 0x7f800000, v1, vcc_lo
	v_add_co_u32 v16, vcc_lo, s2, v7
	v_add_co_ci_u32_e32 v17, vcc_lo, s3, v8, vcc_lo
	global_store_b32 v[14:15], v13, off
	global_store_b32 v[3:4], v12, off
	;; [unrolled: 1-line block ×3, first 2 shown]
	s_cbranch_scc1 .LBB7_8
; %bb.6:
	v_sub_f32_e32 v11, 0xff800000, v2
	v_add_co_u32 v7, vcc_lo, v7, s2
	v_add_co_ci_u32_e32 v8, vcc_lo, s3, v8, vcc_lo
	s_delay_alu instid0(VALU_DEP_3) | instskip(SKIP_2) | instid1(VALU_DEP_3)
	v_mul_f32_e32 v1, 0x3fb8aa3b, v11
	v_add_co_u32 v5, vcc_lo, v5, s0
	v_add_co_ci_u32_e32 v6, vcc_lo, s1, v6, vcc_lo
	v_fma_f32 v2, 0x3fb8aa3b, v11, -v1
	v_rndne_f32_e32 v14, v1
	s_add_i32 s13, s13, s12
	s_add_i32 s0, s4, -1
	s_delay_alu instid0(VALU_DEP_1) | instskip(SKIP_1) | instid1(VALU_DEP_2)
	v_dual_fmac_f32 v2, 0x32a5705f, v11 :: v_dual_sub_f32 v1, v1, v14
	v_cvt_i32_f32_e32 v14, v14
	v_add_f32_e32 v1, v1, v2
	s_delay_alu instid0(VALU_DEP_1)
	v_exp_f32_e32 v15, v1
	v_add_co_u32 v1, vcc_lo, v3, 4
	v_add_co_ci_u32_e32 v2, vcc_lo, 0, v4, vcc_lo
	v_add_co_u32 v3, vcc_lo, v7, 4
	v_add_co_ci_u32_e32 v4, vcc_lo, 0, v8, vcc_lo
	v_cmp_ngt_f32_e32 vcc_lo, 0xc2ce8ed0, v11
	s_waitcnt_depctr 0xfff
	v_ldexp_f32 v14, v15, v14
	v_add3_u32 v8, s13, v10, v9
	s_delay_alu instid0(VALU_DEP_2) | instskip(SKIP_3) | instid1(VALU_DEP_4)
	v_cndmask_b32_e32 v7, 0, v14, vcc_lo
	v_add_co_u32 v5, vcc_lo, v5, 4
	v_add_co_ci_u32_e32 v6, vcc_lo, 0, v6, vcc_lo
	v_cmp_nlt_f32_e32 vcc_lo, 0x42b17218, v11
	v_cndmask_b32_e32 v7, 0x7f800000, v7, vcc_lo
	.p2align	6
.LBB7_7:                                ; =>This Inner Loop Header: Depth=1
	global_store_b32 v[1:2], v7, off
	global_store_b32 v[5:6], v13, off
	;; [unrolled: 1-line block ×3, first 2 shown]
	v_add_co_u32 v3, vcc_lo, v3, 4
	v_add_co_ci_u32_e32 v4, vcc_lo, 0, v4, vcc_lo
	v_add_co_u32 v5, vcc_lo, v5, 4
	v_add_co_ci_u32_e32 v6, vcc_lo, 0, v6, vcc_lo
	v_add_co_u32 v1, vcc_lo, v1, 4
	v_add_f32_e32 v12, v12, v7
	v_add_co_ci_u32_e32 v2, vcc_lo, 0, v2, vcc_lo
	v_add_nc_u32_e32 v8, s12, v8
	s_add_i32 s0, s0, -1
	s_delay_alu instid0(SALU_CYCLE_1)
	s_cmp_eq_u32 s0, 0
	s_cbranch_scc0 .LBB7_7
.LBB7_8:
	v_cmp_neq_f32_e32 vcc_lo, 0, v12
	s_and_b32 exec_lo, exec_lo, vcc_lo
	s_cbranch_execz .LBB7_12
; %bb.9:
	s_and_not1_b32 vcc_lo, exec_lo, s7
	s_cbranch_vccnz .LBB7_12
; %bb.10:
	v_div_scale_f32 v1, null, v12, v12, 1.0
	v_div_scale_f32 v4, vcc_lo, 1.0, v12, 1.0
	s_delay_alu instid0(VALU_DEP_2) | instskip(SKIP_2) | instid1(VALU_DEP_1)
	v_rcp_f32_e32 v2, v1
	s_waitcnt_depctr 0xfff
	v_fma_f32 v3, -v1, v2, 1.0
	v_fmac_f32_e32 v2, v3, v2
	s_delay_alu instid0(VALU_DEP_1) | instskip(NEXT) | instid1(VALU_DEP_1)
	v_mul_f32_e32 v3, v4, v2
	v_fma_f32 v5, -v1, v3, v4
	s_delay_alu instid0(VALU_DEP_1) | instskip(NEXT) | instid1(VALU_DEP_1)
	v_fmac_f32_e32 v3, v5, v2
	v_fma_f32 v4, -v1, v3, v4
	v_ashrrev_i32_e32 v1, 31, v0
	s_delay_alu instid0(VALU_DEP_2) | instskip(NEXT) | instid1(VALU_DEP_2)
	v_div_fmas_f32 v2, v4, v2, v3
	v_lshlrev_b64 v[0:1], 2, v[0:1]
	s_delay_alu instid0(VALU_DEP_2) | instskip(NEXT) | instid1(VALU_DEP_2)
	v_div_fixup_f32 v2, v2, v12, 1.0
	v_add_co_u32 v0, vcc_lo, s8, v0
	s_delay_alu instid0(VALU_DEP_3)
	v_add_co_ci_u32_e32 v1, vcc_lo, s9, v1, vcc_lo
.LBB7_11:                               ; =>This Inner Loop Header: Depth=1
	global_load_b32 v3, v[0:1], off
	s_add_i32 s4, s4, -1
	s_delay_alu instid0(SALU_CYCLE_1)
	s_cmp_lg_u32 s4, 0
	s_waitcnt vmcnt(0)
	v_mul_f32_e32 v3, v2, v3
	global_store_b32 v[0:1], v3, off
	v_add_co_u32 v0, vcc_lo, v0, 4
	v_add_co_ci_u32_e32 v1, vcc_lo, 0, v1, vcc_lo
	s_cbranch_scc1 .LBB7_11
.LBB7_12:
	s_nop 0
	s_sendmsg sendmsg(MSG_DEALLOC_VGPRS)
	s_endpgm
	.section	.rodata,"a",@progbits
	.p2align	6, 0x0
	.amdhsa_kernel _ZN4vllm3moe17topkGatingSoftmaxIfLi1ELi1ELi8ELi4ELb1ELi4ELNS0_23SharedExpertScoringFuncE1EEEvPKT_PKbPfiPiS9_iiiiii
		.amdhsa_group_segment_fixed_size 0
		.amdhsa_private_segment_fixed_size 0
		.amdhsa_kernarg_size 72
		.amdhsa_user_sgpr_count 15
		.amdhsa_user_sgpr_dispatch_ptr 0
		.amdhsa_user_sgpr_queue_ptr 0
		.amdhsa_user_sgpr_kernarg_segment_ptr 1
		.amdhsa_user_sgpr_dispatch_id 0
		.amdhsa_user_sgpr_private_segment_size 0
		.amdhsa_wavefront_size32 1
		.amdhsa_uses_dynamic_stack 0
		.amdhsa_enable_private_segment 0
		.amdhsa_system_sgpr_workgroup_id_x 1
		.amdhsa_system_sgpr_workgroup_id_y 0
		.amdhsa_system_sgpr_workgroup_id_z 0
		.amdhsa_system_sgpr_workgroup_info 0
		.amdhsa_system_vgpr_workitem_id 1
		.amdhsa_next_free_vgpr 18
		.amdhsa_next_free_sgpr 16
		.amdhsa_reserve_vcc 1
		.amdhsa_float_round_mode_32 0
		.amdhsa_float_round_mode_16_64 0
		.amdhsa_float_denorm_mode_32 3
		.amdhsa_float_denorm_mode_16_64 3
		.amdhsa_dx10_clamp 1
		.amdhsa_ieee_mode 1
		.amdhsa_fp16_overflow 0
		.amdhsa_workgroup_processor_mode 1
		.amdhsa_memory_ordered 1
		.amdhsa_forward_progress 0
		.amdhsa_shared_vgpr_count 0
		.amdhsa_exception_fp_ieee_invalid_op 0
		.amdhsa_exception_fp_denorm_src 0
		.amdhsa_exception_fp_ieee_div_zero 0
		.amdhsa_exception_fp_ieee_overflow 0
		.amdhsa_exception_fp_ieee_underflow 0
		.amdhsa_exception_fp_ieee_inexact 0
		.amdhsa_exception_int_div_zero 0
	.end_amdhsa_kernel
	.section	.text._ZN4vllm3moe17topkGatingSoftmaxIfLi1ELi1ELi8ELi4ELb1ELi4ELNS0_23SharedExpertScoringFuncE1EEEvPKT_PKbPfiPiS9_iiiiii,"axG",@progbits,_ZN4vllm3moe17topkGatingSoftmaxIfLi1ELi1ELi8ELi4ELb1ELi4ELNS0_23SharedExpertScoringFuncE1EEEvPKT_PKbPfiPiS9_iiiiii,comdat
.Lfunc_end7:
	.size	_ZN4vllm3moe17topkGatingSoftmaxIfLi1ELi1ELi8ELi4ELb1ELi4ELNS0_23SharedExpertScoringFuncE1EEEvPKT_PKbPfiPiS9_iiiiii, .Lfunc_end7-_ZN4vllm3moe17topkGatingSoftmaxIfLi1ELi1ELi8ELi4ELb1ELi4ELNS0_23SharedExpertScoringFuncE1EEEvPKT_PKbPfiPiS9_iiiiii
                                        ; -- End function
	.section	.AMDGPU.csdata,"",@progbits
; Kernel info:
; codeLenInByte = 1928
; NumSgprs: 18
; NumVgprs: 18
; ScratchSize: 0
; MemoryBound: 0
; FloatMode: 240
; IeeeMode: 1
; LDSByteSize: 0 bytes/workgroup (compile time only)
; SGPRBlocks: 2
; VGPRBlocks: 2
; NumSGPRsForWavesPerEU: 18
; NumVGPRsForWavesPerEU: 18
; Occupancy: 16
; WaveLimiterHint : 0
; COMPUTE_PGM_RSRC2:SCRATCH_EN: 0
; COMPUTE_PGM_RSRC2:USER_SGPR: 15
; COMPUTE_PGM_RSRC2:TRAP_HANDLER: 0
; COMPUTE_PGM_RSRC2:TGID_X_EN: 1
; COMPUTE_PGM_RSRC2:TGID_Y_EN: 0
; COMPUTE_PGM_RSRC2:TGID_Z_EN: 0
; COMPUTE_PGM_RSRC2:TIDIG_COMP_CNT: 1
	.section	.text._ZN4vllm3moe17topkGatingSoftmaxIfLi1ELi1ELi8ELi4ELb0ELi4ELNS0_23SharedExpertScoringFuncE1EEEvPKT_PKbPfiPiS9_iiiiii,"axG",@progbits,_ZN4vllm3moe17topkGatingSoftmaxIfLi1ELi1ELi8ELi4ELb0ELi4ELNS0_23SharedExpertScoringFuncE1EEEvPKT_PKbPfiPiS9_iiiiii,comdat
	.protected	_ZN4vllm3moe17topkGatingSoftmaxIfLi1ELi1ELi8ELi4ELb0ELi4ELNS0_23SharedExpertScoringFuncE1EEEvPKT_PKbPfiPiS9_iiiiii ; -- Begin function _ZN4vllm3moe17topkGatingSoftmaxIfLi1ELi1ELi8ELi4ELb0ELi4ELNS0_23SharedExpertScoringFuncE1EEEvPKT_PKbPfiPiS9_iiiiii
	.globl	_ZN4vllm3moe17topkGatingSoftmaxIfLi1ELi1ELi8ELi4ELb0ELi4ELNS0_23SharedExpertScoringFuncE1EEEvPKT_PKbPfiPiS9_iiiiii
	.p2align	8
	.type	_ZN4vllm3moe17topkGatingSoftmaxIfLi1ELi1ELi8ELi4ELb0ELi4ELNS0_23SharedExpertScoringFuncE1EEEvPKT_PKbPfiPiS9_iiiiii,@function
_ZN4vllm3moe17topkGatingSoftmaxIfLi1ELi1ELi8ELi4ELb0ELi4ELNS0_23SharedExpertScoringFuncE1EEEvPKT_PKbPfiPiS9_iiiiii: ; @_ZN4vllm3moe17topkGatingSoftmaxIfLi1ELi1ELi8ELi4ELb0ELi4ELNS0_23SharedExpertScoringFuncE1EEEvPKT_PKbPfiPiS9_iiiiii
; %bb.0:
	s_load_b32 s12, s[0:1], 0x18
	v_bfe_u32 v1, v0, 10, 10
	v_and_b32_e32 v10, 0x3ff, v0
	s_lshl_b32 s13, s15, 8
	s_mov_b32 s2, exec_lo
	s_delay_alu instid0(VALU_DEP_2) | instskip(NEXT) | instid1(VALU_DEP_1)
	v_lshlrev_b32_e32 v9, 5, v1
	v_add3_u32 v11, v9, v10, s13
	s_waitcnt lgkmcnt(0)
	s_delay_alu instid0(VALU_DEP_1)
	v_cmpx_gt_i32_e64 s12, v11
	s_cbranch_execz .LBB8_13
; %bb.1:
	s_clause 0x1
	s_load_b128 s[4:7], s[0:1], 0x0
	s_load_b64 s[8:9], s[0:1], 0x10
	s_waitcnt lgkmcnt(0)
	s_cmp_eq_u64 s[6:7], 0
	s_cbranch_scc1 .LBB8_3
; %bb.2:
	v_ashrrev_i32_e32 v1, 31, v11
	v_add_co_u32 v0, vcc_lo, s6, v11
	s_delay_alu instid0(VALU_DEP_2) | instskip(SKIP_3) | instid1(VALU_DEP_1)
	v_add_co_ci_u32_e32 v1, vcc_lo, s7, v1, vcc_lo
	global_load_u8 v0, v[0:1], off
	s_waitcnt vmcnt(0)
	v_and_b32_e32 v0, 1, v0
	v_cmp_eq_u32_e32 vcc_lo, 1, v0
	s_xor_b32 s2, vcc_lo, -1
	s_delay_alu instid0(SALU_CYCLE_1)
	s_or_not1_b32 s14, s2, exec_lo
	s_branch .LBB8_4
.LBB8_3:
	s_mov_b32 s14, -1
.LBB8_4:
	s_load_b64 s[10:11], s[0:1], 0x40
	s_waitcnt lgkmcnt(0)
	v_mul_lo_u32 v0, v11, s11
	s_delay_alu instid0(VALU_DEP_1) | instskip(NEXT) | instid1(VALU_DEP_1)
	v_ashrrev_i32_e32 v1, 31, v0
	v_lshlrev_b64 v[0:1], 2, v[0:1]
	s_delay_alu instid0(VALU_DEP_1) | instskip(NEXT) | instid1(VALU_DEP_2)
	v_add_co_u32 v4, vcc_lo, s4, v0
	v_add_co_ci_u32_e32 v5, vcc_lo, s5, v1, vcc_lo
	s_load_b128 s[4:7], s[0:1], 0x30
	global_load_b64 v[2:3], v[4:5], off
	s_waitcnt lgkmcnt(0)
	s_cmp_gt_i32 s4, 0
	s_waitcnt vmcnt(0)
	v_mul_f32_e32 v0, 0xbfb8aa3b, v3
	v_cmp_nlt_f32_e32 vcc_lo, 0x42ce8ed0, v3
	s_delay_alu instid0(VALU_DEP_2) | instskip(SKIP_1) | instid1(VALU_DEP_1)
	v_fma_f32 v1, 0xbfb8aa3b, v3, -v0
	v_rndne_f32_e32 v6, v0
	v_dual_fmac_f32 v1, 0xb2a5705f, v3 :: v_dual_sub_f32 v0, v0, v6
	s_delay_alu instid0(VALU_DEP_1) | instskip(SKIP_1) | instid1(VALU_DEP_2)
	v_add_f32_e32 v0, v0, v1
	v_cvt_i32_f32_e32 v1, v6
	v_exp_f32_e32 v0, v0
	s_waitcnt_depctr 0xfff
	v_ldexp_f32 v0, v0, v1
	s_delay_alu instid0(VALU_DEP_1) | instskip(SKIP_1) | instid1(VALU_DEP_2)
	v_cndmask_b32_e32 v0, 0, v0, vcc_lo
	v_cmp_ngt_f32_e32 vcc_lo, 0xc2b17218, v3
	v_cndmask_b32_e32 v0, 0x7f800000, v0, vcc_lo
	s_delay_alu instid0(VALU_DEP_1) | instskip(NEXT) | instid1(VALU_DEP_1)
	v_add_f32_e32 v1, 1.0, v0
	v_div_scale_f32 v3, null, v1, v1, 1.0
	v_div_scale_f32 v12, vcc_lo, 1.0, v1, 1.0
	s_delay_alu instid0(VALU_DEP_2) | instskip(SKIP_2) | instid1(VALU_DEP_1)
	v_rcp_f32_e32 v8, v3
	s_waitcnt_depctr 0xfff
	v_fma_f32 v0, -v3, v8, 1.0
	v_fmac_f32_e32 v8, v0, v8
	v_mul_lo_u32 v0, v11, s7
	s_cselect_b32 s7, -1, 0
	s_cmp_lt_i32 s4, 1
	s_delay_alu instid0(VALU_DEP_2) | instskip(NEXT) | instid1(VALU_DEP_2)
	v_mul_f32_e32 v13, v12, v8
	v_add_nc_u32_e32 v6, s4, v0
	s_delay_alu instid0(VALU_DEP_2) | instskip(NEXT) | instid1(VALU_DEP_1)
	v_fma_f32 v7, -v3, v13, v12
	v_fmac_f32_e32 v13, v7, v8
	s_delay_alu instid0(VALU_DEP_3) | instskip(NEXT) | instid1(VALU_DEP_2)
	v_ashrrev_i32_e32 v7, 31, v6
	v_fma_f32 v3, -v3, v13, v12
	s_delay_alu instid0(VALU_DEP_2) | instskip(NEXT) | instid1(VALU_DEP_2)
	v_lshlrev_b64 v[6:7], 2, v[6:7]
	v_div_fmas_f32 v3, v3, v8, v13
	s_delay_alu instid0(VALU_DEP_2) | instskip(NEXT) | instid1(VALU_DEP_3)
	v_add_co_u32 v6, vcc_lo, s8, v6
	v_add_co_ci_u32_e32 v7, vcc_lo, s9, v7, vcc_lo
	s_delay_alu instid0(VALU_DEP_3)
	v_div_fixup_f32 v1, v3, v1, 1.0
	global_store_b32 v[6:7], v1, off
	global_load_b32 v1, v[4:5], off offset:8
	s_waitcnt vmcnt(0)
	v_mul_f32_e32 v3, 0xbfb8aa3b, v1
	v_cmp_nlt_f32_e32 vcc_lo, 0x42ce8ed0, v1
	s_delay_alu instid0(VALU_DEP_2) | instskip(SKIP_1) | instid1(VALU_DEP_1)
	v_fma_f32 v8, 0xbfb8aa3b, v1, -v3
	v_rndne_f32_e32 v12, v3
	v_dual_fmac_f32 v8, 0xb2a5705f, v1 :: v_dual_sub_f32 v3, v3, v12
	s_delay_alu instid0(VALU_DEP_1) | instskip(SKIP_1) | instid1(VALU_DEP_2)
	v_add_f32_e32 v3, v3, v8
	v_cvt_i32_f32_e32 v8, v12
	v_exp_f32_e32 v3, v3
	s_waitcnt_depctr 0xfff
	v_ldexp_f32 v3, v3, v8
	s_delay_alu instid0(VALU_DEP_1) | instskip(SKIP_1) | instid1(VALU_DEP_2)
	v_cndmask_b32_e32 v3, 0, v3, vcc_lo
	v_cmp_ngt_f32_e32 vcc_lo, 0xc2b17218, v1
	v_cndmask_b32_e32 v1, 0x7f800000, v3, vcc_lo
	s_delay_alu instid0(VALU_DEP_1) | instskip(NEXT) | instid1(VALU_DEP_1)
	v_add_f32_e32 v1, 1.0, v1
	v_div_scale_f32 v3, null, v1, v1, 1.0
	v_div_scale_f32 v13, vcc_lo, 1.0, v1, 1.0
	s_delay_alu instid0(VALU_DEP_2) | instskip(SKIP_2) | instid1(VALU_DEP_1)
	v_rcp_f32_e32 v8, v3
	s_waitcnt_depctr 0xfff
	v_fma_f32 v12, -v3, v8, 1.0
	v_fmac_f32_e32 v8, v12, v8
	s_delay_alu instid0(VALU_DEP_1) | instskip(NEXT) | instid1(VALU_DEP_1)
	v_mul_f32_e32 v12, v13, v8
	v_fma_f32 v14, -v3, v12, v13
	s_delay_alu instid0(VALU_DEP_1) | instskip(NEXT) | instid1(VALU_DEP_1)
	v_fmac_f32_e32 v12, v14, v8
	v_fma_f32 v3, -v3, v12, v13
	s_delay_alu instid0(VALU_DEP_1) | instskip(NEXT) | instid1(VALU_DEP_1)
	v_div_fmas_f32 v3, v3, v8, v12
	v_div_fixup_f32 v1, v3, v1, 1.0
	global_store_b32 v[6:7], v1, off offset:4
	global_load_b32 v1, v[4:5], off offset:12
	s_waitcnt vmcnt(0)
	v_mul_f32_e32 v3, 0xbfb8aa3b, v1
	v_cmp_nlt_f32_e32 vcc_lo, 0x42ce8ed0, v1
	s_delay_alu instid0(VALU_DEP_2) | instskip(SKIP_1) | instid1(VALU_DEP_1)
	v_fma_f32 v8, 0xbfb8aa3b, v1, -v3
	v_rndne_f32_e32 v12, v3
	v_dual_fmac_f32 v8, 0xb2a5705f, v1 :: v_dual_sub_f32 v3, v3, v12
	s_delay_alu instid0(VALU_DEP_1) | instskip(SKIP_1) | instid1(VALU_DEP_2)
	v_add_f32_e32 v3, v3, v8
	v_cvt_i32_f32_e32 v8, v12
	v_exp_f32_e32 v3, v3
	s_waitcnt_depctr 0xfff
	v_ldexp_f32 v3, v3, v8
	s_delay_alu instid0(VALU_DEP_1) | instskip(SKIP_1) | instid1(VALU_DEP_2)
	v_cndmask_b32_e32 v3, 0, v3, vcc_lo
	v_cmp_ngt_f32_e32 vcc_lo, 0xc2b17218, v1
	v_cndmask_b32_e32 v1, 0x7f800000, v3, vcc_lo
	s_delay_alu instid0(VALU_DEP_1) | instskip(NEXT) | instid1(VALU_DEP_1)
	v_add_f32_e32 v1, 1.0, v1
	v_div_scale_f32 v3, null, v1, v1, 1.0
	s_delay_alu instid0(VALU_DEP_1) | instskip(SKIP_2) | instid1(VALU_DEP_1)
	v_rcp_f32_e32 v8, v3
	s_waitcnt_depctr 0xfff
	v_fma_f32 v12, -v3, v8, 1.0
	v_fmac_f32_e32 v8, v12, v8
	v_div_scale_f32 v13, vcc_lo, 1.0, v1, 1.0
	s_delay_alu instid0(VALU_DEP_1) | instskip(NEXT) | instid1(VALU_DEP_1)
	v_mul_f32_e32 v12, v13, v8
	v_fma_f32 v14, -v3, v12, v13
	s_delay_alu instid0(VALU_DEP_1) | instskip(NEXT) | instid1(VALU_DEP_1)
	v_fmac_f32_e32 v12, v14, v8
	v_fma_f32 v3, -v3, v12, v13
	s_delay_alu instid0(VALU_DEP_1) | instskip(NEXT) | instid1(VALU_DEP_1)
	v_div_fmas_f32 v3, v3, v8, v12
	v_div_fixup_f32 v1, v3, v1, 1.0
	global_store_b32 v[6:7], v1, off offset:8
	global_load_b32 v1, v[4:5], off offset:16
	s_waitcnt vmcnt(0)
	v_mul_f32_e32 v3, 0xbfb8aa3b, v1
	v_cmp_nlt_f32_e32 vcc_lo, 0x42ce8ed0, v1
	s_delay_alu instid0(VALU_DEP_2) | instskip(SKIP_1) | instid1(VALU_DEP_2)
	v_fma_f32 v4, 0xbfb8aa3b, v1, -v3
	v_rndne_f32_e32 v5, v3
	v_fmac_f32_e32 v4, 0xb2a5705f, v1
	s_delay_alu instid0(VALU_DEP_2) | instskip(NEXT) | instid1(VALU_DEP_1)
	v_sub_f32_e32 v3, v3, v5
	v_add_f32_e32 v3, v3, v4
	v_cvt_i32_f32_e32 v4, v5
	s_delay_alu instid0(VALU_DEP_2) | instskip(SKIP_2) | instid1(VALU_DEP_1)
	v_exp_f32_e32 v3, v3
	s_waitcnt_depctr 0xfff
	v_ldexp_f32 v3, v3, v4
	v_cndmask_b32_e32 v3, 0, v3, vcc_lo
	v_cmp_ngt_f32_e32 vcc_lo, 0xc2b17218, v1
	s_delay_alu instid0(VALU_DEP_2) | instskip(NEXT) | instid1(VALU_DEP_1)
	v_cndmask_b32_e32 v1, 0x7f800000, v3, vcc_lo
	v_add_f32_e32 v1, 1.0, v1
	s_delay_alu instid0(VALU_DEP_1) | instskip(SKIP_1) | instid1(VALU_DEP_2)
	v_div_scale_f32 v3, null, v1, v1, 1.0
	v_div_scale_f32 v8, vcc_lo, 1.0, v1, 1.0
	v_rcp_f32_e32 v4, v3
	s_waitcnt_depctr 0xfff
	v_fma_f32 v5, -v3, v4, 1.0
	s_delay_alu instid0(VALU_DEP_1) | instskip(NEXT) | instid1(VALU_DEP_1)
	v_fmac_f32_e32 v4, v5, v4
	v_mul_f32_e32 v5, v8, v4
	s_delay_alu instid0(VALU_DEP_1) | instskip(NEXT) | instid1(VALU_DEP_1)
	v_fma_f32 v12, -v3, v5, v8
	v_fmac_f32_e32 v5, v12, v4
	s_delay_alu instid0(VALU_DEP_1) | instskip(NEXT) | instid1(VALU_DEP_1)
	v_fma_f32 v3, -v3, v5, v8
	v_div_fmas_f32 v3, v3, v4, v5
	s_delay_alu instid0(VALU_DEP_1)
	v_div_fixup_f32 v4, v3, v1, 1.0
	v_mov_b32_e32 v1, 0
	v_mov_b32_e32 v3, v2
	global_store_b32 v[6:7], v4, off offset:12
	s_cbranch_scc1 .LBB8_9
; %bb.5:
	v_sub_f32_e32 v15, v2, v2
	v_mul_lo_u32 v3, v11, s10
	s_load_b128 s[0:3], s[0:1], 0x20
	v_mul_lo_u32 v7, v11, s4
	s_cmp_lt_i32 s5, 1
	v_mul_f32_e32 v1, 0x3fb8aa3b, v15
	s_cselect_b32 s10, -1, 0
	s_cmp_gt_i32 s6, 0
	s_cselect_b32 s6, -1, 0
	s_delay_alu instid0(VALU_DEP_1) | instskip(NEXT) | instid1(VALU_DEP_3)
	v_rndne_f32_e32 v5, v1
	v_ashrrev_i32_e32 v8, 31, v7
	s_and_b32 s6, s10, s6
	s_sub_i32 s5, 0, s5
	s_and_b32 s6, s14, s6
	v_sub_f32_e32 v6, v1, v5
	v_fma_f32 v4, 0x3fb8aa3b, v15, -v1
	v_ashrrev_i32_e32 v1, 31, v0
	v_lshlrev_b64 v[7:8], 2, v[7:8]
	v_cndmask_b32_e64 v12, 1, s5, s6
	s_cmp_eq_u32 s4, 1
	v_fmac_f32_e32 v4, 0x32a5705f, v15
	v_lshlrev_b64 v[13:14], 2, v[0:1]
	v_cvt_i32_f32_e32 v1, v5
	s_delay_alu instid0(VALU_DEP_3) | instskip(NEXT) | instid1(VALU_DEP_1)
	v_add_f32_e32 v4, v6, v4
	v_exp_f32_e32 v16, v4
	v_ashrrev_i32_e32 v4, 31, v3
	s_delay_alu instid0(VALU_DEP_1)
	v_lshlrev_b64 v[5:6], 2, v[3:4]
	v_add_co_u32 v3, vcc_lo, s8, v13
	v_add_co_ci_u32_e32 v4, vcc_lo, s9, v14, vcc_lo
	s_waitcnt_depctr 0xfff
	v_ldexp_f32 v1, v16, v1
	v_cmp_ngt_f32_e32 vcc_lo, 0xc2ce8ed0, v15
	s_delay_alu instid0(VALU_DEP_2)
	v_cndmask_b32_e32 v1, 0, v1, vcc_lo
	s_waitcnt lgkmcnt(0)
	v_add_co_u32 v13, vcc_lo, s0, v5
	v_add_co_ci_u32_e32 v14, vcc_lo, s1, v6, vcc_lo
	v_cmp_nlt_f32_e32 vcc_lo, 0x42b17218, v15
	v_cndmask_b32_e32 v1, 0x7f800000, v1, vcc_lo
	v_add_co_u32 v15, vcc_lo, s2, v7
	v_add_co_ci_u32_e32 v16, vcc_lo, s3, v8, vcc_lo
	global_store_b32 v[13:14], v12, off
	global_store_b32 v[3:4], v1, off
	;; [unrolled: 1-line block ×3, first 2 shown]
	s_cbranch_scc1 .LBB8_8
; %bb.6:
	v_sub_f32_e32 v11, 0xff800000, v2
	v_add_co_u32 v7, vcc_lo, v7, s2
	v_add_co_ci_u32_e32 v8, vcc_lo, s3, v8, vcc_lo
	s_delay_alu instid0(VALU_DEP_3) | instskip(SKIP_1) | instid1(SALU_CYCLE_1)
	v_mul_f32_e32 v13, 0x3fb8aa3b, v11
	s_add_i32 s13, s13, s12
	v_add3_u32 v9, s13, v10, v9
	s_delay_alu instid0(VALU_DEP_2) | instskip(SKIP_1) | instid1(VALU_DEP_2)
	v_fma_f32 v14, 0x3fb8aa3b, v11, -v13
	v_rndne_f32_e32 v15, v13
	v_fmac_f32_e32 v14, 0x32a5705f, v11
	s_delay_alu instid0(VALU_DEP_2) | instskip(NEXT) | instid1(VALU_DEP_1)
	v_sub_f32_e32 v13, v13, v15
	v_add_f32_e32 v13, v13, v14
	v_add_co_u32 v14, vcc_lo, v5, s0
	v_cvt_i32_f32_e32 v5, v15
	v_add_co_ci_u32_e32 v16, vcc_lo, s1, v6, vcc_lo
	s_delay_alu instid0(VALU_DEP_4)
	v_exp_f32_e32 v13, v13
	v_add_co_u32 v3, vcc_lo, v3, 4
	v_add_co_ci_u32_e32 v4, vcc_lo, 0, v4, vcc_lo
	s_add_i32 s0, s4, -1
	s_waitcnt_depctr 0xfff
	v_ldexp_f32 v13, v13, v5
	v_add_co_u32 v5, vcc_lo, v7, 4
	v_add_co_ci_u32_e32 v6, vcc_lo, 0, v8, vcc_lo
	v_cmp_ngt_f32_e32 vcc_lo, 0xc2ce8ed0, v11
	s_delay_alu instid0(VALU_DEP_4) | instskip(SKIP_3) | instid1(VALU_DEP_4)
	v_cndmask_b32_e32 v13, 0, v13, vcc_lo
	v_add_co_u32 v7, vcc_lo, v14, 4
	v_add_co_ci_u32_e32 v8, vcc_lo, 0, v16, vcc_lo
	v_cmp_nlt_f32_e32 vcc_lo, 0x42b17218, v11
	v_cndmask_b32_e32 v11, 0x7f800000, v13, vcc_lo
	.p2align	6
.LBB8_7:                                ; =>This Inner Loop Header: Depth=1
	global_store_b32 v[3:4], v11, off
	global_store_b32 v[7:8], v12, off
	;; [unrolled: 1-line block ×3, first 2 shown]
	v_add_co_u32 v5, vcc_lo, v5, 4
	v_add_co_ci_u32_e32 v6, vcc_lo, 0, v6, vcc_lo
	v_add_co_u32 v7, vcc_lo, v7, 4
	v_add_co_ci_u32_e32 v8, vcc_lo, 0, v8, vcc_lo
	v_add_co_u32 v3, vcc_lo, v3, 4
	v_add_f32_e32 v1, v1, v11
	v_add_co_ci_u32_e32 v4, vcc_lo, 0, v4, vcc_lo
	v_add_nc_u32_e32 v9, s12, v9
	s_add_i32 s0, s0, -1
	s_delay_alu instid0(SALU_CYCLE_1)
	s_cmp_eq_u32 s0, 0
	s_cbranch_scc0 .LBB8_7
.LBB8_8:
	v_mov_b32_e32 v3, 0xff800000
.LBB8_9:
	s_delay_alu instid0(VALU_DEP_1) | instskip(NEXT) | instid1(VALU_DEP_1)
	v_sub_f32_e32 v2, v3, v2
	v_mul_f32_e32 v3, 0x3fb8aa3b, v2
	v_cmp_ngt_f32_e32 vcc_lo, 0xc2ce8ed0, v2
	s_delay_alu instid0(VALU_DEP_2) | instskip(SKIP_1) | instid1(VALU_DEP_1)
	v_fma_f32 v4, 0x3fb8aa3b, v2, -v3
	v_rndne_f32_e32 v5, v3
	v_dual_fmamk_f32 v4, v2, 0x32a5705f, v4 :: v_dual_sub_f32 v3, v3, v5
	s_delay_alu instid0(VALU_DEP_1) | instskip(SKIP_1) | instid1(VALU_DEP_2)
	v_add_f32_e32 v3, v3, v4
	v_cvt_i32_f32_e32 v4, v5
	v_exp_f32_e32 v3, v3
	s_waitcnt_depctr 0xfff
	v_ldexp_f32 v3, v3, v4
	s_delay_alu instid0(VALU_DEP_1) | instskip(SKIP_1) | instid1(VALU_DEP_2)
	v_cndmask_b32_e32 v3, 0, v3, vcc_lo
	v_cmp_nlt_f32_e32 vcc_lo, 0x42b17218, v2
	v_cndmask_b32_e32 v2, 0x7f800000, v3, vcc_lo
	s_delay_alu instid0(VALU_DEP_1) | instskip(NEXT) | instid1(VALU_DEP_1)
	v_add_f32_e32 v2, v1, v2
	v_cmp_neq_f32_e32 vcc_lo, 0, v2
	s_and_b32 exec_lo, exec_lo, vcc_lo
	s_cbranch_execz .LBB8_13
; %bb.10:
	s_and_not1_b32 vcc_lo, exec_lo, s7
	s_cbranch_vccnz .LBB8_13
; %bb.11:
	v_div_scale_f32 v1, null, v2, v2, 1.0
	v_div_scale_f32 v5, vcc_lo, 1.0, v2, 1.0
	s_delay_alu instid0(VALU_DEP_2) | instskip(SKIP_2) | instid1(VALU_DEP_1)
	v_rcp_f32_e32 v3, v1
	s_waitcnt_depctr 0xfff
	v_fma_f32 v4, -v1, v3, 1.0
	v_fmac_f32_e32 v3, v4, v3
	s_delay_alu instid0(VALU_DEP_1) | instskip(NEXT) | instid1(VALU_DEP_1)
	v_mul_f32_e32 v4, v5, v3
	v_fma_f32 v6, -v1, v4, v5
	s_delay_alu instid0(VALU_DEP_1) | instskip(NEXT) | instid1(VALU_DEP_1)
	v_fmac_f32_e32 v4, v6, v3
	v_fma_f32 v5, -v1, v4, v5
	v_ashrrev_i32_e32 v1, 31, v0
	s_delay_alu instid0(VALU_DEP_2) | instskip(NEXT) | instid1(VALU_DEP_2)
	v_div_fmas_f32 v3, v5, v3, v4
	v_lshlrev_b64 v[0:1], 2, v[0:1]
	s_delay_alu instid0(VALU_DEP_2) | instskip(NEXT) | instid1(VALU_DEP_2)
	v_div_fixup_f32 v2, v3, v2, 1.0
	v_add_co_u32 v0, vcc_lo, s8, v0
	s_delay_alu instid0(VALU_DEP_3)
	v_add_co_ci_u32_e32 v1, vcc_lo, s9, v1, vcc_lo
.LBB8_12:                               ; =>This Inner Loop Header: Depth=1
	global_load_b32 v3, v[0:1], off
	s_add_i32 s4, s4, -1
	s_delay_alu instid0(SALU_CYCLE_1)
	s_cmp_lg_u32 s4, 0
	s_waitcnt vmcnt(0)
	v_mul_f32_e32 v3, v2, v3
	global_store_b32 v[0:1], v3, off
	v_add_co_u32 v0, vcc_lo, v0, 4
	v_add_co_ci_u32_e32 v1, vcc_lo, 0, v1, vcc_lo
	s_cbranch_scc1 .LBB8_12
.LBB8_13:
	s_nop 0
	s_sendmsg sendmsg(MSG_DEALLOC_VGPRS)
	s_endpgm
	.section	.rodata,"a",@progbits
	.p2align	6, 0x0
	.amdhsa_kernel _ZN4vllm3moe17topkGatingSoftmaxIfLi1ELi1ELi8ELi4ELb0ELi4ELNS0_23SharedExpertScoringFuncE1EEEvPKT_PKbPfiPiS9_iiiiii
		.amdhsa_group_segment_fixed_size 0
		.amdhsa_private_segment_fixed_size 0
		.amdhsa_kernarg_size 72
		.amdhsa_user_sgpr_count 15
		.amdhsa_user_sgpr_dispatch_ptr 0
		.amdhsa_user_sgpr_queue_ptr 0
		.amdhsa_user_sgpr_kernarg_segment_ptr 1
		.amdhsa_user_sgpr_dispatch_id 0
		.amdhsa_user_sgpr_private_segment_size 0
		.amdhsa_wavefront_size32 1
		.amdhsa_uses_dynamic_stack 0
		.amdhsa_enable_private_segment 0
		.amdhsa_system_sgpr_workgroup_id_x 1
		.amdhsa_system_sgpr_workgroup_id_y 0
		.amdhsa_system_sgpr_workgroup_id_z 0
		.amdhsa_system_sgpr_workgroup_info 0
		.amdhsa_system_vgpr_workitem_id 1
		.amdhsa_next_free_vgpr 17
		.amdhsa_next_free_sgpr 16
		.amdhsa_reserve_vcc 1
		.amdhsa_float_round_mode_32 0
		.amdhsa_float_round_mode_16_64 0
		.amdhsa_float_denorm_mode_32 3
		.amdhsa_float_denorm_mode_16_64 3
		.amdhsa_dx10_clamp 1
		.amdhsa_ieee_mode 1
		.amdhsa_fp16_overflow 0
		.amdhsa_workgroup_processor_mode 1
		.amdhsa_memory_ordered 1
		.amdhsa_forward_progress 0
		.amdhsa_shared_vgpr_count 0
		.amdhsa_exception_fp_ieee_invalid_op 0
		.amdhsa_exception_fp_denorm_src 0
		.amdhsa_exception_fp_ieee_div_zero 0
		.amdhsa_exception_fp_ieee_overflow 0
		.amdhsa_exception_fp_ieee_underflow 0
		.amdhsa_exception_fp_ieee_inexact 0
		.amdhsa_exception_int_div_zero 0
	.end_amdhsa_kernel
	.section	.text._ZN4vllm3moe17topkGatingSoftmaxIfLi1ELi1ELi8ELi4ELb0ELi4ELNS0_23SharedExpertScoringFuncE1EEEvPKT_PKbPfiPiS9_iiiiii,"axG",@progbits,_ZN4vllm3moe17topkGatingSoftmaxIfLi1ELi1ELi8ELi4ELb0ELi4ELNS0_23SharedExpertScoringFuncE1EEEvPKT_PKbPfiPiS9_iiiiii,comdat
.Lfunc_end8:
	.size	_ZN4vllm3moe17topkGatingSoftmaxIfLi1ELi1ELi8ELi4ELb0ELi4ELNS0_23SharedExpertScoringFuncE1EEEvPKT_PKbPfiPiS9_iiiiii, .Lfunc_end8-_ZN4vllm3moe17topkGatingSoftmaxIfLi1ELi1ELi8ELi4ELb0ELi4ELNS0_23SharedExpertScoringFuncE1EEEvPKT_PKbPfiPiS9_iiiiii
                                        ; -- End function
	.section	.AMDGPU.csdata,"",@progbits
; Kernel info:
; codeLenInByte = 2064
; NumSgprs: 18
; NumVgprs: 17
; ScratchSize: 0
; MemoryBound: 0
; FloatMode: 240
; IeeeMode: 1
; LDSByteSize: 0 bytes/workgroup (compile time only)
; SGPRBlocks: 2
; VGPRBlocks: 2
; NumSGPRsForWavesPerEU: 18
; NumVGPRsForWavesPerEU: 17
; Occupancy: 16
; WaveLimiterHint : 0
; COMPUTE_PGM_RSRC2:SCRATCH_EN: 0
; COMPUTE_PGM_RSRC2:USER_SGPR: 15
; COMPUTE_PGM_RSRC2:TRAP_HANDLER: 0
; COMPUTE_PGM_RSRC2:TGID_X_EN: 1
; COMPUTE_PGM_RSRC2:TGID_Y_EN: 0
; COMPUTE_PGM_RSRC2:TGID_Z_EN: 0
; COMPUTE_PGM_RSRC2:TIDIG_COMP_CNT: 1
	.section	.text._ZN4vllm3moe17topkGatingSoftmaxIfLi1ELi1ELi8ELi4ELb1ELi8ELNS0_23SharedExpertScoringFuncE1EEEvPKT_PKbPfiPiS9_iiiiii,"axG",@progbits,_ZN4vllm3moe17topkGatingSoftmaxIfLi1ELi1ELi8ELi4ELb1ELi8ELNS0_23SharedExpertScoringFuncE1EEEvPKT_PKbPfiPiS9_iiiiii,comdat
	.protected	_ZN4vllm3moe17topkGatingSoftmaxIfLi1ELi1ELi8ELi4ELb1ELi8ELNS0_23SharedExpertScoringFuncE1EEEvPKT_PKbPfiPiS9_iiiiii ; -- Begin function _ZN4vllm3moe17topkGatingSoftmaxIfLi1ELi1ELi8ELi4ELb1ELi8ELNS0_23SharedExpertScoringFuncE1EEEvPKT_PKbPfiPiS9_iiiiii
	.globl	_ZN4vllm3moe17topkGatingSoftmaxIfLi1ELi1ELi8ELi4ELb1ELi8ELNS0_23SharedExpertScoringFuncE1EEEvPKT_PKbPfiPiS9_iiiiii
	.p2align	8
	.type	_ZN4vllm3moe17topkGatingSoftmaxIfLi1ELi1ELi8ELi4ELb1ELi8ELNS0_23SharedExpertScoringFuncE1EEEvPKT_PKbPfiPiS9_iiiiii,@function
_ZN4vllm3moe17topkGatingSoftmaxIfLi1ELi1ELi8ELi4ELb1ELi8ELNS0_23SharedExpertScoringFuncE1EEEvPKT_PKbPfiPiS9_iiiiii: ; @_ZN4vllm3moe17topkGatingSoftmaxIfLi1ELi1ELi8ELi4ELb1ELi8ELNS0_23SharedExpertScoringFuncE1EEEvPKT_PKbPfiPiS9_iiiiii
; %bb.0:
	s_load_b32 s12, s[0:1], 0x18
	v_bfe_u32 v1, v0, 10, 10
	v_and_b32_e32 v10, 0x3ff, v0
	s_lshl_b32 s13, s15, 8
	s_mov_b32 s2, exec_lo
	s_delay_alu instid0(VALU_DEP_2) | instskip(NEXT) | instid1(VALU_DEP_1)
	v_lshlrev_b32_e32 v9, 5, v1
	v_add3_u32 v11, v9, v10, s13
	s_waitcnt lgkmcnt(0)
	s_delay_alu instid0(VALU_DEP_1)
	v_cmpx_gt_i32_e64 s12, v11
	s_cbranch_execz .LBB9_12
; %bb.1:
	s_clause 0x1
	s_load_b128 s[4:7], s[0:1], 0x0
	s_load_b64 s[8:9], s[0:1], 0x10
	s_waitcnt lgkmcnt(0)
	s_cmp_eq_u64 s[6:7], 0
	s_cbranch_scc1 .LBB9_3
; %bb.2:
	v_ashrrev_i32_e32 v1, 31, v11
	v_add_co_u32 v0, vcc_lo, s6, v11
	s_delay_alu instid0(VALU_DEP_2) | instskip(SKIP_3) | instid1(VALU_DEP_1)
	v_add_co_ci_u32_e32 v1, vcc_lo, s7, v1, vcc_lo
	global_load_u8 v0, v[0:1], off
	s_waitcnt vmcnt(0)
	v_and_b32_e32 v0, 1, v0
	v_cmp_eq_u32_e32 vcc_lo, 1, v0
	s_xor_b32 s2, vcc_lo, -1
	s_delay_alu instid0(SALU_CYCLE_1)
	s_or_not1_b32 s14, s2, exec_lo
	s_branch .LBB9_4
.LBB9_3:
	s_mov_b32 s14, -1
.LBB9_4:
	s_load_b64 s[10:11], s[0:1], 0x40
	s_waitcnt lgkmcnt(0)
	v_mul_lo_u32 v0, v11, s11
	s_delay_alu instid0(VALU_DEP_1) | instskip(NEXT) | instid1(VALU_DEP_1)
	v_ashrrev_i32_e32 v1, 31, v0
	v_lshlrev_b64 v[0:1], 2, v[0:1]
	s_delay_alu instid0(VALU_DEP_1) | instskip(NEXT) | instid1(VALU_DEP_2)
	v_add_co_u32 v4, vcc_lo, s4, v0
	v_add_co_ci_u32_e32 v5, vcc_lo, s5, v1, vcc_lo
	s_load_b128 s[4:7], s[0:1], 0x30
	global_load_b64 v[2:3], v[4:5], off
	s_waitcnt lgkmcnt(0)
	s_cmp_gt_i32 s4, 0
	s_waitcnt vmcnt(0)
	v_mul_f32_e32 v0, 0xbfb8aa3b, v3
	v_cmp_nlt_f32_e32 vcc_lo, 0x42ce8ed0, v3
	s_delay_alu instid0(VALU_DEP_2) | instskip(SKIP_1) | instid1(VALU_DEP_1)
	v_fma_f32 v1, 0xbfb8aa3b, v3, -v0
	v_rndne_f32_e32 v6, v0
	v_dual_fmac_f32 v1, 0xb2a5705f, v3 :: v_dual_sub_f32 v0, v0, v6
	s_delay_alu instid0(VALU_DEP_1) | instskip(SKIP_1) | instid1(VALU_DEP_2)
	v_add_f32_e32 v0, v0, v1
	v_cvt_i32_f32_e32 v1, v6
	v_exp_f32_e32 v0, v0
	s_waitcnt_depctr 0xfff
	v_ldexp_f32 v0, v0, v1
	s_delay_alu instid0(VALU_DEP_1) | instskip(SKIP_1) | instid1(VALU_DEP_2)
	v_cndmask_b32_e32 v0, 0, v0, vcc_lo
	v_cmp_ngt_f32_e32 vcc_lo, 0xc2b17218, v3
	v_cndmask_b32_e32 v0, 0x7f800000, v0, vcc_lo
	s_delay_alu instid0(VALU_DEP_1) | instskip(NEXT) | instid1(VALU_DEP_1)
	v_add_f32_e32 v1, 1.0, v0
	v_div_scale_f32 v3, null, v1, v1, 1.0
	v_div_scale_f32 v12, vcc_lo, 1.0, v1, 1.0
	s_delay_alu instid0(VALU_DEP_2) | instskip(SKIP_2) | instid1(VALU_DEP_1)
	v_rcp_f32_e32 v8, v3
	s_waitcnt_depctr 0xfff
	v_fma_f32 v0, -v3, v8, 1.0
	v_fmac_f32_e32 v8, v0, v8
	v_mul_lo_u32 v0, v11, s7
	s_cselect_b32 s7, -1, 0
	s_cmp_lt_i32 s4, 1
	s_delay_alu instid0(VALU_DEP_2) | instskip(NEXT) | instid1(VALU_DEP_2)
	v_mul_f32_e32 v13, v12, v8
	v_add_nc_u32_e32 v6, s4, v0
	s_delay_alu instid0(VALU_DEP_2) | instskip(NEXT) | instid1(VALU_DEP_1)
	v_fma_f32 v7, -v3, v13, v12
	v_fmac_f32_e32 v13, v7, v8
	s_delay_alu instid0(VALU_DEP_3) | instskip(NEXT) | instid1(VALU_DEP_2)
	v_ashrrev_i32_e32 v7, 31, v6
	v_fma_f32 v3, -v3, v13, v12
	s_delay_alu instid0(VALU_DEP_2) | instskip(NEXT) | instid1(VALU_DEP_2)
	v_lshlrev_b64 v[6:7], 2, v[6:7]
	v_div_fmas_f32 v3, v3, v8, v13
	s_delay_alu instid0(VALU_DEP_2) | instskip(NEXT) | instid1(VALU_DEP_3)
	v_add_co_u32 v6, vcc_lo, s8, v6
	v_add_co_ci_u32_e32 v7, vcc_lo, s9, v7, vcc_lo
	s_delay_alu instid0(VALU_DEP_3)
	v_div_fixup_f32 v1, v3, v1, 1.0
	global_store_b32 v[6:7], v1, off
	global_load_b32 v1, v[4:5], off offset:8
	s_waitcnt vmcnt(0)
	v_mul_f32_e32 v3, 0xbfb8aa3b, v1
	v_cmp_nlt_f32_e32 vcc_lo, 0x42ce8ed0, v1
	s_delay_alu instid0(VALU_DEP_2) | instskip(SKIP_1) | instid1(VALU_DEP_1)
	v_fma_f32 v8, 0xbfb8aa3b, v1, -v3
	v_rndne_f32_e32 v12, v3
	v_dual_fmac_f32 v8, 0xb2a5705f, v1 :: v_dual_sub_f32 v3, v3, v12
	s_delay_alu instid0(VALU_DEP_1) | instskip(SKIP_1) | instid1(VALU_DEP_2)
	v_add_f32_e32 v3, v3, v8
	v_cvt_i32_f32_e32 v8, v12
	v_exp_f32_e32 v3, v3
	s_waitcnt_depctr 0xfff
	v_ldexp_f32 v3, v3, v8
	s_delay_alu instid0(VALU_DEP_1) | instskip(SKIP_1) | instid1(VALU_DEP_2)
	v_cndmask_b32_e32 v3, 0, v3, vcc_lo
	v_cmp_ngt_f32_e32 vcc_lo, 0xc2b17218, v1
	v_cndmask_b32_e32 v1, 0x7f800000, v3, vcc_lo
	s_delay_alu instid0(VALU_DEP_1) | instskip(NEXT) | instid1(VALU_DEP_1)
	v_add_f32_e32 v1, 1.0, v1
	v_div_scale_f32 v3, null, v1, v1, 1.0
	v_div_scale_f32 v13, vcc_lo, 1.0, v1, 1.0
	s_delay_alu instid0(VALU_DEP_2) | instskip(SKIP_2) | instid1(VALU_DEP_1)
	v_rcp_f32_e32 v8, v3
	s_waitcnt_depctr 0xfff
	v_fma_f32 v12, -v3, v8, 1.0
	v_fmac_f32_e32 v8, v12, v8
	s_delay_alu instid0(VALU_DEP_1) | instskip(NEXT) | instid1(VALU_DEP_1)
	v_mul_f32_e32 v12, v13, v8
	v_fma_f32 v14, -v3, v12, v13
	s_delay_alu instid0(VALU_DEP_1) | instskip(NEXT) | instid1(VALU_DEP_1)
	v_fmac_f32_e32 v12, v14, v8
	v_fma_f32 v3, -v3, v12, v13
	s_delay_alu instid0(VALU_DEP_1) | instskip(NEXT) | instid1(VALU_DEP_1)
	v_div_fmas_f32 v3, v3, v8, v12
	v_div_fixup_f32 v1, v3, v1, 1.0
	global_store_b32 v[6:7], v1, off offset:4
	global_load_b32 v1, v[4:5], off offset:12
	s_waitcnt vmcnt(0)
	v_mul_f32_e32 v3, 0xbfb8aa3b, v1
	v_cmp_nlt_f32_e32 vcc_lo, 0x42ce8ed0, v1
	s_delay_alu instid0(VALU_DEP_2) | instskip(SKIP_1) | instid1(VALU_DEP_1)
	v_fma_f32 v8, 0xbfb8aa3b, v1, -v3
	v_rndne_f32_e32 v12, v3
	v_dual_fmac_f32 v8, 0xb2a5705f, v1 :: v_dual_sub_f32 v3, v3, v12
	s_delay_alu instid0(VALU_DEP_1) | instskip(SKIP_1) | instid1(VALU_DEP_2)
	v_add_f32_e32 v3, v3, v8
	v_cvt_i32_f32_e32 v8, v12
	v_exp_f32_e32 v3, v3
	s_waitcnt_depctr 0xfff
	v_ldexp_f32 v3, v3, v8
	s_delay_alu instid0(VALU_DEP_1) | instskip(SKIP_1) | instid1(VALU_DEP_2)
	v_cndmask_b32_e32 v3, 0, v3, vcc_lo
	v_cmp_ngt_f32_e32 vcc_lo, 0xc2b17218, v1
	v_cndmask_b32_e32 v1, 0x7f800000, v3, vcc_lo
	s_delay_alu instid0(VALU_DEP_1) | instskip(NEXT) | instid1(VALU_DEP_1)
	v_add_f32_e32 v1, 1.0, v1
	v_div_scale_f32 v3, null, v1, v1, 1.0
	s_delay_alu instid0(VALU_DEP_1) | instskip(SKIP_2) | instid1(VALU_DEP_1)
	v_rcp_f32_e32 v8, v3
	s_waitcnt_depctr 0xfff
	v_fma_f32 v12, -v3, v8, 1.0
	v_fmac_f32_e32 v8, v12, v8
	v_div_scale_f32 v13, vcc_lo, 1.0, v1, 1.0
	s_delay_alu instid0(VALU_DEP_1) | instskip(NEXT) | instid1(VALU_DEP_1)
	v_mul_f32_e32 v12, v13, v8
	v_fma_f32 v14, -v3, v12, v13
	s_delay_alu instid0(VALU_DEP_1) | instskip(NEXT) | instid1(VALU_DEP_1)
	v_fmac_f32_e32 v12, v14, v8
	v_fma_f32 v3, -v3, v12, v13
	s_delay_alu instid0(VALU_DEP_1) | instskip(NEXT) | instid1(VALU_DEP_1)
	v_div_fmas_f32 v3, v3, v8, v12
	v_div_fixup_f32 v1, v3, v1, 1.0
	global_store_b32 v[6:7], v1, off offset:8
	global_load_b32 v1, v[4:5], off offset:16
	s_waitcnt vmcnt(0)
	v_mul_f32_e32 v3, 0xbfb8aa3b, v1
	v_cmp_nlt_f32_e32 vcc_lo, 0x42ce8ed0, v1
	s_delay_alu instid0(VALU_DEP_2) | instskip(SKIP_1) | instid1(VALU_DEP_1)
	v_fma_f32 v8, 0xbfb8aa3b, v1, -v3
	v_rndne_f32_e32 v12, v3
	v_dual_fmac_f32 v8, 0xb2a5705f, v1 :: v_dual_sub_f32 v3, v3, v12
	s_delay_alu instid0(VALU_DEP_1) | instskip(SKIP_1) | instid1(VALU_DEP_2)
	v_add_f32_e32 v3, v3, v8
	v_cvt_i32_f32_e32 v8, v12
	v_exp_f32_e32 v3, v3
	s_waitcnt_depctr 0xfff
	v_ldexp_f32 v3, v3, v8
	s_delay_alu instid0(VALU_DEP_1) | instskip(SKIP_1) | instid1(VALU_DEP_2)
	v_cndmask_b32_e32 v3, 0, v3, vcc_lo
	v_cmp_ngt_f32_e32 vcc_lo, 0xc2b17218, v1
	v_cndmask_b32_e32 v1, 0x7f800000, v3, vcc_lo
	s_delay_alu instid0(VALU_DEP_1) | instskip(NEXT) | instid1(VALU_DEP_1)
	v_add_f32_e32 v1, 1.0, v1
	v_div_scale_f32 v3, null, v1, v1, 1.0
	v_div_scale_f32 v13, vcc_lo, 1.0, v1, 1.0
	s_delay_alu instid0(VALU_DEP_2) | instskip(SKIP_2) | instid1(VALU_DEP_1)
	v_rcp_f32_e32 v8, v3
	s_waitcnt_depctr 0xfff
	v_fma_f32 v12, -v3, v8, 1.0
	v_fmac_f32_e32 v8, v12, v8
	s_delay_alu instid0(VALU_DEP_1) | instskip(NEXT) | instid1(VALU_DEP_1)
	v_mul_f32_e32 v12, v13, v8
	v_fma_f32 v14, -v3, v12, v13
	s_delay_alu instid0(VALU_DEP_1) | instskip(NEXT) | instid1(VALU_DEP_1)
	v_fmac_f32_e32 v12, v14, v8
	v_fma_f32 v3, -v3, v12, v13
	s_delay_alu instid0(VALU_DEP_1) | instskip(NEXT) | instid1(VALU_DEP_1)
	v_div_fmas_f32 v3, v3, v8, v12
	v_div_fixup_f32 v1, v3, v1, 1.0
	global_store_b32 v[6:7], v1, off offset:12
	global_load_b32 v1, v[4:5], off offset:20
	s_waitcnt vmcnt(0)
	v_mul_f32_e32 v3, 0xbfb8aa3b, v1
	v_cmp_nlt_f32_e32 vcc_lo, 0x42ce8ed0, v1
	s_delay_alu instid0(VALU_DEP_2) | instskip(SKIP_1) | instid1(VALU_DEP_1)
	v_fma_f32 v8, 0xbfb8aa3b, v1, -v3
	v_rndne_f32_e32 v12, v3
	v_dual_fmac_f32 v8, 0xb2a5705f, v1 :: v_dual_sub_f32 v3, v3, v12
	s_delay_alu instid0(VALU_DEP_1) | instskip(SKIP_1) | instid1(VALU_DEP_2)
	v_add_f32_e32 v3, v3, v8
	v_cvt_i32_f32_e32 v8, v12
	v_exp_f32_e32 v3, v3
	s_waitcnt_depctr 0xfff
	v_ldexp_f32 v3, v3, v8
	s_delay_alu instid0(VALU_DEP_1) | instskip(SKIP_1) | instid1(VALU_DEP_2)
	v_cndmask_b32_e32 v3, 0, v3, vcc_lo
	v_cmp_ngt_f32_e32 vcc_lo, 0xc2b17218, v1
	v_cndmask_b32_e32 v1, 0x7f800000, v3, vcc_lo
	s_delay_alu instid0(VALU_DEP_1) | instskip(NEXT) | instid1(VALU_DEP_1)
	v_add_f32_e32 v1, 1.0, v1
	v_div_scale_f32 v3, null, v1, v1, 1.0
	v_div_scale_f32 v13, vcc_lo, 1.0, v1, 1.0
	s_delay_alu instid0(VALU_DEP_2) | instskip(SKIP_2) | instid1(VALU_DEP_1)
	v_rcp_f32_e32 v8, v3
	s_waitcnt_depctr 0xfff
	v_fma_f32 v12, -v3, v8, 1.0
	v_fmac_f32_e32 v8, v12, v8
	;; [unrolled: 37-line block ×4, first 2 shown]
	s_delay_alu instid0(VALU_DEP_1) | instskip(NEXT) | instid1(VALU_DEP_1)
	v_mul_f32_e32 v12, v13, v8
	v_fma_f32 v14, -v3, v12, v13
	s_delay_alu instid0(VALU_DEP_1) | instskip(NEXT) | instid1(VALU_DEP_1)
	v_fmac_f32_e32 v12, v14, v8
	v_fma_f32 v3, -v3, v12, v13
	s_delay_alu instid0(VALU_DEP_1) | instskip(NEXT) | instid1(VALU_DEP_1)
	v_div_fmas_f32 v3, v3, v8, v12
	v_div_fixup_f32 v1, v3, v1, 1.0
	global_store_b32 v[6:7], v1, off offset:24
	global_load_b32 v1, v[4:5], off offset:32
	s_waitcnt vmcnt(0)
	v_mul_f32_e32 v3, 0xbfb8aa3b, v1
	v_cmp_nlt_f32_e32 vcc_lo, 0x42ce8ed0, v1
	s_delay_alu instid0(VALU_DEP_2) | instskip(SKIP_1) | instid1(VALU_DEP_2)
	v_fma_f32 v4, 0xbfb8aa3b, v1, -v3
	v_rndne_f32_e32 v5, v3
	v_fmac_f32_e32 v4, 0xb2a5705f, v1
	s_delay_alu instid0(VALU_DEP_2) | instskip(NEXT) | instid1(VALU_DEP_1)
	v_sub_f32_e32 v3, v3, v5
	v_add_f32_e32 v3, v3, v4
	v_cvt_i32_f32_e32 v4, v5
	s_delay_alu instid0(VALU_DEP_2) | instskip(SKIP_2) | instid1(VALU_DEP_1)
	v_exp_f32_e32 v3, v3
	s_waitcnt_depctr 0xfff
	v_ldexp_f32 v3, v3, v4
	v_cndmask_b32_e32 v3, 0, v3, vcc_lo
	v_cmp_ngt_f32_e32 vcc_lo, 0xc2b17218, v1
	s_delay_alu instid0(VALU_DEP_2) | instskip(NEXT) | instid1(VALU_DEP_1)
	v_cndmask_b32_e32 v1, 0x7f800000, v3, vcc_lo
	v_add_f32_e32 v1, 1.0, v1
	s_delay_alu instid0(VALU_DEP_1) | instskip(SKIP_1) | instid1(VALU_DEP_2)
	v_div_scale_f32 v3, null, v1, v1, 1.0
	v_div_scale_f32 v8, vcc_lo, 1.0, v1, 1.0
	v_rcp_f32_e32 v4, v3
	s_waitcnt_depctr 0xfff
	v_fma_f32 v5, -v3, v4, 1.0
	s_delay_alu instid0(VALU_DEP_1) | instskip(NEXT) | instid1(VALU_DEP_1)
	v_fmac_f32_e32 v4, v5, v4
	v_mul_f32_e32 v5, v8, v4
	s_delay_alu instid0(VALU_DEP_1) | instskip(NEXT) | instid1(VALU_DEP_1)
	v_fma_f32 v12, -v3, v5, v8
	v_dual_fmac_f32 v5, v12, v4 :: v_dual_mov_b32 v12, 0
	s_delay_alu instid0(VALU_DEP_1) | instskip(NEXT) | instid1(VALU_DEP_1)
	v_fma_f32 v3, -v3, v5, v8
	v_div_fmas_f32 v3, v3, v4, v5
	s_delay_alu instid0(VALU_DEP_1)
	v_div_fixup_f32 v1, v3, v1, 1.0
	global_store_b32 v[6:7], v1, off offset:28
	s_cbranch_scc1 .LBB9_8
; %bb.5:
	v_sub_f32_e32 v12, v2, v2
	v_mul_lo_u32 v3, v11, s10
	s_load_b128 s[0:3], s[0:1], 0x20
	v_mul_lo_u32 v7, v11, s4
	s_cmp_lt_i32 s5, 1
	v_mul_f32_e32 v1, 0x3fb8aa3b, v12
	s_cselect_b32 s10, -1, 0
	s_cmp_gt_i32 s6, 0
	s_cselect_b32 s6, -1, 0
	s_delay_alu instid0(VALU_DEP_1)
	v_rndne_f32_e32 v5, v1
	v_fma_f32 v4, 0x3fb8aa3b, v12, -v1
	v_ashrrev_i32_e32 v8, 31, v7
	s_and_b32 s6, s10, s6
	s_sub_i32 s5, 0, s5
	v_sub_f32_e32 v6, v1, v5
	v_fmac_f32_e32 v4, 0x32a5705f, v12
	v_ashrrev_i32_e32 v1, 31, v0
	v_lshlrev_b64 v[7:8], 2, v[7:8]
	s_and_b32 s6, s14, s6
	s_cmp_eq_u32 s4, 1
	v_add_f32_e32 v4, v6, v4
	v_lshlrev_b64 v[14:15], 2, v[0:1]
	v_cvt_i32_f32_e32 v1, v5
	v_cndmask_b32_e64 v13, 1, s5, s6
	s_delay_alu instid0(VALU_DEP_4) | instskip(SKIP_1) | instid1(VALU_DEP_1)
	v_exp_f32_e32 v16, v4
	v_ashrrev_i32_e32 v4, 31, v3
	v_lshlrev_b64 v[5:6], 2, v[3:4]
	v_add_co_u32 v3, vcc_lo, s8, v14
	v_add_co_ci_u32_e32 v4, vcc_lo, s9, v15, vcc_lo
	s_waitcnt_depctr 0xfff
	v_ldexp_f32 v1, v16, v1
	v_cmp_ngt_f32_e32 vcc_lo, 0xc2ce8ed0, v12
	s_delay_alu instid0(VALU_DEP_2)
	v_cndmask_b32_e32 v1, 0, v1, vcc_lo
	s_waitcnt lgkmcnt(0)
	v_add_co_u32 v14, vcc_lo, s0, v5
	v_add_co_ci_u32_e32 v15, vcc_lo, s1, v6, vcc_lo
	v_cmp_nlt_f32_e32 vcc_lo, 0x42b17218, v12
	v_cndmask_b32_e32 v12, 0x7f800000, v1, vcc_lo
	v_add_co_u32 v16, vcc_lo, s2, v7
	v_add_co_ci_u32_e32 v17, vcc_lo, s3, v8, vcc_lo
	global_store_b32 v[14:15], v13, off
	global_store_b32 v[3:4], v12, off
	;; [unrolled: 1-line block ×3, first 2 shown]
	s_cbranch_scc1 .LBB9_8
; %bb.6:
	v_sub_f32_e32 v11, 0xff800000, v2
	v_add_co_u32 v7, vcc_lo, v7, s2
	v_add_co_ci_u32_e32 v8, vcc_lo, s3, v8, vcc_lo
	s_delay_alu instid0(VALU_DEP_3) | instskip(SKIP_2) | instid1(VALU_DEP_3)
	v_mul_f32_e32 v1, 0x3fb8aa3b, v11
	v_add_co_u32 v5, vcc_lo, v5, s0
	v_add_co_ci_u32_e32 v6, vcc_lo, s1, v6, vcc_lo
	v_fma_f32 v2, 0x3fb8aa3b, v11, -v1
	v_rndne_f32_e32 v14, v1
	s_add_i32 s13, s13, s12
	s_add_i32 s0, s4, -1
	s_delay_alu instid0(VALU_DEP_1) | instskip(SKIP_1) | instid1(VALU_DEP_2)
	v_dual_fmac_f32 v2, 0x32a5705f, v11 :: v_dual_sub_f32 v1, v1, v14
	v_cvt_i32_f32_e32 v14, v14
	v_add_f32_e32 v1, v1, v2
	s_delay_alu instid0(VALU_DEP_1)
	v_exp_f32_e32 v15, v1
	v_add_co_u32 v1, vcc_lo, v3, 4
	v_add_co_ci_u32_e32 v2, vcc_lo, 0, v4, vcc_lo
	v_add_co_u32 v3, vcc_lo, v7, 4
	v_add_co_ci_u32_e32 v4, vcc_lo, 0, v8, vcc_lo
	v_cmp_ngt_f32_e32 vcc_lo, 0xc2ce8ed0, v11
	s_waitcnt_depctr 0xfff
	v_ldexp_f32 v14, v15, v14
	v_add3_u32 v8, s13, v10, v9
	s_delay_alu instid0(VALU_DEP_2) | instskip(SKIP_3) | instid1(VALU_DEP_4)
	v_cndmask_b32_e32 v7, 0, v14, vcc_lo
	v_add_co_u32 v5, vcc_lo, v5, 4
	v_add_co_ci_u32_e32 v6, vcc_lo, 0, v6, vcc_lo
	v_cmp_nlt_f32_e32 vcc_lo, 0x42b17218, v11
	v_cndmask_b32_e32 v7, 0x7f800000, v7, vcc_lo
	.p2align	6
.LBB9_7:                                ; =>This Inner Loop Header: Depth=1
	global_store_b32 v[1:2], v7, off
	global_store_b32 v[5:6], v13, off
	;; [unrolled: 1-line block ×3, first 2 shown]
	v_add_co_u32 v3, vcc_lo, v3, 4
	v_add_co_ci_u32_e32 v4, vcc_lo, 0, v4, vcc_lo
	v_add_co_u32 v5, vcc_lo, v5, 4
	v_add_co_ci_u32_e32 v6, vcc_lo, 0, v6, vcc_lo
	v_add_co_u32 v1, vcc_lo, v1, 4
	v_add_f32_e32 v12, v12, v7
	v_add_co_ci_u32_e32 v2, vcc_lo, 0, v2, vcc_lo
	v_add_nc_u32_e32 v8, s12, v8
	s_add_i32 s0, s0, -1
	s_delay_alu instid0(SALU_CYCLE_1)
	s_cmp_eq_u32 s0, 0
	s_cbranch_scc0 .LBB9_7
.LBB9_8:
	v_cmp_neq_f32_e32 vcc_lo, 0, v12
	s_and_b32 exec_lo, exec_lo, vcc_lo
	s_cbranch_execz .LBB9_12
; %bb.9:
	s_and_not1_b32 vcc_lo, exec_lo, s7
	s_cbranch_vccnz .LBB9_12
; %bb.10:
	v_div_scale_f32 v1, null, v12, v12, 1.0
	v_div_scale_f32 v4, vcc_lo, 1.0, v12, 1.0
	s_delay_alu instid0(VALU_DEP_2) | instskip(SKIP_2) | instid1(VALU_DEP_1)
	v_rcp_f32_e32 v2, v1
	s_waitcnt_depctr 0xfff
	v_fma_f32 v3, -v1, v2, 1.0
	v_fmac_f32_e32 v2, v3, v2
	s_delay_alu instid0(VALU_DEP_1) | instskip(NEXT) | instid1(VALU_DEP_1)
	v_mul_f32_e32 v3, v4, v2
	v_fma_f32 v5, -v1, v3, v4
	s_delay_alu instid0(VALU_DEP_1) | instskip(NEXT) | instid1(VALU_DEP_1)
	v_fmac_f32_e32 v3, v5, v2
	v_fma_f32 v4, -v1, v3, v4
	v_ashrrev_i32_e32 v1, 31, v0
	s_delay_alu instid0(VALU_DEP_2) | instskip(NEXT) | instid1(VALU_DEP_2)
	v_div_fmas_f32 v2, v4, v2, v3
	v_lshlrev_b64 v[0:1], 2, v[0:1]
	s_delay_alu instid0(VALU_DEP_2) | instskip(NEXT) | instid1(VALU_DEP_2)
	v_div_fixup_f32 v2, v2, v12, 1.0
	v_add_co_u32 v0, vcc_lo, s8, v0
	s_delay_alu instid0(VALU_DEP_3)
	v_add_co_ci_u32_e32 v1, vcc_lo, s9, v1, vcc_lo
.LBB9_11:                               ; =>This Inner Loop Header: Depth=1
	global_load_b32 v3, v[0:1], off
	s_add_i32 s4, s4, -1
	s_delay_alu instid0(SALU_CYCLE_1)
	s_cmp_lg_u32 s4, 0
	s_waitcnt vmcnt(0)
	v_mul_f32_e32 v3, v2, v3
	global_store_b32 v[0:1], v3, off
	v_add_co_u32 v0, vcc_lo, v0, 4
	v_add_co_ci_u32_e32 v1, vcc_lo, 0, v1, vcc_lo
	s_cbranch_scc1 .LBB9_11
.LBB9_12:
	s_nop 0
	s_sendmsg sendmsg(MSG_DEALLOC_VGPRS)
	s_endpgm
	.section	.rodata,"a",@progbits
	.p2align	6, 0x0
	.amdhsa_kernel _ZN4vllm3moe17topkGatingSoftmaxIfLi1ELi1ELi8ELi4ELb1ELi8ELNS0_23SharedExpertScoringFuncE1EEEvPKT_PKbPfiPiS9_iiiiii
		.amdhsa_group_segment_fixed_size 0
		.amdhsa_private_segment_fixed_size 0
		.amdhsa_kernarg_size 72
		.amdhsa_user_sgpr_count 15
		.amdhsa_user_sgpr_dispatch_ptr 0
		.amdhsa_user_sgpr_queue_ptr 0
		.amdhsa_user_sgpr_kernarg_segment_ptr 1
		.amdhsa_user_sgpr_dispatch_id 0
		.amdhsa_user_sgpr_private_segment_size 0
		.amdhsa_wavefront_size32 1
		.amdhsa_uses_dynamic_stack 0
		.amdhsa_enable_private_segment 0
		.amdhsa_system_sgpr_workgroup_id_x 1
		.amdhsa_system_sgpr_workgroup_id_y 0
		.amdhsa_system_sgpr_workgroup_id_z 0
		.amdhsa_system_sgpr_workgroup_info 0
		.amdhsa_system_vgpr_workitem_id 1
		.amdhsa_next_free_vgpr 18
		.amdhsa_next_free_sgpr 16
		.amdhsa_reserve_vcc 1
		.amdhsa_float_round_mode_32 0
		.amdhsa_float_round_mode_16_64 0
		.amdhsa_float_denorm_mode_32 3
		.amdhsa_float_denorm_mode_16_64 3
		.amdhsa_dx10_clamp 1
		.amdhsa_ieee_mode 1
		.amdhsa_fp16_overflow 0
		.amdhsa_workgroup_processor_mode 1
		.amdhsa_memory_ordered 1
		.amdhsa_forward_progress 0
		.amdhsa_shared_vgpr_count 0
		.amdhsa_exception_fp_ieee_invalid_op 0
		.amdhsa_exception_fp_denorm_src 0
		.amdhsa_exception_fp_ieee_div_zero 0
		.amdhsa_exception_fp_ieee_overflow 0
		.amdhsa_exception_fp_ieee_underflow 0
		.amdhsa_exception_fp_ieee_inexact 0
		.amdhsa_exception_int_div_zero 0
	.end_amdhsa_kernel
	.section	.text._ZN4vllm3moe17topkGatingSoftmaxIfLi1ELi1ELi8ELi4ELb1ELi8ELNS0_23SharedExpertScoringFuncE1EEEvPKT_PKbPfiPiS9_iiiiii,"axG",@progbits,_ZN4vllm3moe17topkGatingSoftmaxIfLi1ELi1ELi8ELi4ELb1ELi8ELNS0_23SharedExpertScoringFuncE1EEEvPKT_PKbPfiPiS9_iiiiii,comdat
.Lfunc_end9:
	.size	_ZN4vllm3moe17topkGatingSoftmaxIfLi1ELi1ELi8ELi4ELb1ELi8ELNS0_23SharedExpertScoringFuncE1EEEvPKT_PKbPfiPiS9_iiiiii, .Lfunc_end9-_ZN4vllm3moe17topkGatingSoftmaxIfLi1ELi1ELi8ELi4ELb1ELi8ELNS0_23SharedExpertScoringFuncE1EEEvPKT_PKbPfiPiS9_iiiiii
                                        ; -- End function
	.section	.AMDGPU.csdata,"",@progbits
; Kernel info:
; codeLenInByte = 2808
; NumSgprs: 18
; NumVgprs: 18
; ScratchSize: 0
; MemoryBound: 0
; FloatMode: 240
; IeeeMode: 1
; LDSByteSize: 0 bytes/workgroup (compile time only)
; SGPRBlocks: 2
; VGPRBlocks: 2
; NumSGPRsForWavesPerEU: 18
; NumVGPRsForWavesPerEU: 18
; Occupancy: 16
; WaveLimiterHint : 0
; COMPUTE_PGM_RSRC2:SCRATCH_EN: 0
; COMPUTE_PGM_RSRC2:USER_SGPR: 15
; COMPUTE_PGM_RSRC2:TRAP_HANDLER: 0
; COMPUTE_PGM_RSRC2:TGID_X_EN: 1
; COMPUTE_PGM_RSRC2:TGID_Y_EN: 0
; COMPUTE_PGM_RSRC2:TGID_Z_EN: 0
; COMPUTE_PGM_RSRC2:TIDIG_COMP_CNT: 1
	.section	.text._ZN4vllm3moe17topkGatingSoftmaxIfLi1ELi1ELi8ELi4ELb0ELi8ELNS0_23SharedExpertScoringFuncE1EEEvPKT_PKbPfiPiS9_iiiiii,"axG",@progbits,_ZN4vllm3moe17topkGatingSoftmaxIfLi1ELi1ELi8ELi4ELb0ELi8ELNS0_23SharedExpertScoringFuncE1EEEvPKT_PKbPfiPiS9_iiiiii,comdat
	.protected	_ZN4vllm3moe17topkGatingSoftmaxIfLi1ELi1ELi8ELi4ELb0ELi8ELNS0_23SharedExpertScoringFuncE1EEEvPKT_PKbPfiPiS9_iiiiii ; -- Begin function _ZN4vllm3moe17topkGatingSoftmaxIfLi1ELi1ELi8ELi4ELb0ELi8ELNS0_23SharedExpertScoringFuncE1EEEvPKT_PKbPfiPiS9_iiiiii
	.globl	_ZN4vllm3moe17topkGatingSoftmaxIfLi1ELi1ELi8ELi4ELb0ELi8ELNS0_23SharedExpertScoringFuncE1EEEvPKT_PKbPfiPiS9_iiiiii
	.p2align	8
	.type	_ZN4vllm3moe17topkGatingSoftmaxIfLi1ELi1ELi8ELi4ELb0ELi8ELNS0_23SharedExpertScoringFuncE1EEEvPKT_PKbPfiPiS9_iiiiii,@function
_ZN4vllm3moe17topkGatingSoftmaxIfLi1ELi1ELi8ELi4ELb0ELi8ELNS0_23SharedExpertScoringFuncE1EEEvPKT_PKbPfiPiS9_iiiiii: ; @_ZN4vllm3moe17topkGatingSoftmaxIfLi1ELi1ELi8ELi4ELb0ELi8ELNS0_23SharedExpertScoringFuncE1EEEvPKT_PKbPfiPiS9_iiiiii
; %bb.0:
	s_load_b32 s12, s[0:1], 0x18
	v_bfe_u32 v1, v0, 10, 10
	v_and_b32_e32 v10, 0x3ff, v0
	s_lshl_b32 s13, s15, 8
	s_mov_b32 s2, exec_lo
	s_delay_alu instid0(VALU_DEP_2) | instskip(NEXT) | instid1(VALU_DEP_1)
	v_lshlrev_b32_e32 v9, 5, v1
	v_add3_u32 v11, v9, v10, s13
	s_waitcnt lgkmcnt(0)
	s_delay_alu instid0(VALU_DEP_1)
	v_cmpx_gt_i32_e64 s12, v11
	s_cbranch_execz .LBB10_13
; %bb.1:
	s_clause 0x1
	s_load_b128 s[4:7], s[0:1], 0x0
	s_load_b64 s[8:9], s[0:1], 0x10
	s_waitcnt lgkmcnt(0)
	s_cmp_eq_u64 s[6:7], 0
	s_cbranch_scc1 .LBB10_3
; %bb.2:
	v_ashrrev_i32_e32 v1, 31, v11
	v_add_co_u32 v0, vcc_lo, s6, v11
	s_delay_alu instid0(VALU_DEP_2) | instskip(SKIP_3) | instid1(VALU_DEP_1)
	v_add_co_ci_u32_e32 v1, vcc_lo, s7, v1, vcc_lo
	global_load_u8 v0, v[0:1], off
	s_waitcnt vmcnt(0)
	v_and_b32_e32 v0, 1, v0
	v_cmp_eq_u32_e32 vcc_lo, 1, v0
	s_xor_b32 s2, vcc_lo, -1
	s_delay_alu instid0(SALU_CYCLE_1)
	s_or_not1_b32 s14, s2, exec_lo
	s_branch .LBB10_4
.LBB10_3:
	s_mov_b32 s14, -1
.LBB10_4:
	s_load_b64 s[10:11], s[0:1], 0x40
	s_waitcnt lgkmcnt(0)
	v_mul_lo_u32 v0, v11, s11
	s_delay_alu instid0(VALU_DEP_1) | instskip(NEXT) | instid1(VALU_DEP_1)
	v_ashrrev_i32_e32 v1, 31, v0
	v_lshlrev_b64 v[0:1], 2, v[0:1]
	s_delay_alu instid0(VALU_DEP_1) | instskip(NEXT) | instid1(VALU_DEP_2)
	v_add_co_u32 v4, vcc_lo, s4, v0
	v_add_co_ci_u32_e32 v5, vcc_lo, s5, v1, vcc_lo
	s_load_b128 s[4:7], s[0:1], 0x30
	global_load_b64 v[2:3], v[4:5], off
	s_waitcnt lgkmcnt(0)
	s_cmp_gt_i32 s4, 0
	s_waitcnt vmcnt(0)
	v_mul_f32_e32 v0, 0xbfb8aa3b, v3
	v_cmp_nlt_f32_e32 vcc_lo, 0x42ce8ed0, v3
	s_delay_alu instid0(VALU_DEP_2) | instskip(SKIP_1) | instid1(VALU_DEP_1)
	v_fma_f32 v1, 0xbfb8aa3b, v3, -v0
	v_rndne_f32_e32 v6, v0
	v_dual_fmac_f32 v1, 0xb2a5705f, v3 :: v_dual_sub_f32 v0, v0, v6
	s_delay_alu instid0(VALU_DEP_1) | instskip(SKIP_1) | instid1(VALU_DEP_2)
	v_add_f32_e32 v0, v0, v1
	v_cvt_i32_f32_e32 v1, v6
	v_exp_f32_e32 v0, v0
	s_waitcnt_depctr 0xfff
	v_ldexp_f32 v0, v0, v1
	s_delay_alu instid0(VALU_DEP_1) | instskip(SKIP_1) | instid1(VALU_DEP_2)
	v_cndmask_b32_e32 v0, 0, v0, vcc_lo
	v_cmp_ngt_f32_e32 vcc_lo, 0xc2b17218, v3
	v_cndmask_b32_e32 v0, 0x7f800000, v0, vcc_lo
	s_delay_alu instid0(VALU_DEP_1) | instskip(NEXT) | instid1(VALU_DEP_1)
	v_add_f32_e32 v1, 1.0, v0
	v_div_scale_f32 v3, null, v1, v1, 1.0
	v_div_scale_f32 v12, vcc_lo, 1.0, v1, 1.0
	s_delay_alu instid0(VALU_DEP_2) | instskip(SKIP_2) | instid1(VALU_DEP_1)
	v_rcp_f32_e32 v8, v3
	s_waitcnt_depctr 0xfff
	v_fma_f32 v0, -v3, v8, 1.0
	v_fmac_f32_e32 v8, v0, v8
	v_mul_lo_u32 v0, v11, s7
	s_cselect_b32 s7, -1, 0
	s_cmp_lt_i32 s4, 1
	s_delay_alu instid0(VALU_DEP_2) | instskip(NEXT) | instid1(VALU_DEP_2)
	v_mul_f32_e32 v13, v12, v8
	v_add_nc_u32_e32 v6, s4, v0
	s_delay_alu instid0(VALU_DEP_2) | instskip(NEXT) | instid1(VALU_DEP_1)
	v_fma_f32 v7, -v3, v13, v12
	v_fmac_f32_e32 v13, v7, v8
	s_delay_alu instid0(VALU_DEP_3) | instskip(NEXT) | instid1(VALU_DEP_2)
	v_ashrrev_i32_e32 v7, 31, v6
	v_fma_f32 v3, -v3, v13, v12
	s_delay_alu instid0(VALU_DEP_2) | instskip(NEXT) | instid1(VALU_DEP_2)
	v_lshlrev_b64 v[6:7], 2, v[6:7]
	v_div_fmas_f32 v3, v3, v8, v13
	s_delay_alu instid0(VALU_DEP_2) | instskip(NEXT) | instid1(VALU_DEP_3)
	v_add_co_u32 v6, vcc_lo, s8, v6
	v_add_co_ci_u32_e32 v7, vcc_lo, s9, v7, vcc_lo
	s_delay_alu instid0(VALU_DEP_3)
	v_div_fixup_f32 v1, v3, v1, 1.0
	global_store_b32 v[6:7], v1, off
	global_load_b32 v1, v[4:5], off offset:8
	s_waitcnt vmcnt(0)
	v_mul_f32_e32 v3, 0xbfb8aa3b, v1
	v_cmp_nlt_f32_e32 vcc_lo, 0x42ce8ed0, v1
	s_delay_alu instid0(VALU_DEP_2) | instskip(SKIP_1) | instid1(VALU_DEP_1)
	v_fma_f32 v8, 0xbfb8aa3b, v1, -v3
	v_rndne_f32_e32 v12, v3
	v_dual_fmac_f32 v8, 0xb2a5705f, v1 :: v_dual_sub_f32 v3, v3, v12
	s_delay_alu instid0(VALU_DEP_1) | instskip(SKIP_1) | instid1(VALU_DEP_2)
	v_add_f32_e32 v3, v3, v8
	v_cvt_i32_f32_e32 v8, v12
	v_exp_f32_e32 v3, v3
	s_waitcnt_depctr 0xfff
	v_ldexp_f32 v3, v3, v8
	s_delay_alu instid0(VALU_DEP_1) | instskip(SKIP_1) | instid1(VALU_DEP_2)
	v_cndmask_b32_e32 v3, 0, v3, vcc_lo
	v_cmp_ngt_f32_e32 vcc_lo, 0xc2b17218, v1
	v_cndmask_b32_e32 v1, 0x7f800000, v3, vcc_lo
	s_delay_alu instid0(VALU_DEP_1) | instskip(NEXT) | instid1(VALU_DEP_1)
	v_add_f32_e32 v1, 1.0, v1
	v_div_scale_f32 v3, null, v1, v1, 1.0
	v_div_scale_f32 v13, vcc_lo, 1.0, v1, 1.0
	s_delay_alu instid0(VALU_DEP_2) | instskip(SKIP_2) | instid1(VALU_DEP_1)
	v_rcp_f32_e32 v8, v3
	s_waitcnt_depctr 0xfff
	v_fma_f32 v12, -v3, v8, 1.0
	v_fmac_f32_e32 v8, v12, v8
	s_delay_alu instid0(VALU_DEP_1) | instskip(NEXT) | instid1(VALU_DEP_1)
	v_mul_f32_e32 v12, v13, v8
	v_fma_f32 v14, -v3, v12, v13
	s_delay_alu instid0(VALU_DEP_1) | instskip(NEXT) | instid1(VALU_DEP_1)
	v_fmac_f32_e32 v12, v14, v8
	v_fma_f32 v3, -v3, v12, v13
	s_delay_alu instid0(VALU_DEP_1) | instskip(NEXT) | instid1(VALU_DEP_1)
	v_div_fmas_f32 v3, v3, v8, v12
	v_div_fixup_f32 v1, v3, v1, 1.0
	global_store_b32 v[6:7], v1, off offset:4
	global_load_b32 v1, v[4:5], off offset:12
	s_waitcnt vmcnt(0)
	v_mul_f32_e32 v3, 0xbfb8aa3b, v1
	v_cmp_nlt_f32_e32 vcc_lo, 0x42ce8ed0, v1
	s_delay_alu instid0(VALU_DEP_2) | instskip(SKIP_1) | instid1(VALU_DEP_1)
	v_fma_f32 v8, 0xbfb8aa3b, v1, -v3
	v_rndne_f32_e32 v12, v3
	v_dual_fmac_f32 v8, 0xb2a5705f, v1 :: v_dual_sub_f32 v3, v3, v12
	s_delay_alu instid0(VALU_DEP_1) | instskip(SKIP_1) | instid1(VALU_DEP_2)
	v_add_f32_e32 v3, v3, v8
	v_cvt_i32_f32_e32 v8, v12
	v_exp_f32_e32 v3, v3
	s_waitcnt_depctr 0xfff
	v_ldexp_f32 v3, v3, v8
	s_delay_alu instid0(VALU_DEP_1) | instskip(SKIP_1) | instid1(VALU_DEP_2)
	v_cndmask_b32_e32 v3, 0, v3, vcc_lo
	v_cmp_ngt_f32_e32 vcc_lo, 0xc2b17218, v1
	v_cndmask_b32_e32 v1, 0x7f800000, v3, vcc_lo
	s_delay_alu instid0(VALU_DEP_1) | instskip(NEXT) | instid1(VALU_DEP_1)
	v_add_f32_e32 v1, 1.0, v1
	v_div_scale_f32 v3, null, v1, v1, 1.0
	s_delay_alu instid0(VALU_DEP_1) | instskip(SKIP_2) | instid1(VALU_DEP_1)
	v_rcp_f32_e32 v8, v3
	s_waitcnt_depctr 0xfff
	v_fma_f32 v12, -v3, v8, 1.0
	v_fmac_f32_e32 v8, v12, v8
	v_div_scale_f32 v13, vcc_lo, 1.0, v1, 1.0
	s_delay_alu instid0(VALU_DEP_1) | instskip(NEXT) | instid1(VALU_DEP_1)
	v_mul_f32_e32 v12, v13, v8
	v_fma_f32 v14, -v3, v12, v13
	s_delay_alu instid0(VALU_DEP_1) | instskip(NEXT) | instid1(VALU_DEP_1)
	v_fmac_f32_e32 v12, v14, v8
	v_fma_f32 v3, -v3, v12, v13
	s_delay_alu instid0(VALU_DEP_1) | instskip(NEXT) | instid1(VALU_DEP_1)
	v_div_fmas_f32 v3, v3, v8, v12
	v_div_fixup_f32 v1, v3, v1, 1.0
	global_store_b32 v[6:7], v1, off offset:8
	global_load_b32 v1, v[4:5], off offset:16
	s_waitcnt vmcnt(0)
	v_mul_f32_e32 v3, 0xbfb8aa3b, v1
	v_cmp_nlt_f32_e32 vcc_lo, 0x42ce8ed0, v1
	s_delay_alu instid0(VALU_DEP_2) | instskip(SKIP_1) | instid1(VALU_DEP_1)
	v_fma_f32 v8, 0xbfb8aa3b, v1, -v3
	v_rndne_f32_e32 v12, v3
	v_dual_fmac_f32 v8, 0xb2a5705f, v1 :: v_dual_sub_f32 v3, v3, v12
	s_delay_alu instid0(VALU_DEP_1) | instskip(SKIP_1) | instid1(VALU_DEP_2)
	v_add_f32_e32 v3, v3, v8
	v_cvt_i32_f32_e32 v8, v12
	v_exp_f32_e32 v3, v3
	s_waitcnt_depctr 0xfff
	v_ldexp_f32 v3, v3, v8
	s_delay_alu instid0(VALU_DEP_1) | instskip(SKIP_1) | instid1(VALU_DEP_2)
	v_cndmask_b32_e32 v3, 0, v3, vcc_lo
	v_cmp_ngt_f32_e32 vcc_lo, 0xc2b17218, v1
	v_cndmask_b32_e32 v1, 0x7f800000, v3, vcc_lo
	s_delay_alu instid0(VALU_DEP_1) | instskip(NEXT) | instid1(VALU_DEP_1)
	v_add_f32_e32 v1, 1.0, v1
	v_div_scale_f32 v3, null, v1, v1, 1.0
	v_div_scale_f32 v13, vcc_lo, 1.0, v1, 1.0
	s_delay_alu instid0(VALU_DEP_2) | instskip(SKIP_2) | instid1(VALU_DEP_1)
	v_rcp_f32_e32 v8, v3
	s_waitcnt_depctr 0xfff
	v_fma_f32 v12, -v3, v8, 1.0
	v_fmac_f32_e32 v8, v12, v8
	s_delay_alu instid0(VALU_DEP_1) | instskip(NEXT) | instid1(VALU_DEP_1)
	v_mul_f32_e32 v12, v13, v8
	v_fma_f32 v14, -v3, v12, v13
	s_delay_alu instid0(VALU_DEP_1) | instskip(NEXT) | instid1(VALU_DEP_1)
	v_fmac_f32_e32 v12, v14, v8
	v_fma_f32 v3, -v3, v12, v13
	s_delay_alu instid0(VALU_DEP_1) | instskip(NEXT) | instid1(VALU_DEP_1)
	v_div_fmas_f32 v3, v3, v8, v12
	v_div_fixup_f32 v1, v3, v1, 1.0
	global_store_b32 v[6:7], v1, off offset:12
	global_load_b32 v1, v[4:5], off offset:20
	s_waitcnt vmcnt(0)
	v_mul_f32_e32 v3, 0xbfb8aa3b, v1
	v_cmp_nlt_f32_e32 vcc_lo, 0x42ce8ed0, v1
	s_delay_alu instid0(VALU_DEP_2) | instskip(SKIP_1) | instid1(VALU_DEP_1)
	v_fma_f32 v8, 0xbfb8aa3b, v1, -v3
	v_rndne_f32_e32 v12, v3
	v_dual_fmac_f32 v8, 0xb2a5705f, v1 :: v_dual_sub_f32 v3, v3, v12
	s_delay_alu instid0(VALU_DEP_1) | instskip(SKIP_1) | instid1(VALU_DEP_2)
	v_add_f32_e32 v3, v3, v8
	v_cvt_i32_f32_e32 v8, v12
	v_exp_f32_e32 v3, v3
	s_waitcnt_depctr 0xfff
	v_ldexp_f32 v3, v3, v8
	s_delay_alu instid0(VALU_DEP_1) | instskip(SKIP_1) | instid1(VALU_DEP_2)
	v_cndmask_b32_e32 v3, 0, v3, vcc_lo
	v_cmp_ngt_f32_e32 vcc_lo, 0xc2b17218, v1
	v_cndmask_b32_e32 v1, 0x7f800000, v3, vcc_lo
	s_delay_alu instid0(VALU_DEP_1) | instskip(NEXT) | instid1(VALU_DEP_1)
	v_add_f32_e32 v1, 1.0, v1
	v_div_scale_f32 v3, null, v1, v1, 1.0
	v_div_scale_f32 v13, vcc_lo, 1.0, v1, 1.0
	s_delay_alu instid0(VALU_DEP_2) | instskip(SKIP_2) | instid1(VALU_DEP_1)
	v_rcp_f32_e32 v8, v3
	s_waitcnt_depctr 0xfff
	v_fma_f32 v12, -v3, v8, 1.0
	v_fmac_f32_e32 v8, v12, v8
	;; [unrolled: 37-line block ×4, first 2 shown]
	s_delay_alu instid0(VALU_DEP_1) | instskip(NEXT) | instid1(VALU_DEP_1)
	v_mul_f32_e32 v12, v13, v8
	v_fma_f32 v14, -v3, v12, v13
	s_delay_alu instid0(VALU_DEP_1) | instskip(NEXT) | instid1(VALU_DEP_1)
	v_fmac_f32_e32 v12, v14, v8
	v_fma_f32 v3, -v3, v12, v13
	s_delay_alu instid0(VALU_DEP_1) | instskip(NEXT) | instid1(VALU_DEP_1)
	v_div_fmas_f32 v3, v3, v8, v12
	v_div_fixup_f32 v1, v3, v1, 1.0
	global_store_b32 v[6:7], v1, off offset:24
	global_load_b32 v1, v[4:5], off offset:32
	s_waitcnt vmcnt(0)
	v_mul_f32_e32 v3, 0xbfb8aa3b, v1
	v_cmp_nlt_f32_e32 vcc_lo, 0x42ce8ed0, v1
	s_delay_alu instid0(VALU_DEP_2) | instskip(SKIP_1) | instid1(VALU_DEP_2)
	v_fma_f32 v4, 0xbfb8aa3b, v1, -v3
	v_rndne_f32_e32 v5, v3
	v_fmac_f32_e32 v4, 0xb2a5705f, v1
	s_delay_alu instid0(VALU_DEP_2) | instskip(NEXT) | instid1(VALU_DEP_1)
	v_sub_f32_e32 v3, v3, v5
	v_add_f32_e32 v3, v3, v4
	v_cvt_i32_f32_e32 v4, v5
	s_delay_alu instid0(VALU_DEP_2) | instskip(SKIP_2) | instid1(VALU_DEP_1)
	v_exp_f32_e32 v3, v3
	s_waitcnt_depctr 0xfff
	v_ldexp_f32 v3, v3, v4
	v_cndmask_b32_e32 v3, 0, v3, vcc_lo
	v_cmp_ngt_f32_e32 vcc_lo, 0xc2b17218, v1
	s_delay_alu instid0(VALU_DEP_2) | instskip(NEXT) | instid1(VALU_DEP_1)
	v_cndmask_b32_e32 v1, 0x7f800000, v3, vcc_lo
	v_add_f32_e32 v1, 1.0, v1
	s_delay_alu instid0(VALU_DEP_1) | instskip(SKIP_1) | instid1(VALU_DEP_2)
	v_div_scale_f32 v3, null, v1, v1, 1.0
	v_div_scale_f32 v8, vcc_lo, 1.0, v1, 1.0
	v_rcp_f32_e32 v4, v3
	s_waitcnt_depctr 0xfff
	v_fma_f32 v5, -v3, v4, 1.0
	s_delay_alu instid0(VALU_DEP_1) | instskip(NEXT) | instid1(VALU_DEP_1)
	v_fmac_f32_e32 v4, v5, v4
	v_mul_f32_e32 v5, v8, v4
	s_delay_alu instid0(VALU_DEP_1) | instskip(NEXT) | instid1(VALU_DEP_1)
	v_fma_f32 v12, -v3, v5, v8
	v_fmac_f32_e32 v5, v12, v4
	s_delay_alu instid0(VALU_DEP_1) | instskip(NEXT) | instid1(VALU_DEP_1)
	v_fma_f32 v3, -v3, v5, v8
	v_div_fmas_f32 v3, v3, v4, v5
	s_delay_alu instid0(VALU_DEP_1)
	v_div_fixup_f32 v4, v3, v1, 1.0
	v_mov_b32_e32 v1, 0
	v_mov_b32_e32 v3, v2
	global_store_b32 v[6:7], v4, off offset:28
	s_cbranch_scc1 .LBB10_9
; %bb.5:
	v_sub_f32_e32 v15, v2, v2
	v_mul_lo_u32 v3, v11, s10
	s_load_b128 s[0:3], s[0:1], 0x20
	v_mul_lo_u32 v7, v11, s4
	s_cmp_lt_i32 s5, 1
	v_mul_f32_e32 v1, 0x3fb8aa3b, v15
	s_cselect_b32 s10, -1, 0
	s_cmp_gt_i32 s6, 0
	s_cselect_b32 s6, -1, 0
	s_delay_alu instid0(VALU_DEP_1) | instskip(NEXT) | instid1(VALU_DEP_3)
	v_rndne_f32_e32 v5, v1
	v_ashrrev_i32_e32 v8, 31, v7
	s_and_b32 s6, s10, s6
	s_sub_i32 s5, 0, s5
	s_and_b32 s6, s14, s6
	v_sub_f32_e32 v6, v1, v5
	v_fma_f32 v4, 0x3fb8aa3b, v15, -v1
	v_ashrrev_i32_e32 v1, 31, v0
	v_lshlrev_b64 v[7:8], 2, v[7:8]
	v_cndmask_b32_e64 v12, 1, s5, s6
	s_cmp_eq_u32 s4, 1
	v_fmac_f32_e32 v4, 0x32a5705f, v15
	v_lshlrev_b64 v[13:14], 2, v[0:1]
	v_cvt_i32_f32_e32 v1, v5
	s_delay_alu instid0(VALU_DEP_3) | instskip(NEXT) | instid1(VALU_DEP_1)
	v_add_f32_e32 v4, v6, v4
	v_exp_f32_e32 v16, v4
	v_ashrrev_i32_e32 v4, 31, v3
	s_delay_alu instid0(VALU_DEP_1)
	v_lshlrev_b64 v[5:6], 2, v[3:4]
	v_add_co_u32 v3, vcc_lo, s8, v13
	v_add_co_ci_u32_e32 v4, vcc_lo, s9, v14, vcc_lo
	s_waitcnt_depctr 0xfff
	v_ldexp_f32 v1, v16, v1
	v_cmp_ngt_f32_e32 vcc_lo, 0xc2ce8ed0, v15
	s_delay_alu instid0(VALU_DEP_2)
	v_cndmask_b32_e32 v1, 0, v1, vcc_lo
	s_waitcnt lgkmcnt(0)
	v_add_co_u32 v13, vcc_lo, s0, v5
	v_add_co_ci_u32_e32 v14, vcc_lo, s1, v6, vcc_lo
	v_cmp_nlt_f32_e32 vcc_lo, 0x42b17218, v15
	v_cndmask_b32_e32 v1, 0x7f800000, v1, vcc_lo
	v_add_co_u32 v15, vcc_lo, s2, v7
	v_add_co_ci_u32_e32 v16, vcc_lo, s3, v8, vcc_lo
	global_store_b32 v[13:14], v12, off
	global_store_b32 v[3:4], v1, off
	;; [unrolled: 1-line block ×3, first 2 shown]
	s_cbranch_scc1 .LBB10_8
; %bb.6:
	v_sub_f32_e32 v11, 0xff800000, v2
	v_add_co_u32 v7, vcc_lo, v7, s2
	v_add_co_ci_u32_e32 v8, vcc_lo, s3, v8, vcc_lo
	s_delay_alu instid0(VALU_DEP_3) | instskip(SKIP_1) | instid1(SALU_CYCLE_1)
	v_mul_f32_e32 v13, 0x3fb8aa3b, v11
	s_add_i32 s13, s13, s12
	v_add3_u32 v9, s13, v10, v9
	s_delay_alu instid0(VALU_DEP_2) | instskip(SKIP_1) | instid1(VALU_DEP_2)
	v_fma_f32 v14, 0x3fb8aa3b, v11, -v13
	v_rndne_f32_e32 v15, v13
	v_fmac_f32_e32 v14, 0x32a5705f, v11
	s_delay_alu instid0(VALU_DEP_2) | instskip(NEXT) | instid1(VALU_DEP_1)
	v_sub_f32_e32 v13, v13, v15
	v_add_f32_e32 v13, v13, v14
	v_add_co_u32 v14, vcc_lo, v5, s0
	v_cvt_i32_f32_e32 v5, v15
	v_add_co_ci_u32_e32 v16, vcc_lo, s1, v6, vcc_lo
	s_delay_alu instid0(VALU_DEP_4)
	v_exp_f32_e32 v13, v13
	v_add_co_u32 v3, vcc_lo, v3, 4
	v_add_co_ci_u32_e32 v4, vcc_lo, 0, v4, vcc_lo
	s_add_i32 s0, s4, -1
	s_waitcnt_depctr 0xfff
	v_ldexp_f32 v13, v13, v5
	v_add_co_u32 v5, vcc_lo, v7, 4
	v_add_co_ci_u32_e32 v6, vcc_lo, 0, v8, vcc_lo
	v_cmp_ngt_f32_e32 vcc_lo, 0xc2ce8ed0, v11
	s_delay_alu instid0(VALU_DEP_4) | instskip(SKIP_3) | instid1(VALU_DEP_4)
	v_cndmask_b32_e32 v13, 0, v13, vcc_lo
	v_add_co_u32 v7, vcc_lo, v14, 4
	v_add_co_ci_u32_e32 v8, vcc_lo, 0, v16, vcc_lo
	v_cmp_nlt_f32_e32 vcc_lo, 0x42b17218, v11
	v_cndmask_b32_e32 v11, 0x7f800000, v13, vcc_lo
	.p2align	6
.LBB10_7:                               ; =>This Inner Loop Header: Depth=1
	global_store_b32 v[3:4], v11, off
	global_store_b32 v[7:8], v12, off
	;; [unrolled: 1-line block ×3, first 2 shown]
	v_add_co_u32 v5, vcc_lo, v5, 4
	v_add_co_ci_u32_e32 v6, vcc_lo, 0, v6, vcc_lo
	v_add_co_u32 v7, vcc_lo, v7, 4
	v_add_co_ci_u32_e32 v8, vcc_lo, 0, v8, vcc_lo
	v_add_co_u32 v3, vcc_lo, v3, 4
	v_add_f32_e32 v1, v1, v11
	v_add_co_ci_u32_e32 v4, vcc_lo, 0, v4, vcc_lo
	v_add_nc_u32_e32 v9, s12, v9
	s_add_i32 s0, s0, -1
	s_delay_alu instid0(SALU_CYCLE_1)
	s_cmp_eq_u32 s0, 0
	s_cbranch_scc0 .LBB10_7
.LBB10_8:
	v_mov_b32_e32 v3, 0xff800000
.LBB10_9:
	s_delay_alu instid0(VALU_DEP_1) | instskip(NEXT) | instid1(VALU_DEP_1)
	v_sub_f32_e32 v2, v3, v2
	v_mul_f32_e32 v3, 0x3fb8aa3b, v2
	v_cmp_ngt_f32_e32 vcc_lo, 0xc2ce8ed0, v2
	s_delay_alu instid0(VALU_DEP_2) | instskip(SKIP_1) | instid1(VALU_DEP_1)
	v_fma_f32 v4, 0x3fb8aa3b, v2, -v3
	v_rndne_f32_e32 v5, v3
	v_dual_fmamk_f32 v4, v2, 0x32a5705f, v4 :: v_dual_sub_f32 v3, v3, v5
	s_delay_alu instid0(VALU_DEP_1) | instskip(SKIP_1) | instid1(VALU_DEP_2)
	v_add_f32_e32 v3, v3, v4
	v_cvt_i32_f32_e32 v4, v5
	v_exp_f32_e32 v3, v3
	s_waitcnt_depctr 0xfff
	v_ldexp_f32 v3, v3, v4
	s_delay_alu instid0(VALU_DEP_1) | instskip(SKIP_1) | instid1(VALU_DEP_2)
	v_cndmask_b32_e32 v3, 0, v3, vcc_lo
	v_cmp_nlt_f32_e32 vcc_lo, 0x42b17218, v2
	v_cndmask_b32_e32 v2, 0x7f800000, v3, vcc_lo
	s_delay_alu instid0(VALU_DEP_1) | instskip(NEXT) | instid1(VALU_DEP_1)
	v_add_f32_e32 v2, v1, v2
	v_cmp_neq_f32_e32 vcc_lo, 0, v2
	s_and_b32 exec_lo, exec_lo, vcc_lo
	s_cbranch_execz .LBB10_13
; %bb.10:
	s_and_not1_b32 vcc_lo, exec_lo, s7
	s_cbranch_vccnz .LBB10_13
; %bb.11:
	v_div_scale_f32 v1, null, v2, v2, 1.0
	v_div_scale_f32 v5, vcc_lo, 1.0, v2, 1.0
	s_delay_alu instid0(VALU_DEP_2) | instskip(SKIP_2) | instid1(VALU_DEP_1)
	v_rcp_f32_e32 v3, v1
	s_waitcnt_depctr 0xfff
	v_fma_f32 v4, -v1, v3, 1.0
	v_fmac_f32_e32 v3, v4, v3
	s_delay_alu instid0(VALU_DEP_1) | instskip(NEXT) | instid1(VALU_DEP_1)
	v_mul_f32_e32 v4, v5, v3
	v_fma_f32 v6, -v1, v4, v5
	s_delay_alu instid0(VALU_DEP_1) | instskip(NEXT) | instid1(VALU_DEP_1)
	v_fmac_f32_e32 v4, v6, v3
	v_fma_f32 v5, -v1, v4, v5
	v_ashrrev_i32_e32 v1, 31, v0
	s_delay_alu instid0(VALU_DEP_2) | instskip(NEXT) | instid1(VALU_DEP_2)
	v_div_fmas_f32 v3, v5, v3, v4
	v_lshlrev_b64 v[0:1], 2, v[0:1]
	s_delay_alu instid0(VALU_DEP_2) | instskip(NEXT) | instid1(VALU_DEP_2)
	v_div_fixup_f32 v2, v3, v2, 1.0
	v_add_co_u32 v0, vcc_lo, s8, v0
	s_delay_alu instid0(VALU_DEP_3)
	v_add_co_ci_u32_e32 v1, vcc_lo, s9, v1, vcc_lo
.LBB10_12:                              ; =>This Inner Loop Header: Depth=1
	global_load_b32 v3, v[0:1], off
	s_add_i32 s4, s4, -1
	s_delay_alu instid0(SALU_CYCLE_1)
	s_cmp_lg_u32 s4, 0
	s_waitcnt vmcnt(0)
	v_mul_f32_e32 v3, v2, v3
	global_store_b32 v[0:1], v3, off
	v_add_co_u32 v0, vcc_lo, v0, 4
	v_add_co_ci_u32_e32 v1, vcc_lo, 0, v1, vcc_lo
	s_cbranch_scc1 .LBB10_12
.LBB10_13:
	s_nop 0
	s_sendmsg sendmsg(MSG_DEALLOC_VGPRS)
	s_endpgm
	.section	.rodata,"a",@progbits
	.p2align	6, 0x0
	.amdhsa_kernel _ZN4vllm3moe17topkGatingSoftmaxIfLi1ELi1ELi8ELi4ELb0ELi8ELNS0_23SharedExpertScoringFuncE1EEEvPKT_PKbPfiPiS9_iiiiii
		.amdhsa_group_segment_fixed_size 0
		.amdhsa_private_segment_fixed_size 0
		.amdhsa_kernarg_size 72
		.amdhsa_user_sgpr_count 15
		.amdhsa_user_sgpr_dispatch_ptr 0
		.amdhsa_user_sgpr_queue_ptr 0
		.amdhsa_user_sgpr_kernarg_segment_ptr 1
		.amdhsa_user_sgpr_dispatch_id 0
		.amdhsa_user_sgpr_private_segment_size 0
		.amdhsa_wavefront_size32 1
		.amdhsa_uses_dynamic_stack 0
		.amdhsa_enable_private_segment 0
		.amdhsa_system_sgpr_workgroup_id_x 1
		.amdhsa_system_sgpr_workgroup_id_y 0
		.amdhsa_system_sgpr_workgroup_id_z 0
		.amdhsa_system_sgpr_workgroup_info 0
		.amdhsa_system_vgpr_workitem_id 1
		.amdhsa_next_free_vgpr 17
		.amdhsa_next_free_sgpr 16
		.amdhsa_reserve_vcc 1
		.amdhsa_float_round_mode_32 0
		.amdhsa_float_round_mode_16_64 0
		.amdhsa_float_denorm_mode_32 3
		.amdhsa_float_denorm_mode_16_64 3
		.amdhsa_dx10_clamp 1
		.amdhsa_ieee_mode 1
		.amdhsa_fp16_overflow 0
		.amdhsa_workgroup_processor_mode 1
		.amdhsa_memory_ordered 1
		.amdhsa_forward_progress 0
		.amdhsa_shared_vgpr_count 0
		.amdhsa_exception_fp_ieee_invalid_op 0
		.amdhsa_exception_fp_denorm_src 0
		.amdhsa_exception_fp_ieee_div_zero 0
		.amdhsa_exception_fp_ieee_overflow 0
		.amdhsa_exception_fp_ieee_underflow 0
		.amdhsa_exception_fp_ieee_inexact 0
		.amdhsa_exception_int_div_zero 0
	.end_amdhsa_kernel
	.section	.text._ZN4vllm3moe17topkGatingSoftmaxIfLi1ELi1ELi8ELi4ELb0ELi8ELNS0_23SharedExpertScoringFuncE1EEEvPKT_PKbPfiPiS9_iiiiii,"axG",@progbits,_ZN4vllm3moe17topkGatingSoftmaxIfLi1ELi1ELi8ELi4ELb0ELi8ELNS0_23SharedExpertScoringFuncE1EEEvPKT_PKbPfiPiS9_iiiiii,comdat
.Lfunc_end10:
	.size	_ZN4vllm3moe17topkGatingSoftmaxIfLi1ELi1ELi8ELi4ELb0ELi8ELNS0_23SharedExpertScoringFuncE1EEEvPKT_PKbPfiPiS9_iiiiii, .Lfunc_end10-_ZN4vllm3moe17topkGatingSoftmaxIfLi1ELi1ELi8ELi4ELb0ELi8ELNS0_23SharedExpertScoringFuncE1EEEvPKT_PKbPfiPiS9_iiiiii
                                        ; -- End function
	.section	.AMDGPU.csdata,"",@progbits
; Kernel info:
; codeLenInByte = 2944
; NumSgprs: 18
; NumVgprs: 17
; ScratchSize: 0
; MemoryBound: 0
; FloatMode: 240
; IeeeMode: 1
; LDSByteSize: 0 bytes/workgroup (compile time only)
; SGPRBlocks: 2
; VGPRBlocks: 2
; NumSGPRsForWavesPerEU: 18
; NumVGPRsForWavesPerEU: 17
; Occupancy: 16
; WaveLimiterHint : 0
; COMPUTE_PGM_RSRC2:SCRATCH_EN: 0
; COMPUTE_PGM_RSRC2:USER_SGPR: 15
; COMPUTE_PGM_RSRC2:TRAP_HANDLER: 0
; COMPUTE_PGM_RSRC2:TGID_X_EN: 1
; COMPUTE_PGM_RSRC2:TGID_Y_EN: 0
; COMPUTE_PGM_RSRC2:TGID_Z_EN: 0
; COMPUTE_PGM_RSRC2:TIDIG_COMP_CNT: 1
	.section	.text._ZN4vllm3moe17topkGatingSoftmaxIfLi2ELi2ELi8ELi8ELb1ELi0ELNS0_23SharedExpertScoringFuncE0EEEvPKT_PKbPfiPiS9_iiiiii,"axG",@progbits,_ZN4vllm3moe17topkGatingSoftmaxIfLi2ELi2ELi8ELi8ELb1ELi0ELNS0_23SharedExpertScoringFuncE0EEEvPKT_PKbPfiPiS9_iiiiii,comdat
	.protected	_ZN4vllm3moe17topkGatingSoftmaxIfLi2ELi2ELi8ELi8ELb1ELi0ELNS0_23SharedExpertScoringFuncE0EEEvPKT_PKbPfiPiS9_iiiiii ; -- Begin function _ZN4vllm3moe17topkGatingSoftmaxIfLi2ELi2ELi8ELi8ELb1ELi0ELNS0_23SharedExpertScoringFuncE0EEEvPKT_PKbPfiPiS9_iiiiii
	.globl	_ZN4vllm3moe17topkGatingSoftmaxIfLi2ELi2ELi8ELi8ELb1ELi0ELNS0_23SharedExpertScoringFuncE0EEEvPKT_PKbPfiPiS9_iiiiii
	.p2align	8
	.type	_ZN4vllm3moe17topkGatingSoftmaxIfLi2ELi2ELi8ELi8ELb1ELi0ELNS0_23SharedExpertScoringFuncE0EEEvPKT_PKbPfiPiS9_iiiiii,@function
_ZN4vllm3moe17topkGatingSoftmaxIfLi2ELi2ELi8ELi8ELb1ELi0ELNS0_23SharedExpertScoringFuncE0EEEvPKT_PKbPfiPiS9_iiiiii: ; @_ZN4vllm3moe17topkGatingSoftmaxIfLi2ELi2ELi8ELi8ELb1ELi0ELNS0_23SharedExpertScoringFuncE0EEEvPKT_PKbPfiPiS9_iiiiii
; %bb.0:
	s_load_b32 s3, s[0:1], 0x18
	v_bfe_u32 v1, v0, 10, 10
	v_and_b32_e32 v12, 0x3ff, v0
	s_lshl_b32 s18, s15, 8
	s_mov_b32 s2, exec_lo
	s_delay_alu instid0(VALU_DEP_2) | instskip(NEXT) | instid1(VALU_DEP_1)
	v_lshlrev_b32_e32 v11, 5, v1
	v_add3_u32 v8, v11, v12, s18
	s_waitcnt lgkmcnt(0)
	s_delay_alu instid0(VALU_DEP_1)
	v_cmpx_gt_i32_e64 s3, v8
	s_cbranch_execz .LBB11_13
; %bb.1:
	s_clause 0x1
	s_load_b128 s[12:15], s[0:1], 0x0
	s_load_b64 s[16:17], s[0:1], 0x10
	s_waitcnt lgkmcnt(0)
	s_cmp_eq_u64 s[14:15], 0
	s_cbranch_scc1 .LBB11_3
; %bb.2:
	v_ashrrev_i32_e32 v1, 31, v8
	v_add_co_u32 v0, vcc_lo, s14, v8
	s_delay_alu instid0(VALU_DEP_2) | instskip(SKIP_3) | instid1(VALU_DEP_1)
	v_add_co_ci_u32_e32 v1, vcc_lo, s15, v1, vcc_lo
	global_load_u8 v0, v[0:1], off
	s_waitcnt vmcnt(0)
	v_and_b32_e32 v0, 1, v0
	v_cmp_eq_u32_e32 vcc_lo, 1, v0
	s_xor_b32 s2, vcc_lo, -1
	s_delay_alu instid0(SALU_CYCLE_1)
	s_or_not1_b32 s15, s2, exec_lo
	s_branch .LBB11_4
.LBB11_3:
	s_mov_b32 s15, -1
.LBB11_4:
	s_load_b128 s[4:7], s[0:1], 0x30
	s_waitcnt lgkmcnt(0)
	s_cmp_gt_i32 s4, 0
	s_cselect_b32 s14, -1, 0
	s_cmp_lt_i32 s4, 1
	s_cbranch_scc1 .LBB11_9
; %bb.5:
	s_clause 0x1
	s_load_b64 s[20:21], s[0:1], 0x40
	s_load_b128 s[8:11], s[0:1], 0x20
	v_mul_lo_u32 v2, v8, s7
	v_mul_lo_u32 v4, v8, s4
	s_waitcnt lgkmcnt(0)
	v_mul_lo_u32 v0, v8, s21
	v_mul_lo_u32 v6, v8, s20
	s_delay_alu instid0(VALU_DEP_2) | instskip(NEXT) | instid1(VALU_DEP_1)
	v_ashrrev_i32_e32 v1, 31, v0
	v_lshlrev_b64 v[0:1], 2, v[0:1]
	s_delay_alu instid0(VALU_DEP_1) | instskip(NEXT) | instid1(VALU_DEP_2)
	v_add_co_u32 v0, vcc_lo, s12, v0
	v_add_co_ci_u32_e32 v1, vcc_lo, s13, v1, vcc_lo
	global_load_b64 v[0:1], v[0:1], off
	s_waitcnt vmcnt(0)
	v_cmp_lt_f32_e32 vcc_lo, v0, v1
	v_cndmask_b32_e32 v9, v0, v1, vcc_lo
	v_cndmask_b32_e64 v14, 0, 1, vcc_lo
	s_delay_alu instid0(VALU_DEP_2) | instskip(NEXT) | instid1(VALU_DEP_2)
	v_sub_f32_e32 v10, v9, v9
	v_cmp_le_i32_e64 s0, s5, v14
	v_cmp_gt_i32_e64 s1, s6, v14
	s_delay_alu instid0(VALU_DEP_3) | instskip(NEXT) | instid1(VALU_DEP_2)
	v_mul_f32_e32 v3, 0x3fb8aa3b, v10
	s_and_b32 s1, s0, s1
	v_cmp_ngt_f32_e64 s0, 0xc2ce8ed0, v10
	s_delay_alu instid0(VALU_DEP_2) | instskip(SKIP_1) | instid1(VALU_DEP_2)
	v_fma_f32 v5, 0x3fb8aa3b, v10, -v3
	v_rndne_f32_e32 v13, v3
	v_fmac_f32_e32 v5, 0x32a5705f, v10
	s_delay_alu instid0(VALU_DEP_2) | instskip(SKIP_2) | instid1(VALU_DEP_3)
	v_sub_f32_e32 v7, v3, v13
	v_ashrrev_i32_e32 v3, 31, v2
	v_cvt_i32_f32_e32 v13, v13
	v_add_f32_e32 v7, v7, v5
	s_delay_alu instid0(VALU_DEP_3) | instskip(SKIP_1) | instid1(VALU_DEP_3)
	v_lshlrev_b64 v[15:16], 2, v[2:3]
	v_ashrrev_i32_e32 v5, 31, v4
	v_exp_f32_e32 v17, v7
	v_ashrrev_i32_e32 v7, 31, v6
	s_delay_alu instid0(VALU_DEP_2) | instskip(NEXT) | instid1(VALU_DEP_4)
	v_lshlrev_b64 v[2:3], 2, v[4:5]
	v_add_co_u32 v4, s2, s16, v15
	s_delay_alu instid0(VALU_DEP_1) | instskip(NEXT) | instid1(VALU_DEP_4)
	v_add_co_ci_u32_e64 v5, s2, s17, v16, s2
	v_lshlrev_b64 v[6:7], 2, v[6:7]
	s_waitcnt_depctr 0xfff
	v_ldexp_f32 v13, v17, v13
	v_subrev_nc_u32_e32 v17, s5, v14
	s_delay_alu instid0(VALU_DEP_2) | instskip(SKIP_1) | instid1(VALU_DEP_1)
	v_cndmask_b32_e64 v13, 0, v13, s0
	v_add_co_u32 v15, s0, s8, v6
	v_add_co_ci_u32_e64 v16, s0, s9, v7, s0
	s_and_b32 s0, s15, s1
	s_cmp_eq_u32 s4, 1
	v_cndmask_b32_e64 v19, 2, v17, s0
	v_cmp_nlt_f32_e64 s0, 0x42b17218, v10
	s_delay_alu instid0(VALU_DEP_1) | instskip(SKIP_1) | instid1(VALU_DEP_1)
	v_cndmask_b32_e64 v10, 0x7f800000, v13, s0
	v_add_co_u32 v17, s0, s10, v2
	v_add_co_ci_u32_e64 v18, s0, s11, v3, s0
	global_store_b32 v[15:16], v19, off
	global_store_b32 v[4:5], v10, off
	;; [unrolled: 1-line block ×3, first 2 shown]
	s_cbranch_scc1 .LBB11_8
; %bb.6:
	v_cndmask_b32_e32 v13, 0xff800000, v0, vcc_lo
	v_cmp_ne_u32_e32 vcc_lo, 1, v14
	s_add_i32 s18, s18, s3
	s_add_i32 s1, s4, -1
	v_cndmask_b32_e32 v14, 0xff800000, v1, vcc_lo
	v_add_co_u32 v0, vcc_lo, v2, s10
	v_add_co_ci_u32_e32 v1, vcc_lo, s11, v3, vcc_lo
	v_add_co_u32 v2, vcc_lo, v6, s8
	v_add_co_ci_u32_e32 v3, vcc_lo, s9, v7, vcc_lo
	s_delay_alu instid0(VALU_DEP_4) | instskip(NEXT) | instid1(VALU_DEP_4)
	v_add_co_u32 v0, vcc_lo, v0, 4
	v_add_co_ci_u32_e32 v1, vcc_lo, 0, v1, vcc_lo
	s_delay_alu instid0(VALU_DEP_4) | instskip(NEXT) | instid1(VALU_DEP_4)
	v_add_co_u32 v2, vcc_lo, v2, 4
	v_add_co_ci_u32_e32 v3, vcc_lo, 0, v3, vcc_lo
	v_add_co_u32 v4, vcc_lo, v4, 4
	v_add_co_ci_u32_e32 v5, vcc_lo, 0, v5, vcc_lo
	v_add3_u32 v6, s18, v12, v11
.LBB11_7:                               ; =>This Inner Loop Header: Depth=1
	v_cmp_gt_f32_e32 vcc_lo, v14, v13
	s_add_i32 s1, s1, -1
	v_cndmask_b32_e64 v11, 0, 1, vcc_lo
	v_cndmask_b32_e32 v7, v13, v14, vcc_lo
	v_cndmask_b32_e64 v14, v14, 0xff800000, vcc_lo
	v_cndmask_b32_e32 v13, 0xff800000, v13, vcc_lo
	s_delay_alu instid0(VALU_DEP_4) | instskip(SKIP_3) | instid1(VALU_DEP_3)
	v_cmp_le_i32_e32 vcc_lo, s5, v11
	v_cmp_gt_i32_e64 s0, s6, v11
	v_subrev_nc_u32_e32 v11, s5, v11
	v_sub_f32_e32 v7, v7, v9
	s_and_b32 s0, vcc_lo, s0
	s_delay_alu instid0(SALU_CYCLE_1)
	s_and_b32 vcc_lo, s15, s0
	s_cmp_eq_u32 s1, 0
	v_cndmask_b32_e32 v11, 2, v11, vcc_lo
	global_store_b32 v[2:3], v11, off
	global_store_b32 v[0:1], v6, off
	v_add_nc_u32_e32 v6, s3, v6
	v_mul_f32_e32 v12, 0x3fb8aa3b, v7
	v_add_co_u32 v0, vcc_lo, v0, 4
	v_add_co_ci_u32_e32 v1, vcc_lo, 0, v1, vcc_lo
	s_delay_alu instid0(VALU_DEP_3) | instskip(SKIP_3) | instid1(VALU_DEP_3)
	v_fma_f32 v15, 0x3fb8aa3b, v7, -v12
	v_rndne_f32_e32 v16, v12
	v_add_co_u32 v2, vcc_lo, v2, 4
	v_add_co_ci_u32_e32 v3, vcc_lo, 0, v3, vcc_lo
	v_dual_fmac_f32 v15, 0x32a5705f, v7 :: v_dual_sub_f32 v12, v12, v16
	v_cvt_i32_f32_e32 v16, v16
	v_cmp_ngt_f32_e32 vcc_lo, 0xc2ce8ed0, v7
	s_delay_alu instid0(VALU_DEP_3) | instskip(NEXT) | instid1(VALU_DEP_1)
	v_add_f32_e32 v11, v12, v15
	v_exp_f32_e32 v11, v11
	s_waitcnt_depctr 0xfff
	v_ldexp_f32 v11, v11, v16
	s_delay_alu instid0(VALU_DEP_1) | instskip(SKIP_1) | instid1(VALU_DEP_2)
	v_cndmask_b32_e32 v11, 0, v11, vcc_lo
	v_cmp_nlt_f32_e32 vcc_lo, 0x42b17218, v7
	v_cndmask_b32_e32 v7, 0x7f800000, v11, vcc_lo
	global_store_b32 v[4:5], v7, off
	v_add_co_u32 v4, vcc_lo, v4, 4
	v_add_f32_e32 v10, v10, v7
	v_add_co_ci_u32_e32 v5, vcc_lo, 0, v5, vcc_lo
	s_cbranch_scc0 .LBB11_7
.LBB11_8:
	s_delay_alu instid0(VALU_DEP_2)
	v_cmp_neq_f32_e32 vcc_lo, 0, v10
	s_and_b32 exec_lo, exec_lo, vcc_lo
	s_cbranch_execnz .LBB11_10
	s_branch .LBB11_13
.LBB11_9:
	v_mov_b32_e32 v10, 0
	s_delay_alu instid0(VALU_DEP_1)
	v_cmp_neq_f32_e32 vcc_lo, 0, v10
	s_and_b32 exec_lo, exec_lo, vcc_lo
	s_cbranch_execz .LBB11_13
.LBB11_10:
	s_and_not1_b32 vcc_lo, exec_lo, s14
	s_cbranch_vccnz .LBB11_13
; %bb.11:
	v_div_scale_f32 v1, null, v10, v10, 1.0
	v_div_scale_f32 v3, vcc_lo, 1.0, v10, 1.0
	s_delay_alu instid0(VALU_DEP_2) | instskip(SKIP_2) | instid1(VALU_DEP_1)
	v_rcp_f32_e32 v2, v1
	s_waitcnt_depctr 0xfff
	v_fma_f32 v0, -v1, v2, 1.0
	v_fmac_f32_e32 v2, v0, v2
	v_mul_lo_u32 v0, v8, s7
	s_delay_alu instid0(VALU_DEP_2) | instskip(NEXT) | instid1(VALU_DEP_1)
	v_mul_f32_e32 v4, v3, v2
	v_fma_f32 v5, -v1, v4, v3
	s_delay_alu instid0(VALU_DEP_1) | instskip(NEXT) | instid1(VALU_DEP_1)
	v_fmac_f32_e32 v4, v5, v2
	v_fma_f32 v3, -v1, v4, v3
	v_ashrrev_i32_e32 v1, 31, v0
	s_delay_alu instid0(VALU_DEP_2) | instskip(NEXT) | instid1(VALU_DEP_2)
	v_div_fmas_f32 v2, v3, v2, v4
	v_lshlrev_b64 v[0:1], 2, v[0:1]
	s_delay_alu instid0(VALU_DEP_2) | instskip(NEXT) | instid1(VALU_DEP_2)
	v_div_fixup_f32 v2, v2, v10, 1.0
	v_add_co_u32 v0, vcc_lo, s16, v0
	s_delay_alu instid0(VALU_DEP_3)
	v_add_co_ci_u32_e32 v1, vcc_lo, s17, v1, vcc_lo
.LBB11_12:                              ; =>This Inner Loop Header: Depth=1
	global_load_b32 v3, v[0:1], off
	s_add_i32 s4, s4, -1
	s_delay_alu instid0(SALU_CYCLE_1)
	s_cmp_lg_u32 s4, 0
	s_waitcnt vmcnt(0)
	v_mul_f32_e32 v3, v2, v3
	global_store_b32 v[0:1], v3, off
	v_add_co_u32 v0, vcc_lo, v0, 4
	v_add_co_ci_u32_e32 v1, vcc_lo, 0, v1, vcc_lo
	s_cbranch_scc1 .LBB11_12
.LBB11_13:
	s_nop 0
	s_sendmsg sendmsg(MSG_DEALLOC_VGPRS)
	s_endpgm
	.section	.rodata,"a",@progbits
	.p2align	6, 0x0
	.amdhsa_kernel _ZN4vllm3moe17topkGatingSoftmaxIfLi2ELi2ELi8ELi8ELb1ELi0ELNS0_23SharedExpertScoringFuncE0EEEvPKT_PKbPfiPiS9_iiiiii
		.amdhsa_group_segment_fixed_size 0
		.amdhsa_private_segment_fixed_size 0
		.amdhsa_kernarg_size 72
		.amdhsa_user_sgpr_count 15
		.amdhsa_user_sgpr_dispatch_ptr 0
		.amdhsa_user_sgpr_queue_ptr 0
		.amdhsa_user_sgpr_kernarg_segment_ptr 1
		.amdhsa_user_sgpr_dispatch_id 0
		.amdhsa_user_sgpr_private_segment_size 0
		.amdhsa_wavefront_size32 1
		.amdhsa_uses_dynamic_stack 0
		.amdhsa_enable_private_segment 0
		.amdhsa_system_sgpr_workgroup_id_x 1
		.amdhsa_system_sgpr_workgroup_id_y 0
		.amdhsa_system_sgpr_workgroup_id_z 0
		.amdhsa_system_sgpr_workgroup_info 0
		.amdhsa_system_vgpr_workitem_id 1
		.amdhsa_next_free_vgpr 20
		.amdhsa_next_free_sgpr 22
		.amdhsa_reserve_vcc 1
		.amdhsa_float_round_mode_32 0
		.amdhsa_float_round_mode_16_64 0
		.amdhsa_float_denorm_mode_32 3
		.amdhsa_float_denorm_mode_16_64 3
		.amdhsa_dx10_clamp 1
		.amdhsa_ieee_mode 1
		.amdhsa_fp16_overflow 0
		.amdhsa_workgroup_processor_mode 1
		.amdhsa_memory_ordered 1
		.amdhsa_forward_progress 0
		.amdhsa_shared_vgpr_count 0
		.amdhsa_exception_fp_ieee_invalid_op 0
		.amdhsa_exception_fp_denorm_src 0
		.amdhsa_exception_fp_ieee_div_zero 0
		.amdhsa_exception_fp_ieee_overflow 0
		.amdhsa_exception_fp_ieee_underflow 0
		.amdhsa_exception_fp_ieee_inexact 0
		.amdhsa_exception_int_div_zero 0
	.end_amdhsa_kernel
	.section	.text._ZN4vllm3moe17topkGatingSoftmaxIfLi2ELi2ELi8ELi8ELb1ELi0ELNS0_23SharedExpertScoringFuncE0EEEvPKT_PKbPfiPiS9_iiiiii,"axG",@progbits,_ZN4vllm3moe17topkGatingSoftmaxIfLi2ELi2ELi8ELi8ELb1ELi0ELNS0_23SharedExpertScoringFuncE0EEEvPKT_PKbPfiPiS9_iiiiii,comdat
.Lfunc_end11:
	.size	_ZN4vllm3moe17topkGatingSoftmaxIfLi2ELi2ELi8ELi8ELb1ELi0ELNS0_23SharedExpertScoringFuncE0EEEvPKT_PKbPfiPiS9_iiiiii, .Lfunc_end11-_ZN4vllm3moe17topkGatingSoftmaxIfLi2ELi2ELi8ELi8ELb1ELi0ELNS0_23SharedExpertScoringFuncE0EEEvPKT_PKbPfiPiS9_iiiiii
                                        ; -- End function
	.section	.AMDGPU.csdata,"",@progbits
; Kernel info:
; codeLenInByte = 1204
; NumSgprs: 24
; NumVgprs: 20
; ScratchSize: 0
; MemoryBound: 0
; FloatMode: 240
; IeeeMode: 1
; LDSByteSize: 0 bytes/workgroup (compile time only)
; SGPRBlocks: 2
; VGPRBlocks: 2
; NumSGPRsForWavesPerEU: 24
; NumVGPRsForWavesPerEU: 20
; Occupancy: 16
; WaveLimiterHint : 0
; COMPUTE_PGM_RSRC2:SCRATCH_EN: 0
; COMPUTE_PGM_RSRC2:USER_SGPR: 15
; COMPUTE_PGM_RSRC2:TRAP_HANDLER: 0
; COMPUTE_PGM_RSRC2:TGID_X_EN: 1
; COMPUTE_PGM_RSRC2:TGID_Y_EN: 0
; COMPUTE_PGM_RSRC2:TGID_Z_EN: 0
; COMPUTE_PGM_RSRC2:TIDIG_COMP_CNT: 1
	.section	.text._ZN4vllm3moe17topkGatingSoftmaxIfLi2ELi2ELi8ELi8ELb0ELi0ELNS0_23SharedExpertScoringFuncE0EEEvPKT_PKbPfiPiS9_iiiiii,"axG",@progbits,_ZN4vllm3moe17topkGatingSoftmaxIfLi2ELi2ELi8ELi8ELb0ELi0ELNS0_23SharedExpertScoringFuncE0EEEvPKT_PKbPfiPiS9_iiiiii,comdat
	.protected	_ZN4vllm3moe17topkGatingSoftmaxIfLi2ELi2ELi8ELi8ELb0ELi0ELNS0_23SharedExpertScoringFuncE0EEEvPKT_PKbPfiPiS9_iiiiii ; -- Begin function _ZN4vllm3moe17topkGatingSoftmaxIfLi2ELi2ELi8ELi8ELb0ELi0ELNS0_23SharedExpertScoringFuncE0EEEvPKT_PKbPfiPiS9_iiiiii
	.globl	_ZN4vllm3moe17topkGatingSoftmaxIfLi2ELi2ELi8ELi8ELb0ELi0ELNS0_23SharedExpertScoringFuncE0EEEvPKT_PKbPfiPiS9_iiiiii
	.p2align	8
	.type	_ZN4vllm3moe17topkGatingSoftmaxIfLi2ELi2ELi8ELi8ELb0ELi0ELNS0_23SharedExpertScoringFuncE0EEEvPKT_PKbPfiPiS9_iiiiii,@function
_ZN4vllm3moe17topkGatingSoftmaxIfLi2ELi2ELi8ELi8ELb0ELi0ELNS0_23SharedExpertScoringFuncE0EEEvPKT_PKbPfiPiS9_iiiiii: ; @_ZN4vllm3moe17topkGatingSoftmaxIfLi2ELi2ELi8ELi8ELb0ELi0ELNS0_23SharedExpertScoringFuncE0EEEvPKT_PKbPfiPiS9_iiiiii
; %bb.0:
	s_load_b32 s14, s[0:1], 0x18
	v_bfe_u32 v1, v0, 10, 10
	v_and_b32_e32 v12, 0x3ff, v0
	s_lshl_b32 s16, s15, 8
	s_mov_b32 s2, exec_lo
	s_delay_alu instid0(VALU_DEP_2) | instskip(NEXT) | instid1(VALU_DEP_1)
	v_lshlrev_b32_e32 v11, 5, v1
	v_add3_u32 v8, v11, v12, s16
	s_waitcnt lgkmcnt(0)
	s_delay_alu instid0(VALU_DEP_1)
	v_cmpx_gt_i32_e64 s14, v8
	s_cbranch_execz .LBB12_13
; %bb.1:
	s_clause 0x1
	s_load_b128 s[4:7], s[0:1], 0x0
	s_load_b64 s[2:3], s[0:1], 0x10
	s_waitcnt lgkmcnt(0)
	s_cmp_eq_u64 s[6:7], 0
	s_cbranch_scc1 .LBB12_3
; %bb.2:
	v_ashrrev_i32_e32 v1, 31, v8
	v_add_co_u32 v0, vcc_lo, s6, v8
	s_delay_alu instid0(VALU_DEP_2) | instskip(SKIP_3) | instid1(VALU_DEP_1)
	v_add_co_ci_u32_e32 v1, vcc_lo, s7, v1, vcc_lo
	global_load_u8 v0, v[0:1], off
	s_waitcnt vmcnt(0)
	v_and_b32_e32 v0, 1, v0
	v_cmp_eq_u32_e32 vcc_lo, 1, v0
	s_xor_b32 s6, vcc_lo, -1
	s_delay_alu instid0(SALU_CYCLE_1)
	s_or_not1_b32 s15, s6, exec_lo
	s_branch .LBB12_4
.LBB12_3:
	s_mov_b32 s15, -1
.LBB12_4:
	s_load_b64 s[12:13], s[0:1], 0x40
	s_waitcnt lgkmcnt(0)
	v_mul_lo_u32 v0, v8, s13
	s_delay_alu instid0(VALU_DEP_1) | instskip(NEXT) | instid1(VALU_DEP_1)
	v_ashrrev_i32_e32 v1, 31, v0
	v_lshlrev_b64 v[0:1], 2, v[0:1]
	s_delay_alu instid0(VALU_DEP_1) | instskip(NEXT) | instid1(VALU_DEP_2)
	v_add_co_u32 v0, vcc_lo, s4, v0
	v_add_co_ci_u32_e32 v1, vcc_lo, s5, v1, vcc_lo
	s_load_b128 s[4:7], s[0:1], 0x30
	global_load_b64 v[0:1], v[0:1], off
	s_waitcnt lgkmcnt(0)
	s_cmp_gt_i32 s4, 0
	s_cselect_b32 s13, -1, 0
	s_cmp_lt_i32 s4, 1
	s_waitcnt vmcnt(0)
	v_cmp_lt_f32_e32 vcc_lo, v0, v1
	v_cndmask_b32_e32 v9, v0, v1, vcc_lo
	s_cbranch_scc1 .LBB12_8
; %bb.5:
	s_delay_alu instid0(VALU_DEP_1)
	v_sub_f32_e32 v10, v9, v9
	v_mul_lo_u32 v2, v8, s7
	s_load_b128 s[8:11], s[0:1], 0x20
	v_mul_lo_u32 v4, v8, s12
	v_cndmask_b32_e64 v17, 0, 1, vcc_lo
	v_mul_f32_e32 v3, 0x3fb8aa3b, v10
	v_mul_lo_u32 v6, v8, s4
	v_cndmask_b32_e32 v0, 0xff800000, v0, vcc_lo
	s_delay_alu instid0(VALU_DEP_4) | instskip(NEXT) | instid1(VALU_DEP_4)
	v_cmp_le_i32_e32 vcc_lo, s5, v17
	v_rndne_f32_e32 v15, v3
	v_cmp_gt_i32_e64 s0, s6, v17
	v_subrev_nc_u32_e32 v16, s5, v17
	s_delay_alu instid0(VALU_DEP_3)
	v_sub_f32_e32 v7, v3, v15
	v_fma_f32 v5, 0x3fb8aa3b, v10, -v3
	v_ashrrev_i32_e32 v3, 31, v2
	s_and_b32 s0, vcc_lo, s0
	v_cvt_i32_f32_e32 v15, v15
	s_and_b32 vcc_lo, s15, s0
	v_fmac_f32_e32 v5, 0x32a5705f, v10
	v_lshlrev_b64 v[13:14], 2, v[2:3]
	v_cndmask_b32_e32 v19, 2, v16, vcc_lo
	s_cmp_eq_u32 s4, 1
	s_delay_alu instid0(VALU_DEP_3) | instskip(SKIP_2) | instid1(VALU_DEP_3)
	v_add_f32_e32 v18, v7, v5
	v_ashrrev_i32_e32 v5, 31, v4
	v_ashrrev_i32_e32 v7, 31, v6
	v_exp_f32_e32 v18, v18
	s_delay_alu instid0(VALU_DEP_2) | instskip(NEXT) | instid1(VALU_DEP_2)
	v_lshlrev_b64 v[2:3], 2, v[4:5]
	v_lshlrev_b64 v[4:5], 2, v[6:7]
	v_add_co_u32 v6, vcc_lo, s2, v13
	v_add_co_ci_u32_e32 v7, vcc_lo, s3, v14, vcc_lo
	s_waitcnt lgkmcnt(0)
	s_delay_alu instid0(VALU_DEP_4) | instskip(SKIP_1) | instid1(TRANS32_DEP_1)
	v_add_co_u32 v13, vcc_lo, s8, v2
	v_add_co_ci_u32_e32 v14, vcc_lo, s9, v3, vcc_lo
	v_ldexp_f32 v15, v18, v15
	v_cmp_ngt_f32_e32 vcc_lo, 0xc2ce8ed0, v10
	s_delay_alu instid0(VALU_DEP_2) | instskip(SKIP_3) | instid1(VALU_DEP_4)
	v_cndmask_b32_e32 v18, 0, v15, vcc_lo
	v_add_co_u32 v15, vcc_lo, s10, v4
	v_add_co_ci_u32_e32 v16, vcc_lo, s11, v5, vcc_lo
	v_cmp_nlt_f32_e32 vcc_lo, 0x42b17218, v10
	v_cndmask_b32_e32 v10, 0x7f800000, v18, vcc_lo
	v_cmp_ne_u32_e32 vcc_lo, 1, v17
	global_store_b32 v[13:14], v19, off
	global_store_b32 v[6:7], v10, off
	;; [unrolled: 1-line block ×3, first 2 shown]
	v_cndmask_b32_e32 v1, 0xff800000, v1, vcc_lo
	s_cbranch_scc1 .LBB12_9
; %bb.6:
	v_add_co_u32 v4, vcc_lo, v4, s10
	v_add_co_ci_u32_e32 v5, vcc_lo, s11, v5, vcc_lo
	v_add_co_u32 v13, vcc_lo, v2, s8
	v_add_co_ci_u32_e32 v14, vcc_lo, s9, v3, vcc_lo
	s_delay_alu instid0(VALU_DEP_4) | instskip(NEXT) | instid1(VALU_DEP_4)
	v_add_co_u32 v2, vcc_lo, v4, 4
	v_add_co_ci_u32_e32 v3, vcc_lo, 0, v5, vcc_lo
	s_delay_alu instid0(VALU_DEP_4) | instskip(NEXT) | instid1(VALU_DEP_4)
	v_add_co_u32 v4, vcc_lo, v13, 4
	v_add_co_ci_u32_e32 v5, vcc_lo, 0, v14, vcc_lo
	s_add_i32 s16, s16, s14
	v_add_co_u32 v6, vcc_lo, v6, 4
	v_add_co_ci_u32_e32 v7, vcc_lo, 0, v7, vcc_lo
	v_add3_u32 v11, s16, v12, v11
	s_add_i32 s1, s4, -1
.LBB12_7:                               ; =>This Inner Loop Header: Depth=1
	v_cmp_gt_f32_e32 vcc_lo, v1, v0
	s_add_i32 s1, s1, -1
	v_cndmask_b32_e64 v13, 0, 1, vcc_lo
	v_cndmask_b32_e32 v12, v0, v1, vcc_lo
	v_cndmask_b32_e64 v1, v1, 0xff800000, vcc_lo
	v_cndmask_b32_e32 v0, 0xff800000, v0, vcc_lo
	s_delay_alu instid0(VALU_DEP_4) | instskip(SKIP_3) | instid1(VALU_DEP_3)
	v_cmp_le_i32_e32 vcc_lo, s5, v13
	v_cmp_gt_i32_e64 s0, s6, v13
	v_subrev_nc_u32_e32 v13, s5, v13
	v_sub_f32_e32 v12, v12, v9
	s_and_b32 s0, vcc_lo, s0
	s_delay_alu instid0(SALU_CYCLE_1)
	s_and_b32 vcc_lo, s15, s0
	s_cmp_eq_u32 s1, 0
	v_cndmask_b32_e32 v13, 2, v13, vcc_lo
	global_store_b32 v[4:5], v13, off
	global_store_b32 v[2:3], v11, off
	v_add_co_u32 v2, vcc_lo, v2, 4
	v_add_co_ci_u32_e32 v3, vcc_lo, 0, v3, vcc_lo
	v_add_co_u32 v4, vcc_lo, v4, 4
	v_add_co_ci_u32_e32 v5, vcc_lo, 0, v5, vcc_lo
	v_add_nc_u32_e32 v11, s14, v11
	v_cmp_ngt_f32_e32 vcc_lo, 0xc2ce8ed0, v12
	v_mul_f32_e32 v14, 0x3fb8aa3b, v12
	s_delay_alu instid0(VALU_DEP_1) | instskip(SKIP_1) | instid1(VALU_DEP_2)
	v_fma_f32 v15, 0x3fb8aa3b, v12, -v14
	v_rndne_f32_e32 v16, v14
	v_fmac_f32_e32 v15, 0x32a5705f, v12
	s_delay_alu instid0(VALU_DEP_2) | instskip(SKIP_1) | instid1(VALU_DEP_2)
	v_sub_f32_e32 v14, v14, v16
	v_cvt_i32_f32_e32 v16, v16
	v_add_f32_e32 v13, v14, v15
	s_delay_alu instid0(VALU_DEP_1) | instskip(SKIP_2) | instid1(VALU_DEP_1)
	v_exp_f32_e32 v13, v13
	s_waitcnt_depctr 0xfff
	v_ldexp_f32 v13, v13, v16
	v_cndmask_b32_e32 v13, 0, v13, vcc_lo
	v_cmp_nlt_f32_e32 vcc_lo, 0x42b17218, v12
	s_delay_alu instid0(VALU_DEP_2)
	v_cndmask_b32_e32 v12, 0x7f800000, v13, vcc_lo
	global_store_b32 v[6:7], v12, off
	v_add_co_u32 v6, vcc_lo, v6, 4
	v_add_f32_e32 v10, v10, v12
	v_add_co_ci_u32_e32 v7, vcc_lo, 0, v7, vcc_lo
	s_cbranch_scc0 .LBB12_7
	s_branch .LBB12_9
.LBB12_8:
	v_mov_b32_e32 v10, 0
.LBB12_9:
	s_delay_alu instid0(VALU_DEP_1) | instskip(NEXT) | instid1(VALU_DEP_1)
	v_sub_f32_e32 v1, v1, v9
	v_mul_f32_e32 v3, 0x3fb8aa3b, v1
	s_delay_alu instid0(VALU_DEP_1) | instskip(SKIP_2) | instid1(VALU_DEP_2)
	v_rndne_f32_e32 v7, v3
	v_sub_f32_e32 v0, v0, v9
	v_fma_f32 v6, 0x3fb8aa3b, v1, -v3
	v_dual_sub_f32 v3, v3, v7 :: v_dual_mul_f32 v2, 0x3fb8aa3b, v0
	s_delay_alu instid0(VALU_DEP_2) | instskip(SKIP_1) | instid1(VALU_DEP_3)
	v_fmac_f32_e32 v6, 0x32a5705f, v1
	v_cmp_ngt_f32_e32 vcc_lo, 0xc2ce8ed0, v0
	v_fma_f32 v4, 0x3fb8aa3b, v0, -v2
	v_rndne_f32_e32 v5, v2
	s_delay_alu instid0(VALU_DEP_2) | instskip(NEXT) | instid1(VALU_DEP_2)
	v_dual_add_f32 v3, v3, v6 :: v_dual_fmac_f32 v4, 0x32a5705f, v0
	v_sub_f32_e32 v2, v2, v5
	s_delay_alu instid0(VALU_DEP_2) | instskip(NEXT) | instid1(VALU_DEP_1)
	v_exp_f32_e32 v3, v3
	v_add_f32_e32 v2, v2, v4
	v_cvt_i32_f32_e32 v4, v5
	v_cvt_i32_f32_e32 v5, v7
	s_delay_alu instid0(VALU_DEP_3) | instskip(SKIP_3) | instid1(VALU_DEP_1)
	v_exp_f32_e32 v2, v2
	s_waitcnt_depctr 0xfff
	v_ldexp_f32 v3, v3, v5
	v_ldexp_f32 v2, v2, v4
	v_cndmask_b32_e32 v2, 0, v2, vcc_lo
	v_cmp_ngt_f32_e32 vcc_lo, 0xc2ce8ed0, v1
	s_delay_alu instid0(VALU_DEP_4) | instskip(SKIP_1) | instid1(VALU_DEP_4)
	v_cndmask_b32_e32 v3, 0, v3, vcc_lo
	v_cmp_nlt_f32_e32 vcc_lo, 0x42b17218, v0
	v_cndmask_b32_e32 v0, 0x7f800000, v2, vcc_lo
	v_cmp_nlt_f32_e32 vcc_lo, 0x42b17218, v1
	s_delay_alu instid0(VALU_DEP_4) | instskip(NEXT) | instid1(VALU_DEP_1)
	v_cndmask_b32_e32 v1, 0x7f800000, v3, vcc_lo
	v_add_f32_e32 v0, v0, v1
	s_delay_alu instid0(VALU_DEP_1) | instskip(NEXT) | instid1(VALU_DEP_1)
	v_add_f32_e32 v0, v10, v0
	v_cmp_neq_f32_e32 vcc_lo, 0, v0
	s_and_b32 exec_lo, exec_lo, vcc_lo
	s_cbranch_execz .LBB12_13
; %bb.10:
	s_and_not1_b32 vcc_lo, exec_lo, s13
	s_cbranch_vccnz .LBB12_13
; %bb.11:
	v_div_scale_f32 v2, null, v0, v0, 1.0
	v_div_scale_f32 v4, vcc_lo, 1.0, v0, 1.0
	s_delay_alu instid0(VALU_DEP_2) | instskip(SKIP_2) | instid1(VALU_DEP_1)
	v_rcp_f32_e32 v3, v2
	s_waitcnt_depctr 0xfff
	v_fma_f32 v1, -v2, v3, 1.0
	v_fmac_f32_e32 v3, v1, v3
	v_mul_lo_u32 v1, v8, s7
	s_delay_alu instid0(VALU_DEP_2) | instskip(NEXT) | instid1(VALU_DEP_1)
	v_mul_f32_e32 v5, v4, v3
	v_fma_f32 v6, -v2, v5, v4
	s_delay_alu instid0(VALU_DEP_1) | instskip(NEXT) | instid1(VALU_DEP_1)
	v_fmac_f32_e32 v5, v6, v3
	v_fma_f32 v4, -v2, v5, v4
	v_ashrrev_i32_e32 v2, 31, v1
	s_delay_alu instid0(VALU_DEP_2) | instskip(NEXT) | instid1(VALU_DEP_2)
	v_div_fmas_f32 v5, v4, v3, v5
	v_lshlrev_b64 v[3:4], 2, v[1:2]
	s_delay_alu instid0(VALU_DEP_2) | instskip(NEXT) | instid1(VALU_DEP_2)
	v_div_fixup_f32 v2, v5, v0, 1.0
	v_add_co_u32 v0, vcc_lo, s2, v3
	s_delay_alu instid0(VALU_DEP_3)
	v_add_co_ci_u32_e32 v1, vcc_lo, s3, v4, vcc_lo
.LBB12_12:                              ; =>This Inner Loop Header: Depth=1
	global_load_b32 v3, v[0:1], off
	s_add_i32 s4, s4, -1
	s_delay_alu instid0(SALU_CYCLE_1)
	s_cmp_lg_u32 s4, 0
	s_waitcnt vmcnt(0)
	v_mul_f32_e32 v3, v2, v3
	global_store_b32 v[0:1], v3, off
	v_add_co_u32 v0, vcc_lo, v0, 4
	v_add_co_ci_u32_e32 v1, vcc_lo, 0, v1, vcc_lo
	s_cbranch_scc1 .LBB12_12
.LBB12_13:
	s_nop 0
	s_sendmsg sendmsg(MSG_DEALLOC_VGPRS)
	s_endpgm
	.section	.rodata,"a",@progbits
	.p2align	6, 0x0
	.amdhsa_kernel _ZN4vllm3moe17topkGatingSoftmaxIfLi2ELi2ELi8ELi8ELb0ELi0ELNS0_23SharedExpertScoringFuncE0EEEvPKT_PKbPfiPiS9_iiiiii
		.amdhsa_group_segment_fixed_size 0
		.amdhsa_private_segment_fixed_size 0
		.amdhsa_kernarg_size 72
		.amdhsa_user_sgpr_count 15
		.amdhsa_user_sgpr_dispatch_ptr 0
		.amdhsa_user_sgpr_queue_ptr 0
		.amdhsa_user_sgpr_kernarg_segment_ptr 1
		.amdhsa_user_sgpr_dispatch_id 0
		.amdhsa_user_sgpr_private_segment_size 0
		.amdhsa_wavefront_size32 1
		.amdhsa_uses_dynamic_stack 0
		.amdhsa_enable_private_segment 0
		.amdhsa_system_sgpr_workgroup_id_x 1
		.amdhsa_system_sgpr_workgroup_id_y 0
		.amdhsa_system_sgpr_workgroup_id_z 0
		.amdhsa_system_sgpr_workgroup_info 0
		.amdhsa_system_vgpr_workitem_id 1
		.amdhsa_next_free_vgpr 20
		.amdhsa_next_free_sgpr 17
		.amdhsa_reserve_vcc 1
		.amdhsa_float_round_mode_32 0
		.amdhsa_float_round_mode_16_64 0
		.amdhsa_float_denorm_mode_32 3
		.amdhsa_float_denorm_mode_16_64 3
		.amdhsa_dx10_clamp 1
		.amdhsa_ieee_mode 1
		.amdhsa_fp16_overflow 0
		.amdhsa_workgroup_processor_mode 1
		.amdhsa_memory_ordered 1
		.amdhsa_forward_progress 0
		.amdhsa_shared_vgpr_count 0
		.amdhsa_exception_fp_ieee_invalid_op 0
		.amdhsa_exception_fp_denorm_src 0
		.amdhsa_exception_fp_ieee_div_zero 0
		.amdhsa_exception_fp_ieee_overflow 0
		.amdhsa_exception_fp_ieee_underflow 0
		.amdhsa_exception_fp_ieee_inexact 0
		.amdhsa_exception_int_div_zero 0
	.end_amdhsa_kernel
	.section	.text._ZN4vllm3moe17topkGatingSoftmaxIfLi2ELi2ELi8ELi8ELb0ELi0ELNS0_23SharedExpertScoringFuncE0EEEvPKT_PKbPfiPiS9_iiiiii,"axG",@progbits,_ZN4vllm3moe17topkGatingSoftmaxIfLi2ELi2ELi8ELi8ELb0ELi0ELNS0_23SharedExpertScoringFuncE0EEEvPKT_PKbPfiPiS9_iiiiii,comdat
.Lfunc_end12:
	.size	_ZN4vllm3moe17topkGatingSoftmaxIfLi2ELi2ELi8ELi8ELb0ELi0ELNS0_23SharedExpertScoringFuncE0EEEvPKT_PKbPfiPiS9_iiiiii, .Lfunc_end12-_ZN4vllm3moe17topkGatingSoftmaxIfLi2ELi2ELi8ELi8ELb0ELi0ELNS0_23SharedExpertScoringFuncE0EEEvPKT_PKbPfiPiS9_iiiiii
                                        ; -- End function
	.section	.AMDGPU.csdata,"",@progbits
; Kernel info:
; codeLenInByte = 1364
; NumSgprs: 19
; NumVgprs: 20
; ScratchSize: 0
; MemoryBound: 0
; FloatMode: 240
; IeeeMode: 1
; LDSByteSize: 0 bytes/workgroup (compile time only)
; SGPRBlocks: 2
; VGPRBlocks: 2
; NumSGPRsForWavesPerEU: 19
; NumVGPRsForWavesPerEU: 20
; Occupancy: 16
; WaveLimiterHint : 0
; COMPUTE_PGM_RSRC2:SCRATCH_EN: 0
; COMPUTE_PGM_RSRC2:USER_SGPR: 15
; COMPUTE_PGM_RSRC2:TRAP_HANDLER: 0
; COMPUTE_PGM_RSRC2:TGID_X_EN: 1
; COMPUTE_PGM_RSRC2:TGID_Y_EN: 0
; COMPUTE_PGM_RSRC2:TGID_Z_EN: 0
; COMPUTE_PGM_RSRC2:TIDIG_COMP_CNT: 1
	.section	.text._ZN4vllm3moe17topkGatingSoftmaxIfLi2ELi2ELi8ELi8ELb1ELi1ELNS0_23SharedExpertScoringFuncE1EEEvPKT_PKbPfiPiS9_iiiiii,"axG",@progbits,_ZN4vllm3moe17topkGatingSoftmaxIfLi2ELi2ELi8ELi8ELb1ELi1ELNS0_23SharedExpertScoringFuncE1EEEvPKT_PKbPfiPiS9_iiiiii,comdat
	.protected	_ZN4vllm3moe17topkGatingSoftmaxIfLi2ELi2ELi8ELi8ELb1ELi1ELNS0_23SharedExpertScoringFuncE1EEEvPKT_PKbPfiPiS9_iiiiii ; -- Begin function _ZN4vllm3moe17topkGatingSoftmaxIfLi2ELi2ELi8ELi8ELb1ELi1ELNS0_23SharedExpertScoringFuncE1EEEvPKT_PKbPfiPiS9_iiiiii
	.globl	_ZN4vllm3moe17topkGatingSoftmaxIfLi2ELi2ELi8ELi8ELb1ELi1ELNS0_23SharedExpertScoringFuncE1EEEvPKT_PKbPfiPiS9_iiiiii
	.p2align	8
	.type	_ZN4vllm3moe17topkGatingSoftmaxIfLi2ELi2ELi8ELi8ELb1ELi1ELNS0_23SharedExpertScoringFuncE1EEEvPKT_PKbPfiPiS9_iiiiii,@function
_ZN4vllm3moe17topkGatingSoftmaxIfLi2ELi2ELi8ELi8ELb1ELi1ELNS0_23SharedExpertScoringFuncE1EEEvPKT_PKbPfiPiS9_iiiiii: ; @_ZN4vllm3moe17topkGatingSoftmaxIfLi2ELi2ELi8ELi8ELb1ELi1ELNS0_23SharedExpertScoringFuncE1EEEvPKT_PKbPfiPiS9_iiiiii
; %bb.0:
	s_load_b32 s14, s[0:1], 0x18
	v_bfe_u32 v1, v0, 10, 10
	v_and_b32_e32 v10, 0x3ff, v0
	s_lshl_b32 s16, s15, 8
	s_mov_b32 s2, exec_lo
	s_delay_alu instid0(VALU_DEP_2) | instskip(NEXT) | instid1(VALU_DEP_1)
	v_lshlrev_b32_e32 v9, 5, v1
	v_add3_u32 v12, v9, v10, s16
	s_waitcnt lgkmcnt(0)
	s_delay_alu instid0(VALU_DEP_1)
	v_cmpx_gt_i32_e64 s14, v12
	s_cbranch_execz .LBB13_12
; %bb.1:
	s_clause 0x1
	s_load_b128 s[4:7], s[0:1], 0x0
	s_load_b64 s[12:13], s[0:1], 0x10
	s_waitcnt lgkmcnt(0)
	s_cmp_eq_u64 s[6:7], 0
	s_cbranch_scc1 .LBB13_3
; %bb.2:
	v_ashrrev_i32_e32 v1, 31, v12
	v_add_co_u32 v0, vcc_lo, s6, v12
	s_delay_alu instid0(VALU_DEP_2) | instskip(SKIP_3) | instid1(VALU_DEP_1)
	v_add_co_ci_u32_e32 v1, vcc_lo, s7, v1, vcc_lo
	global_load_u8 v0, v[0:1], off
	s_waitcnt vmcnt(0)
	v_and_b32_e32 v0, 1, v0
	v_cmp_eq_u32_e32 vcc_lo, 1, v0
	s_xor_b32 s2, vcc_lo, -1
	s_delay_alu instid0(SALU_CYCLE_1)
	s_or_not1_b32 s15, s2, exec_lo
	s_branch .LBB13_4
.LBB13_3:
	s_mov_b32 s15, -1
.LBB13_4:
	s_load_b64 s[2:3], s[0:1], 0x40
	v_mov_b32_e32 v13, 0
	s_waitcnt lgkmcnt(0)
	v_mul_lo_u32 v0, v12, s3
	s_delay_alu instid0(VALU_DEP_1) | instskip(NEXT) | instid1(VALU_DEP_1)
	v_ashrrev_i32_e32 v1, 31, v0
	v_lshlrev_b64 v[0:1], 2, v[0:1]
	s_delay_alu instid0(VALU_DEP_1) | instskip(NEXT) | instid1(VALU_DEP_2)
	v_add_co_u32 v0, vcc_lo, s4, v0
	v_add_co_ci_u32_e32 v1, vcc_lo, s5, v1, vcc_lo
	s_load_b128 s[4:7], s[0:1], 0x30
	global_load_b96 v[0:2], v[0:1], off
	s_waitcnt lgkmcnt(0)
	s_cmp_gt_i32 s4, 0
	s_cselect_b32 s3, -1, 0
	s_cmp_lt_i32 s4, 1
	s_waitcnt vmcnt(0)
	v_mul_f32_e32 v3, 0xbfb8aa3b, v2
	v_cmp_nlt_f32_e32 vcc_lo, 0x42ce8ed0, v2
	s_delay_alu instid0(VALU_DEP_2) | instskip(SKIP_1) | instid1(VALU_DEP_1)
	v_fma_f32 v4, 0xbfb8aa3b, v2, -v3
	v_rndne_f32_e32 v5, v3
	v_dual_fmamk_f32 v4, v2, 0xb2a5705f, v4 :: v_dual_sub_f32 v3, v3, v5
	s_delay_alu instid0(VALU_DEP_1) | instskip(SKIP_1) | instid1(VALU_DEP_2)
	v_add_f32_e32 v3, v3, v4
	v_cvt_i32_f32_e32 v4, v5
	v_exp_f32_e32 v3, v3
	s_waitcnt_depctr 0xfff
	v_ldexp_f32 v3, v3, v4
	s_delay_alu instid0(VALU_DEP_1) | instskip(SKIP_1) | instid1(VALU_DEP_2)
	v_cndmask_b32_e32 v3, 0, v3, vcc_lo
	v_cmp_ngt_f32_e32 vcc_lo, 0xc2b17218, v2
	v_cndmask_b32_e32 v2, 0x7f800000, v3, vcc_lo
	s_delay_alu instid0(VALU_DEP_1) | instskip(NEXT) | instid1(VALU_DEP_1)
	v_add_f32_e32 v5, 1.0, v2
	v_div_scale_f32 v6, null, v5, v5, 1.0
	v_div_scale_f32 v8, vcc_lo, 1.0, v5, 1.0
	s_delay_alu instid0(VALU_DEP_2) | instskip(SKIP_2) | instid1(VALU_DEP_1)
	v_rcp_f32_e32 v7, v6
	s_waitcnt_depctr 0xfff
	v_fma_f32 v2, -v6, v7, 1.0
	v_fmac_f32_e32 v7, v2, v7
	v_mul_lo_u32 v2, v12, s7
	s_delay_alu instid0(VALU_DEP_2) | instskip(NEXT) | instid1(VALU_DEP_2)
	v_mul_f32_e32 v11, v8, v7
	v_add_nc_u32_e32 v3, s4, v2
	s_delay_alu instid0(VALU_DEP_2) | instskip(NEXT) | instid1(VALU_DEP_1)
	v_fma_f32 v4, -v6, v11, v8
	v_fmac_f32_e32 v11, v4, v7
	s_delay_alu instid0(VALU_DEP_3) | instskip(NEXT) | instid1(VALU_DEP_2)
	v_ashrrev_i32_e32 v4, 31, v3
	v_fma_f32 v6, -v6, v11, v8
	s_delay_alu instid0(VALU_DEP_2) | instskip(NEXT) | instid1(VALU_DEP_2)
	v_lshlrev_b64 v[3:4], 2, v[3:4]
	v_div_fmas_f32 v6, v6, v7, v11
	s_delay_alu instid0(VALU_DEP_2) | instskip(NEXT) | instid1(VALU_DEP_3)
	v_add_co_u32 v3, vcc_lo, s12, v3
	v_add_co_ci_u32_e32 v4, vcc_lo, s13, v4, vcc_lo
	s_delay_alu instid0(VALU_DEP_3)
	v_div_fixup_f32 v5, v6, v5, 1.0
	global_store_b32 v[3:4], v5, off
	s_cbranch_scc1 .LBB13_8
; %bb.5:
	v_cmp_lt_f32_e32 vcc_lo, v0, v1
	s_load_b128 s[8:11], s[0:1], 0x20
	v_mul_lo_u32 v7, v12, s2
	v_mul_lo_u32 v15, v12, s4
	v_cndmask_b32_e32 v11, v0, v1, vcc_lo
	v_cndmask_b32_e64 v14, 0, 1, vcc_lo
	s_delay_alu instid0(VALU_DEP_4) | instskip(NEXT) | instid1(VALU_DEP_3)
	v_ashrrev_i32_e32 v8, 31, v7
	v_sub_f32_e32 v13, v11, v11
	s_delay_alu instid0(VALU_DEP_3) | instskip(SKIP_4) | instid1(VALU_DEP_4)
	v_cmp_le_i32_e64 s0, s5, v14
	v_cmp_gt_i32_e64 s1, s6, v14
	v_subrev_nc_u32_e32 v18, s5, v14
	v_ashrrev_i32_e32 v16, 31, v15
	v_mul_f32_e32 v3, 0x3fb8aa3b, v13
	s_and_b32 s0, s0, s1
	s_delay_alu instid0(SALU_CYCLE_1) | instskip(NEXT) | instid1(VALU_DEP_1)
	s_and_b32 s0, s15, s0
	v_fma_f32 v4, 0x3fb8aa3b, v13, -v3
	v_rndne_f32_e32 v5, v3
	s_cmp_eq_u32 s4, 1
	s_delay_alu instid0(VALU_DEP_2) | instskip(NEXT) | instid1(VALU_DEP_2)
	v_fmac_f32_e32 v4, 0x32a5705f, v13
	v_sub_f32_e32 v6, v3, v5
	v_ashrrev_i32_e32 v3, 31, v2
	v_cvt_i32_f32_e32 v19, v5
	s_delay_alu instid0(VALU_DEP_3) | instskip(NEXT) | instid1(VALU_DEP_3)
	v_add_f32_e32 v6, v6, v4
	v_lshlrev_b64 v[3:4], 2, v[2:3]
	s_delay_alu instid0(VALU_DEP_2) | instskip(NEXT) | instid1(VALU_DEP_1)
	v_exp_f32_e32 v17, v6
	v_add_co_u32 v5, s2, s12, v3
	s_delay_alu instid0(VALU_DEP_1)
	v_add_co_ci_u32_e64 v6, s2, s13, v4, s2
	v_lshlrev_b64 v[3:4], 2, v[7:8]
	v_lshlrev_b64 v[7:8], 2, v[15:16]
	s_waitcnt_depctr 0xfff
	v_ldexp_f32 v17, v17, v19
	v_cndmask_b32_e64 v19, 2, v18, s0
	v_cmp_ngt_f32_e64 s0, 0xc2ce8ed0, v13
	s_delay_alu instid0(VALU_DEP_1) | instskip(SKIP_2) | instid1(VALU_DEP_1)
	v_cndmask_b32_e64 v17, 0, v17, s0
	s_waitcnt lgkmcnt(0)
	v_add_co_u32 v15, s0, s8, v3
	v_add_co_ci_u32_e64 v16, s0, s9, v4, s0
	v_cmp_nlt_f32_e64 s0, 0x42b17218, v13
	s_delay_alu instid0(VALU_DEP_1) | instskip(SKIP_1) | instid1(VALU_DEP_1)
	v_cndmask_b32_e64 v13, 0x7f800000, v17, s0
	v_add_co_u32 v17, s0, s10, v7
	v_add_co_ci_u32_e64 v18, s0, s11, v8, s0
	global_store_b32 v[15:16], v19, off
	global_store_b32 v[5:6], v13, off
	global_store_b32 v[17:18], v12, off
	s_cbranch_scc1 .LBB13_8
; %bb.6:
	v_cndmask_b32_e32 v12, 0xff800000, v0, vcc_lo
	v_cmp_ne_u32_e32 vcc_lo, 1, v14
	s_add_i32 s16, s16, s14
	s_add_i32 s1, s4, -1
	v_cndmask_b32_e32 v14, 0xff800000, v1, vcc_lo
	v_add_co_u32 v0, vcc_lo, v7, s10
	v_add_co_ci_u32_e32 v1, vcc_lo, s11, v8, vcc_lo
	v_add_co_u32 v3, vcc_lo, v3, s8
	v_add_co_ci_u32_e32 v4, vcc_lo, s9, v4, vcc_lo
	s_delay_alu instid0(VALU_DEP_4) | instskip(NEXT) | instid1(VALU_DEP_4)
	v_add_co_u32 v0, vcc_lo, v0, 4
	v_add_co_ci_u32_e32 v1, vcc_lo, 0, v1, vcc_lo
	s_delay_alu instid0(VALU_DEP_4) | instskip(NEXT) | instid1(VALU_DEP_4)
	v_add_co_u32 v3, vcc_lo, v3, 4
	v_add_co_ci_u32_e32 v4, vcc_lo, 0, v4, vcc_lo
	v_add_co_u32 v5, vcc_lo, v5, 4
	v_add_co_ci_u32_e32 v6, vcc_lo, 0, v6, vcc_lo
	v_add3_u32 v7, s16, v10, v9
.LBB13_7:                               ; =>This Inner Loop Header: Depth=1
	v_cmp_gt_f32_e32 vcc_lo, v14, v12
	s_add_i32 s1, s1, -1
	v_cndmask_b32_e64 v9, 0, 1, vcc_lo
	v_cndmask_b32_e32 v8, v12, v14, vcc_lo
	v_cndmask_b32_e64 v14, v14, 0xff800000, vcc_lo
	v_cndmask_b32_e32 v12, 0xff800000, v12, vcc_lo
	s_delay_alu instid0(VALU_DEP_4) | instskip(SKIP_2) | instid1(VALU_DEP_2)
	v_cmp_le_i32_e32 vcc_lo, s5, v9
	v_cmp_gt_i32_e64 s0, s6, v9
	v_subrev_nc_u32_e32 v9, s5, v9
	s_and_b32 s0, vcc_lo, s0
	s_delay_alu instid0(SALU_CYCLE_1) | instskip(SKIP_1) | instid1(VALU_DEP_1)
	s_and_b32 vcc_lo, s15, s0
	s_cmp_eq_u32 s1, 0
	v_dual_cndmask_b32 v9, 2, v9 :: v_dual_sub_f32 v8, v8, v11
	global_store_b32 v[3:4], v9, off
	global_store_b32 v[0:1], v7, off
	v_dual_mul_f32 v10, 0x3fb8aa3b, v8 :: v_dual_add_nc_u32 v7, s14, v7
	v_add_co_u32 v0, vcc_lo, v0, 4
	v_add_co_ci_u32_e32 v1, vcc_lo, 0, v1, vcc_lo
	s_delay_alu instid0(VALU_DEP_3) | instskip(SKIP_3) | instid1(VALU_DEP_4)
	v_fma_f32 v15, 0x3fb8aa3b, v8, -v10
	v_rndne_f32_e32 v16, v10
	v_add_co_u32 v3, vcc_lo, v3, 4
	v_add_co_ci_u32_e32 v4, vcc_lo, 0, v4, vcc_lo
	v_fmac_f32_e32 v15, 0x32a5705f, v8
	s_delay_alu instid0(VALU_DEP_4) | instskip(SKIP_2) | instid1(VALU_DEP_3)
	v_sub_f32_e32 v10, v10, v16
	v_cvt_i32_f32_e32 v16, v16
	v_cmp_ngt_f32_e32 vcc_lo, 0xc2ce8ed0, v8
	v_add_f32_e32 v9, v10, v15
	s_delay_alu instid0(VALU_DEP_1) | instskip(SKIP_2) | instid1(VALU_DEP_1)
	v_exp_f32_e32 v9, v9
	s_waitcnt_depctr 0xfff
	v_ldexp_f32 v9, v9, v16
	v_cndmask_b32_e32 v9, 0, v9, vcc_lo
	v_cmp_nlt_f32_e32 vcc_lo, 0x42b17218, v8
	s_delay_alu instid0(VALU_DEP_2)
	v_cndmask_b32_e32 v8, 0x7f800000, v9, vcc_lo
	global_store_b32 v[5:6], v8, off
	v_add_co_u32 v5, vcc_lo, v5, 4
	v_add_f32_e32 v13, v13, v8
	v_add_co_ci_u32_e32 v6, vcc_lo, 0, v6, vcc_lo
	s_cbranch_scc0 .LBB13_7
.LBB13_8:
	s_delay_alu instid0(VALU_DEP_2)
	v_cmp_neq_f32_e32 vcc_lo, 0, v13
	s_and_b32 exec_lo, exec_lo, vcc_lo
	s_cbranch_execz .LBB13_12
; %bb.9:
	s_and_not1_b32 vcc_lo, exec_lo, s3
	s_cbranch_vccnz .LBB13_12
; %bb.10:
	v_div_scale_f32 v0, null, v13, v13, 1.0
	v_div_scale_f32 v4, vcc_lo, 1.0, v13, 1.0
	s_delay_alu instid0(VALU_DEP_2) | instskip(SKIP_2) | instid1(VALU_DEP_1)
	v_rcp_f32_e32 v1, v0
	s_waitcnt_depctr 0xfff
	v_fma_f32 v3, -v0, v1, 1.0
	v_fmac_f32_e32 v1, v3, v1
	s_delay_alu instid0(VALU_DEP_1) | instskip(NEXT) | instid1(VALU_DEP_1)
	v_mul_f32_e32 v5, v4, v1
	v_fma_f32 v3, -v0, v5, v4
	s_delay_alu instid0(VALU_DEP_1) | instskip(SKIP_1) | instid1(VALU_DEP_2)
	v_fmac_f32_e32 v5, v3, v1
	v_ashrrev_i32_e32 v3, 31, v2
	v_fma_f32 v0, -v0, v5, v4
	s_delay_alu instid0(VALU_DEP_1) | instskip(NEXT) | instid1(VALU_DEP_3)
	v_div_fmas_f32 v4, v0, v1, v5
	v_lshlrev_b64 v[0:1], 2, v[2:3]
	s_delay_alu instid0(VALU_DEP_2) | instskip(NEXT) | instid1(VALU_DEP_2)
	v_div_fixup_f32 v2, v4, v13, 1.0
	v_add_co_u32 v0, vcc_lo, s12, v0
	s_delay_alu instid0(VALU_DEP_3)
	v_add_co_ci_u32_e32 v1, vcc_lo, s13, v1, vcc_lo
.LBB13_11:                              ; =>This Inner Loop Header: Depth=1
	global_load_b32 v3, v[0:1], off
	s_add_i32 s4, s4, -1
	s_delay_alu instid0(SALU_CYCLE_1)
	s_cmp_lg_u32 s4, 0
	s_waitcnt vmcnt(0)
	v_mul_f32_e32 v3, v2, v3
	global_store_b32 v[0:1], v3, off
	v_add_co_u32 v0, vcc_lo, v0, 4
	v_add_co_ci_u32_e32 v1, vcc_lo, 0, v1, vcc_lo
	s_cbranch_scc1 .LBB13_11
.LBB13_12:
	s_nop 0
	s_sendmsg sendmsg(MSG_DEALLOC_VGPRS)
	s_endpgm
	.section	.rodata,"a",@progbits
	.p2align	6, 0x0
	.amdhsa_kernel _ZN4vllm3moe17topkGatingSoftmaxIfLi2ELi2ELi8ELi8ELb1ELi1ELNS0_23SharedExpertScoringFuncE1EEEvPKT_PKbPfiPiS9_iiiiii
		.amdhsa_group_segment_fixed_size 0
		.amdhsa_private_segment_fixed_size 0
		.amdhsa_kernarg_size 72
		.amdhsa_user_sgpr_count 15
		.amdhsa_user_sgpr_dispatch_ptr 0
		.amdhsa_user_sgpr_queue_ptr 0
		.amdhsa_user_sgpr_kernarg_segment_ptr 1
		.amdhsa_user_sgpr_dispatch_id 0
		.amdhsa_user_sgpr_private_segment_size 0
		.amdhsa_wavefront_size32 1
		.amdhsa_uses_dynamic_stack 0
		.amdhsa_enable_private_segment 0
		.amdhsa_system_sgpr_workgroup_id_x 1
		.amdhsa_system_sgpr_workgroup_id_y 0
		.amdhsa_system_sgpr_workgroup_id_z 0
		.amdhsa_system_sgpr_workgroup_info 0
		.amdhsa_system_vgpr_workitem_id 1
		.amdhsa_next_free_vgpr 20
		.amdhsa_next_free_sgpr 17
		.amdhsa_reserve_vcc 1
		.amdhsa_float_round_mode_32 0
		.amdhsa_float_round_mode_16_64 0
		.amdhsa_float_denorm_mode_32 3
		.amdhsa_float_denorm_mode_16_64 3
		.amdhsa_dx10_clamp 1
		.amdhsa_ieee_mode 1
		.amdhsa_fp16_overflow 0
		.amdhsa_workgroup_processor_mode 1
		.amdhsa_memory_ordered 1
		.amdhsa_forward_progress 0
		.amdhsa_shared_vgpr_count 0
		.amdhsa_exception_fp_ieee_invalid_op 0
		.amdhsa_exception_fp_denorm_src 0
		.amdhsa_exception_fp_ieee_div_zero 0
		.amdhsa_exception_fp_ieee_overflow 0
		.amdhsa_exception_fp_ieee_underflow 0
		.amdhsa_exception_fp_ieee_inexact 0
		.amdhsa_exception_int_div_zero 0
	.end_amdhsa_kernel
	.section	.text._ZN4vllm3moe17topkGatingSoftmaxIfLi2ELi2ELi8ELi8ELb1ELi1ELNS0_23SharedExpertScoringFuncE1EEEvPKT_PKbPfiPiS9_iiiiii,"axG",@progbits,_ZN4vllm3moe17topkGatingSoftmaxIfLi2ELi2ELi8ELi8ELb1ELi1ELNS0_23SharedExpertScoringFuncE1EEEvPKT_PKbPfiPiS9_iiiiii,comdat
.Lfunc_end13:
	.size	_ZN4vllm3moe17topkGatingSoftmaxIfLi2ELi2ELi8ELi8ELb1ELi1ELNS0_23SharedExpertScoringFuncE1EEEvPKT_PKbPfiPiS9_iiiiii, .Lfunc_end13-_ZN4vllm3moe17topkGatingSoftmaxIfLi2ELi2ELi8ELi8ELb1ELi1ELNS0_23SharedExpertScoringFuncE1EEEvPKT_PKbPfiPiS9_iiiiii
                                        ; -- End function
	.section	.AMDGPU.csdata,"",@progbits
; Kernel info:
; codeLenInByte = 1428
; NumSgprs: 19
; NumVgprs: 20
; ScratchSize: 0
; MemoryBound: 0
; FloatMode: 240
; IeeeMode: 1
; LDSByteSize: 0 bytes/workgroup (compile time only)
; SGPRBlocks: 2
; VGPRBlocks: 2
; NumSGPRsForWavesPerEU: 19
; NumVGPRsForWavesPerEU: 20
; Occupancy: 16
; WaveLimiterHint : 0
; COMPUTE_PGM_RSRC2:SCRATCH_EN: 0
; COMPUTE_PGM_RSRC2:USER_SGPR: 15
; COMPUTE_PGM_RSRC2:TRAP_HANDLER: 0
; COMPUTE_PGM_RSRC2:TGID_X_EN: 1
; COMPUTE_PGM_RSRC2:TGID_Y_EN: 0
; COMPUTE_PGM_RSRC2:TGID_Z_EN: 0
; COMPUTE_PGM_RSRC2:TIDIG_COMP_CNT: 1
	.section	.text._ZN4vllm3moe17topkGatingSoftmaxIfLi2ELi2ELi8ELi8ELb0ELi1ELNS0_23SharedExpertScoringFuncE1EEEvPKT_PKbPfiPiS9_iiiiii,"axG",@progbits,_ZN4vllm3moe17topkGatingSoftmaxIfLi2ELi2ELi8ELi8ELb0ELi1ELNS0_23SharedExpertScoringFuncE1EEEvPKT_PKbPfiPiS9_iiiiii,comdat
	.protected	_ZN4vllm3moe17topkGatingSoftmaxIfLi2ELi2ELi8ELi8ELb0ELi1ELNS0_23SharedExpertScoringFuncE1EEEvPKT_PKbPfiPiS9_iiiiii ; -- Begin function _ZN4vllm3moe17topkGatingSoftmaxIfLi2ELi2ELi8ELi8ELb0ELi1ELNS0_23SharedExpertScoringFuncE1EEEvPKT_PKbPfiPiS9_iiiiii
	.globl	_ZN4vllm3moe17topkGatingSoftmaxIfLi2ELi2ELi8ELi8ELb0ELi1ELNS0_23SharedExpertScoringFuncE1EEEvPKT_PKbPfiPiS9_iiiiii
	.p2align	8
	.type	_ZN4vllm3moe17topkGatingSoftmaxIfLi2ELi2ELi8ELi8ELb0ELi1ELNS0_23SharedExpertScoringFuncE1EEEvPKT_PKbPfiPiS9_iiiiii,@function
_ZN4vllm3moe17topkGatingSoftmaxIfLi2ELi2ELi8ELi8ELb0ELi1ELNS0_23SharedExpertScoringFuncE1EEEvPKT_PKbPfiPiS9_iiiiii: ; @_ZN4vllm3moe17topkGatingSoftmaxIfLi2ELi2ELi8ELi8ELb0ELi1ELNS0_23SharedExpertScoringFuncE1EEEvPKT_PKbPfiPiS9_iiiiii
; %bb.0:
	s_load_b32 s14, s[0:1], 0x18
	v_bfe_u32 v1, v0, 10, 10
	v_and_b32_e32 v11, 0x3ff, v0
	s_lshl_b32 s16, s15, 8
	s_mov_b32 s2, exec_lo
	s_delay_alu instid0(VALU_DEP_2) | instskip(NEXT) | instid1(VALU_DEP_1)
	v_lshlrev_b32_e32 v10, 5, v1
	v_add3_u32 v12, v10, v11, s16
	s_waitcnt lgkmcnt(0)
	s_delay_alu instid0(VALU_DEP_1)
	v_cmpx_gt_i32_e64 s14, v12
	s_cbranch_execz .LBB14_12
; %bb.1:
	s_clause 0x1
	s_load_b128 s[4:7], s[0:1], 0x0
	s_load_b64 s[2:3], s[0:1], 0x10
	s_waitcnt lgkmcnt(0)
	s_cmp_eq_u64 s[6:7], 0
	s_cbranch_scc1 .LBB14_3
; %bb.2:
	v_ashrrev_i32_e32 v1, 31, v12
	v_add_co_u32 v0, vcc_lo, s6, v12
	s_delay_alu instid0(VALU_DEP_2) | instskip(SKIP_3) | instid1(VALU_DEP_1)
	v_add_co_ci_u32_e32 v1, vcc_lo, s7, v1, vcc_lo
	global_load_u8 v0, v[0:1], off
	s_waitcnt vmcnt(0)
	v_and_b32_e32 v0, 1, v0
	v_cmp_eq_u32_e32 vcc_lo, 1, v0
	s_xor_b32 s6, vcc_lo, -1
	s_delay_alu instid0(SALU_CYCLE_1)
	s_or_not1_b32 s15, s6, exec_lo
	s_branch .LBB14_4
.LBB14_3:
	s_mov_b32 s15, -1
.LBB14_4:
	s_load_b64 s[12:13], s[0:1], 0x40
	v_mov_b32_e32 v13, 0
	s_waitcnt lgkmcnt(0)
	v_mul_lo_u32 v0, v12, s13
	s_delay_alu instid0(VALU_DEP_1) | instskip(NEXT) | instid1(VALU_DEP_1)
	v_ashrrev_i32_e32 v1, 31, v0
	v_lshlrev_b64 v[0:1], 2, v[0:1]
	s_delay_alu instid0(VALU_DEP_1) | instskip(NEXT) | instid1(VALU_DEP_2)
	v_add_co_u32 v0, vcc_lo, s4, v0
	v_add_co_ci_u32_e32 v1, vcc_lo, s5, v1, vcc_lo
	s_load_b128 s[4:7], s[0:1], 0x30
	global_load_b96 v[0:2], v[0:1], off
	s_waitcnt lgkmcnt(0)
	s_cmp_gt_i32 s4, 0
	s_waitcnt vmcnt(0)
	v_mul_f32_e32 v3, 0xbfb8aa3b, v2
	v_cmp_nlt_f32_e32 vcc_lo, 0x42ce8ed0, v2
	s_delay_alu instid0(VALU_DEP_2) | instskip(SKIP_1) | instid1(VALU_DEP_1)
	v_fma_f32 v4, 0xbfb8aa3b, v2, -v3
	v_rndne_f32_e32 v5, v3
	v_dual_fmamk_f32 v4, v2, 0xb2a5705f, v4 :: v_dual_sub_f32 v3, v3, v5
	s_delay_alu instid0(VALU_DEP_1) | instskip(SKIP_1) | instid1(VALU_DEP_2)
	v_add_f32_e32 v3, v3, v4
	v_cvt_i32_f32_e32 v4, v5
	v_exp_f32_e32 v3, v3
	s_waitcnt_depctr 0xfff
	v_ldexp_f32 v3, v3, v4
	s_delay_alu instid0(VALU_DEP_1) | instskip(SKIP_1) | instid1(VALU_DEP_2)
	v_cndmask_b32_e32 v3, 0, v3, vcc_lo
	v_cmp_ngt_f32_e32 vcc_lo, 0xc2b17218, v2
	v_cndmask_b32_e32 v2, 0x7f800000, v3, vcc_lo
	s_delay_alu instid0(VALU_DEP_1) | instskip(NEXT) | instid1(VALU_DEP_1)
	v_add_f32_e32 v5, 1.0, v2
	v_div_scale_f32 v6, null, v5, v5, 1.0
	v_div_scale_f32 v8, vcc_lo, 1.0, v5, 1.0
	s_delay_alu instid0(VALU_DEP_2) | instskip(SKIP_2) | instid1(VALU_DEP_1)
	v_rcp_f32_e32 v7, v6
	s_waitcnt_depctr 0xfff
	v_fma_f32 v2, -v6, v7, 1.0
	v_fmac_f32_e32 v7, v2, v7
	v_mul_lo_u32 v2, v12, s7
	s_cselect_b32 s7, -1, 0
	s_cmp_lt_i32 s4, 1
	s_delay_alu instid0(VALU_DEP_2) | instskip(NEXT) | instid1(VALU_DEP_2)
	v_mul_f32_e32 v9, v8, v7
	v_add_nc_u32_e32 v3, s4, v2
	s_delay_alu instid0(VALU_DEP_2) | instskip(NEXT) | instid1(VALU_DEP_1)
	v_fma_f32 v4, -v6, v9, v8
	v_fmac_f32_e32 v9, v4, v7
	s_delay_alu instid0(VALU_DEP_3) | instskip(NEXT) | instid1(VALU_DEP_2)
	v_ashrrev_i32_e32 v4, 31, v3
	v_fma_f32 v6, -v6, v9, v8
	s_delay_alu instid0(VALU_DEP_2) | instskip(NEXT) | instid1(VALU_DEP_2)
	v_lshlrev_b64 v[3:4], 2, v[3:4]
	v_div_fmas_f32 v6, v6, v7, v9
	s_delay_alu instid0(VALU_DEP_2) | instskip(NEXT) | instid1(VALU_DEP_3)
	v_add_co_u32 v3, vcc_lo, s2, v3
	v_add_co_ci_u32_e32 v4, vcc_lo, s3, v4, vcc_lo
	v_cmp_lt_f32_e32 vcc_lo, v0, v1
	s_delay_alu instid0(VALU_DEP_4)
	v_div_fixup_f32 v5, v6, v5, 1.0
	v_cndmask_b32_e32 v9, v0, v1, vcc_lo
	global_store_b32 v[3:4], v5, off
	s_cbranch_scc1 .LBB14_8
; %bb.5:
	v_ashrrev_i32_e32 v3, 31, v2
	v_cndmask_b32_e64 v19, 0, 1, vcc_lo
	s_load_b128 s[8:11], s[0:1], 0x20
	v_cndmask_b32_e32 v0, 0xff800000, v0, vcc_lo
	v_sub_f32_e32 v18, v9, v9
	v_lshlrev_b64 v[7:8], 2, v[2:3]
	v_cmp_le_i32_e32 vcc_lo, s5, v19
	v_cmp_gt_i32_e64 s0, s6, v19
	v_subrev_nc_u32_e32 v15, s5, v19
	v_mul_lo_u32 v4, v12, s12
	v_mul_lo_u32 v13, v12, s4
	s_delay_alu instid0(VALU_DEP_4)
	s_and_b32 s0, vcc_lo, s0
	v_add_co_u32 v7, vcc_lo, s2, v7
	v_add_co_ci_u32_e32 v8, vcc_lo, s3, v8, vcc_lo
	s_and_b32 vcc_lo, s15, s0
	v_dual_mul_f32 v5, 0x3fb8aa3b, v18 :: v_dual_cndmask_b32 v20, 2, v15
	s_cmp_eq_u32 s4, 1
	s_delay_alu instid0(VALU_DEP_1) | instskip(SKIP_1) | instid1(VALU_DEP_2)
	v_rndne_f32_e32 v6, v5
	v_fma_f32 v14, 0x3fb8aa3b, v18, -v5
	v_sub_f32_e32 v5, v5, v6
	s_delay_alu instid0(VALU_DEP_2) | instskip(SKIP_1) | instid1(VALU_DEP_2)
	v_fmac_f32_e32 v14, 0x32a5705f, v18
	v_cvt_i32_f32_e32 v17, v6
	v_add_f32_e32 v3, v5, v14
	v_ashrrev_i32_e32 v5, 31, v4
	v_ashrrev_i32_e32 v14, 31, v13
	s_delay_alu instid0(VALU_DEP_3) | instskip(NEXT) | instid1(VALU_DEP_2)
	v_exp_f32_e32 v16, v3
	v_lshlrev_b64 v[3:4], 2, v[4:5]
	s_delay_alu instid0(VALU_DEP_2) | instskip(SKIP_1) | instid1(VALU_DEP_2)
	v_lshlrev_b64 v[5:6], 2, v[13:14]
	s_waitcnt lgkmcnt(0)
	v_add_co_u32 v14, vcc_lo, s8, v3
	s_delay_alu instid0(VALU_DEP_3) | instskip(SKIP_3) | instid1(VALU_DEP_2)
	v_add_co_ci_u32_e32 v15, vcc_lo, s9, v4, vcc_lo
	s_waitcnt_depctr 0xfff
	v_ldexp_f32 v13, v16, v17
	v_cmp_ngt_f32_e32 vcc_lo, 0xc2ce8ed0, v18
	v_cndmask_b32_e32 v13, 0, v13, vcc_lo
	v_add_co_u32 v16, vcc_lo, s10, v5
	v_add_co_ci_u32_e32 v17, vcc_lo, s11, v6, vcc_lo
	v_cmp_nlt_f32_e32 vcc_lo, 0x42b17218, v18
	s_delay_alu instid0(VALU_DEP_4)
	v_cndmask_b32_e32 v13, 0x7f800000, v13, vcc_lo
	v_cmp_ne_u32_e32 vcc_lo, 1, v19
	global_store_b32 v[14:15], v20, off
	global_store_b32 v[7:8], v13, off
	;; [unrolled: 1-line block ×3, first 2 shown]
	v_cndmask_b32_e32 v1, 0xff800000, v1, vcc_lo
	s_cbranch_scc1 .LBB14_8
; %bb.6:
	v_add_co_u32 v5, vcc_lo, v5, s10
	v_add_co_ci_u32_e32 v6, vcc_lo, s11, v6, vcc_lo
	v_add_co_u32 v12, vcc_lo, v3, s8
	v_add_co_ci_u32_e32 v14, vcc_lo, s9, v4, vcc_lo
	s_delay_alu instid0(VALU_DEP_4) | instskip(NEXT) | instid1(VALU_DEP_4)
	v_add_co_u32 v3, vcc_lo, v5, 4
	v_add_co_ci_u32_e32 v4, vcc_lo, 0, v6, vcc_lo
	s_delay_alu instid0(VALU_DEP_4) | instskip(NEXT) | instid1(VALU_DEP_4)
	v_add_co_u32 v5, vcc_lo, v12, 4
	v_add_co_ci_u32_e32 v6, vcc_lo, 0, v14, vcc_lo
	s_add_i32 s16, s16, s14
	v_add_co_u32 v7, vcc_lo, v7, 4
	v_add_co_ci_u32_e32 v8, vcc_lo, 0, v8, vcc_lo
	v_add3_u32 v10, s16, v11, v10
	s_add_i32 s1, s4, -1
.LBB14_7:                               ; =>This Inner Loop Header: Depth=1
	v_cmp_gt_f32_e32 vcc_lo, v1, v0
	s_add_i32 s1, s1, -1
	v_cndmask_b32_e64 v12, 0, 1, vcc_lo
	v_cndmask_b32_e32 v11, v0, v1, vcc_lo
	v_cndmask_b32_e64 v1, v1, 0xff800000, vcc_lo
	v_cndmask_b32_e32 v0, 0xff800000, v0, vcc_lo
	s_delay_alu instid0(VALU_DEP_4) | instskip(SKIP_2) | instid1(VALU_DEP_2)
	v_cmp_le_i32_e32 vcc_lo, s5, v12
	v_cmp_gt_i32_e64 s0, s6, v12
	v_subrev_nc_u32_e32 v12, s5, v12
	s_and_b32 s0, vcc_lo, s0
	s_delay_alu instid0(SALU_CYCLE_1) | instskip(SKIP_1) | instid1(VALU_DEP_1)
	s_and_b32 vcc_lo, s15, s0
	s_cmp_eq_u32 s1, 0
	v_dual_cndmask_b32 v12, 2, v12 :: v_dual_sub_f32 v11, v11, v9
	global_store_b32 v[5:6], v12, off
	global_store_b32 v[3:4], v10, off
	v_mul_f32_e32 v14, 0x3fb8aa3b, v11
	v_add_co_u32 v3, vcc_lo, v3, 4
	v_add_co_ci_u32_e32 v4, vcc_lo, 0, v4, vcc_lo
	s_delay_alu instid0(VALU_DEP_3) | instskip(SKIP_4) | instid1(VALU_DEP_4)
	v_fma_f32 v15, 0x3fb8aa3b, v11, -v14
	v_rndne_f32_e32 v16, v14
	v_add_co_u32 v5, vcc_lo, v5, 4
	v_add_nc_u32_e32 v10, s14, v10
	v_add_co_ci_u32_e32 v6, vcc_lo, 0, v6, vcc_lo
	v_dual_sub_f32 v14, v14, v16 :: v_dual_fmac_f32 v15, 0x32a5705f, v11
	v_cvt_i32_f32_e32 v16, v16
	v_cmp_ngt_f32_e32 vcc_lo, 0xc2ce8ed0, v11
	s_delay_alu instid0(VALU_DEP_3) | instskip(NEXT) | instid1(VALU_DEP_1)
	v_add_f32_e32 v12, v14, v15
	v_exp_f32_e32 v12, v12
	s_waitcnt_depctr 0xfff
	v_ldexp_f32 v12, v12, v16
	s_delay_alu instid0(VALU_DEP_1) | instskip(SKIP_1) | instid1(VALU_DEP_2)
	v_cndmask_b32_e32 v12, 0, v12, vcc_lo
	v_cmp_nlt_f32_e32 vcc_lo, 0x42b17218, v11
	v_cndmask_b32_e32 v11, 0x7f800000, v12, vcc_lo
	global_store_b32 v[7:8], v11, off
	v_add_co_u32 v7, vcc_lo, v7, 4
	v_add_f32_e32 v13, v13, v11
	v_add_co_ci_u32_e32 v8, vcc_lo, 0, v8, vcc_lo
	s_cbranch_scc0 .LBB14_7
.LBB14_8:
	v_sub_f32_e32 v0, v0, v9
	s_delay_alu instid0(VALU_DEP_2) | instskip(NEXT) | instid1(VALU_DEP_1)
	v_sub_f32_e32 v1, v1, v9
	v_dual_mul_f32 v3, 0x3fb8aa3b, v0 :: v_dual_mul_f32 v4, 0x3fb8aa3b, v1
	s_delay_alu instid0(VALU_DEP_1) | instskip(SKIP_1) | instid1(VALU_DEP_3)
	v_fma_f32 v5, 0x3fb8aa3b, v0, -v3
	v_rndne_f32_e32 v6, v3
	v_fma_f32 v7, 0x3fb8aa3b, v1, -v4
	v_rndne_f32_e32 v8, v4
	s_delay_alu instid0(VALU_DEP_3) | instskip(SKIP_1) | instid1(VALU_DEP_3)
	v_sub_f32_e32 v3, v3, v6
	v_cmp_ngt_f32_e32 vcc_lo, 0xc2ce8ed0, v0
	v_dual_sub_f32 v4, v4, v8 :: v_dual_fmac_f32 v7, 0x32a5705f, v1
	s_delay_alu instid0(VALU_DEP_1) | instskip(NEXT) | instid1(VALU_DEP_1)
	v_dual_fmac_f32 v5, 0x32a5705f, v0 :: v_dual_add_f32 v4, v4, v7
	v_add_f32_e32 v3, v3, v5
	v_cvt_i32_f32_e32 v5, v6
	v_cvt_i32_f32_e32 v6, v8
	s_delay_alu instid0(VALU_DEP_4) | instskip(NEXT) | instid1(VALU_DEP_3)
	v_exp_f32_e32 v4, v4
	v_exp_f32_e32 v3, v3
	s_waitcnt_depctr 0xfff
	v_ldexp_f32 v4, v4, v6
	v_ldexp_f32 v3, v3, v5
	s_delay_alu instid0(VALU_DEP_1) | instskip(SKIP_1) | instid1(VALU_DEP_4)
	v_cndmask_b32_e32 v3, 0, v3, vcc_lo
	v_cmp_ngt_f32_e32 vcc_lo, 0xc2ce8ed0, v1
	v_cndmask_b32_e32 v4, 0, v4, vcc_lo
	v_cmp_nlt_f32_e32 vcc_lo, 0x42b17218, v0
	s_delay_alu instid0(VALU_DEP_4) | instskip(SKIP_1) | instid1(VALU_DEP_4)
	v_cndmask_b32_e32 v0, 0x7f800000, v3, vcc_lo
	v_cmp_nlt_f32_e32 vcc_lo, 0x42b17218, v1
	v_cndmask_b32_e32 v1, 0x7f800000, v4, vcc_lo
	s_delay_alu instid0(VALU_DEP_1) | instskip(NEXT) | instid1(VALU_DEP_1)
	v_add_f32_e32 v0, v0, v1
	v_add_f32_e32 v0, v13, v0
	s_delay_alu instid0(VALU_DEP_1)
	v_cmp_neq_f32_e32 vcc_lo, 0, v0
	s_and_b32 exec_lo, exec_lo, vcc_lo
	s_cbranch_execz .LBB14_12
; %bb.9:
	s_and_not1_b32 vcc_lo, exec_lo, s7
	s_cbranch_vccnz .LBB14_12
; %bb.10:
	v_div_scale_f32 v1, null, v0, v0, 1.0
	v_div_scale_f32 v5, vcc_lo, 1.0, v0, 1.0
	s_delay_alu instid0(VALU_DEP_2) | instskip(SKIP_2) | instid1(VALU_DEP_1)
	v_rcp_f32_e32 v4, v1
	s_waitcnt_depctr 0xfff
	v_fma_f32 v3, -v1, v4, 1.0
	v_fmac_f32_e32 v4, v3, v4
	s_delay_alu instid0(VALU_DEP_1) | instskip(NEXT) | instid1(VALU_DEP_1)
	v_mul_f32_e32 v6, v5, v4
	v_fma_f32 v3, -v1, v6, v5
	s_delay_alu instid0(VALU_DEP_1) | instskip(SKIP_1) | instid1(VALU_DEP_2)
	v_fmac_f32_e32 v6, v3, v4
	v_ashrrev_i32_e32 v3, 31, v2
	v_fma_f32 v1, -v1, v6, v5
	s_delay_alu instid0(VALU_DEP_1) | instskip(NEXT) | instid1(VALU_DEP_3)
	v_div_fmas_f32 v1, v1, v4, v6
	v_lshlrev_b64 v[3:4], 2, v[2:3]
	s_delay_alu instid0(VALU_DEP_2) | instskip(NEXT) | instid1(VALU_DEP_2)
	v_div_fixup_f32 v2, v1, v0, 1.0
	v_add_co_u32 v0, vcc_lo, s2, v3
	s_delay_alu instid0(VALU_DEP_3)
	v_add_co_ci_u32_e32 v1, vcc_lo, s3, v4, vcc_lo
.LBB14_11:                              ; =>This Inner Loop Header: Depth=1
	global_load_b32 v3, v[0:1], off
	s_add_i32 s4, s4, -1
	s_delay_alu instid0(SALU_CYCLE_1)
	s_cmp_lg_u32 s4, 0
	s_waitcnt vmcnt(0)
	v_mul_f32_e32 v3, v2, v3
	global_store_b32 v[0:1], v3, off
	v_add_co_u32 v0, vcc_lo, v0, 4
	v_add_co_ci_u32_e32 v1, vcc_lo, 0, v1, vcc_lo
	s_cbranch_scc1 .LBB14_11
.LBB14_12:
	s_nop 0
	s_sendmsg sendmsg(MSG_DEALLOC_VGPRS)
	s_endpgm
	.section	.rodata,"a",@progbits
	.p2align	6, 0x0
	.amdhsa_kernel _ZN4vllm3moe17topkGatingSoftmaxIfLi2ELi2ELi8ELi8ELb0ELi1ELNS0_23SharedExpertScoringFuncE1EEEvPKT_PKbPfiPiS9_iiiiii
		.amdhsa_group_segment_fixed_size 0
		.amdhsa_private_segment_fixed_size 0
		.amdhsa_kernarg_size 72
		.amdhsa_user_sgpr_count 15
		.amdhsa_user_sgpr_dispatch_ptr 0
		.amdhsa_user_sgpr_queue_ptr 0
		.amdhsa_user_sgpr_kernarg_segment_ptr 1
		.amdhsa_user_sgpr_dispatch_id 0
		.amdhsa_user_sgpr_private_segment_size 0
		.amdhsa_wavefront_size32 1
		.amdhsa_uses_dynamic_stack 0
		.amdhsa_enable_private_segment 0
		.amdhsa_system_sgpr_workgroup_id_x 1
		.amdhsa_system_sgpr_workgroup_id_y 0
		.amdhsa_system_sgpr_workgroup_id_z 0
		.amdhsa_system_sgpr_workgroup_info 0
		.amdhsa_system_vgpr_workitem_id 1
		.amdhsa_next_free_vgpr 21
		.amdhsa_next_free_sgpr 17
		.amdhsa_reserve_vcc 1
		.amdhsa_float_round_mode_32 0
		.amdhsa_float_round_mode_16_64 0
		.amdhsa_float_denorm_mode_32 3
		.amdhsa_float_denorm_mode_16_64 3
		.amdhsa_dx10_clamp 1
		.amdhsa_ieee_mode 1
		.amdhsa_fp16_overflow 0
		.amdhsa_workgroup_processor_mode 1
		.amdhsa_memory_ordered 1
		.amdhsa_forward_progress 0
		.amdhsa_shared_vgpr_count 0
		.amdhsa_exception_fp_ieee_invalid_op 0
		.amdhsa_exception_fp_denorm_src 0
		.amdhsa_exception_fp_ieee_div_zero 0
		.amdhsa_exception_fp_ieee_overflow 0
		.amdhsa_exception_fp_ieee_underflow 0
		.amdhsa_exception_fp_ieee_inexact 0
		.amdhsa_exception_int_div_zero 0
	.end_amdhsa_kernel
	.section	.text._ZN4vllm3moe17topkGatingSoftmaxIfLi2ELi2ELi8ELi8ELb0ELi1ELNS0_23SharedExpertScoringFuncE1EEEvPKT_PKbPfiPiS9_iiiiii,"axG",@progbits,_ZN4vllm3moe17topkGatingSoftmaxIfLi2ELi2ELi8ELi8ELb0ELi1ELNS0_23SharedExpertScoringFuncE1EEEvPKT_PKbPfiPiS9_iiiiii,comdat
.Lfunc_end14:
	.size	_ZN4vllm3moe17topkGatingSoftmaxIfLi2ELi2ELi8ELi8ELb0ELi1ELNS0_23SharedExpertScoringFuncE1EEEvPKT_PKbPfiPiS9_iiiiii, .Lfunc_end14-_ZN4vllm3moe17topkGatingSoftmaxIfLi2ELi2ELi8ELi8ELb0ELi1ELNS0_23SharedExpertScoringFuncE1EEEvPKT_PKbPfiPiS9_iiiiii
                                        ; -- End function
	.section	.AMDGPU.csdata,"",@progbits
; Kernel info:
; codeLenInByte = 1596
; NumSgprs: 19
; NumVgprs: 21
; ScratchSize: 0
; MemoryBound: 0
; FloatMode: 240
; IeeeMode: 1
; LDSByteSize: 0 bytes/workgroup (compile time only)
; SGPRBlocks: 2
; VGPRBlocks: 2
; NumSGPRsForWavesPerEU: 19
; NumVGPRsForWavesPerEU: 21
; Occupancy: 16
; WaveLimiterHint : 0
; COMPUTE_PGM_RSRC2:SCRATCH_EN: 0
; COMPUTE_PGM_RSRC2:USER_SGPR: 15
; COMPUTE_PGM_RSRC2:TRAP_HANDLER: 0
; COMPUTE_PGM_RSRC2:TGID_X_EN: 1
; COMPUTE_PGM_RSRC2:TGID_Y_EN: 0
; COMPUTE_PGM_RSRC2:TGID_Z_EN: 0
; COMPUTE_PGM_RSRC2:TIDIG_COMP_CNT: 1
	.section	.text._ZN4vllm3moe17topkGatingSoftmaxIfLi2ELi2ELi8ELi8ELb1ELi2ELNS0_23SharedExpertScoringFuncE1EEEvPKT_PKbPfiPiS9_iiiiii,"axG",@progbits,_ZN4vllm3moe17topkGatingSoftmaxIfLi2ELi2ELi8ELi8ELb1ELi2ELNS0_23SharedExpertScoringFuncE1EEEvPKT_PKbPfiPiS9_iiiiii,comdat
	.protected	_ZN4vllm3moe17topkGatingSoftmaxIfLi2ELi2ELi8ELi8ELb1ELi2ELNS0_23SharedExpertScoringFuncE1EEEvPKT_PKbPfiPiS9_iiiiii ; -- Begin function _ZN4vllm3moe17topkGatingSoftmaxIfLi2ELi2ELi8ELi8ELb1ELi2ELNS0_23SharedExpertScoringFuncE1EEEvPKT_PKbPfiPiS9_iiiiii
	.globl	_ZN4vllm3moe17topkGatingSoftmaxIfLi2ELi2ELi8ELi8ELb1ELi2ELNS0_23SharedExpertScoringFuncE1EEEvPKT_PKbPfiPiS9_iiiiii
	.p2align	8
	.type	_ZN4vllm3moe17topkGatingSoftmaxIfLi2ELi2ELi8ELi8ELb1ELi2ELNS0_23SharedExpertScoringFuncE1EEEvPKT_PKbPfiPiS9_iiiiii,@function
_ZN4vllm3moe17topkGatingSoftmaxIfLi2ELi2ELi8ELi8ELb1ELi2ELNS0_23SharedExpertScoringFuncE1EEEvPKT_PKbPfiPiS9_iiiiii: ; @_ZN4vllm3moe17topkGatingSoftmaxIfLi2ELi2ELi8ELi8ELb1ELi2ELNS0_23SharedExpertScoringFuncE1EEEvPKT_PKbPfiPiS9_iiiiii
; %bb.0:
	s_load_b32 s14, s[0:1], 0x18
	v_bfe_u32 v1, v0, 10, 10
	v_and_b32_e32 v10, 0x3ff, v0
	s_lshl_b32 s16, s15, 8
	s_mov_b32 s2, exec_lo
	s_delay_alu instid0(VALU_DEP_2) | instskip(NEXT) | instid1(VALU_DEP_1)
	v_lshlrev_b32_e32 v9, 5, v1
	v_add3_u32 v11, v9, v10, s16
	s_waitcnt lgkmcnt(0)
	s_delay_alu instid0(VALU_DEP_1)
	v_cmpx_gt_i32_e64 s14, v11
	s_cbranch_execz .LBB15_12
; %bb.1:
	s_clause 0x1
	s_load_b128 s[4:7], s[0:1], 0x0
	s_load_b64 s[12:13], s[0:1], 0x10
	s_waitcnt lgkmcnt(0)
	s_cmp_eq_u64 s[6:7], 0
	s_cbranch_scc1 .LBB15_3
; %bb.2:
	v_ashrrev_i32_e32 v1, 31, v11
	v_add_co_u32 v0, vcc_lo, s6, v11
	s_delay_alu instid0(VALU_DEP_2) | instskip(SKIP_3) | instid1(VALU_DEP_1)
	v_add_co_ci_u32_e32 v1, vcc_lo, s7, v1, vcc_lo
	global_load_u8 v0, v[0:1], off
	s_waitcnt vmcnt(0)
	v_and_b32_e32 v0, 1, v0
	v_cmp_eq_u32_e32 vcc_lo, 1, v0
	s_xor_b32 s2, vcc_lo, -1
	s_delay_alu instid0(SALU_CYCLE_1)
	s_or_not1_b32 s15, s2, exec_lo
	s_branch .LBB15_4
.LBB15_3:
	s_mov_b32 s15, -1
.LBB15_4:
	s_load_b64 s[2:3], s[0:1], 0x40
	s_waitcnt lgkmcnt(0)
	v_mul_lo_u32 v0, v11, s3
	s_delay_alu instid0(VALU_DEP_1) | instskip(NEXT) | instid1(VALU_DEP_1)
	v_ashrrev_i32_e32 v1, 31, v0
	v_lshlrev_b64 v[0:1], 2, v[0:1]
	s_delay_alu instid0(VALU_DEP_1) | instskip(NEXT) | instid1(VALU_DEP_2)
	v_add_co_u32 v3, vcc_lo, s4, v0
	v_add_co_ci_u32_e32 v4, vcc_lo, s5, v1, vcc_lo
	s_load_b128 s[4:7], s[0:1], 0x30
	global_load_b96 v[0:2], v[3:4], off
	s_waitcnt lgkmcnt(0)
	s_cmp_gt_i32 s4, 0
	s_cselect_b32 s3, -1, 0
	s_cmp_lt_i32 s4, 1
	s_waitcnt vmcnt(0)
	v_mul_f32_e32 v5, 0xbfb8aa3b, v2
	v_cmp_nlt_f32_e32 vcc_lo, 0x42ce8ed0, v2
	s_delay_alu instid0(VALU_DEP_2) | instskip(SKIP_1) | instid1(VALU_DEP_1)
	v_fma_f32 v6, 0xbfb8aa3b, v2, -v5
	v_rndne_f32_e32 v7, v5
	v_dual_fmac_f32 v6, 0xb2a5705f, v2 :: v_dual_sub_f32 v5, v5, v7
	s_delay_alu instid0(VALU_DEP_1) | instskip(SKIP_1) | instid1(VALU_DEP_2)
	v_add_f32_e32 v5, v5, v6
	v_cvt_i32_f32_e32 v6, v7
	v_exp_f32_e32 v5, v5
	s_waitcnt_depctr 0xfff
	v_ldexp_f32 v5, v5, v6
	s_delay_alu instid0(VALU_DEP_1) | instskip(SKIP_1) | instid1(VALU_DEP_2)
	v_cndmask_b32_e32 v5, 0, v5, vcc_lo
	v_cmp_ngt_f32_e32 vcc_lo, 0xc2b17218, v2
	v_cndmask_b32_e32 v2, 0x7f800000, v5, vcc_lo
	s_delay_alu instid0(VALU_DEP_1) | instskip(NEXT) | instid1(VALU_DEP_1)
	v_add_f32_e32 v7, 1.0, v2
	v_div_scale_f32 v8, null, v7, v7, 1.0
	v_div_scale_f32 v13, vcc_lo, 1.0, v7, 1.0
	s_delay_alu instid0(VALU_DEP_2) | instskip(SKIP_2) | instid1(VALU_DEP_1)
	v_rcp_f32_e32 v12, v8
	s_waitcnt_depctr 0xfff
	v_fma_f32 v2, -v8, v12, 1.0
	v_fmac_f32_e32 v12, v2, v12
	v_mul_lo_u32 v2, v11, s7
	s_delay_alu instid0(VALU_DEP_1) | instskip(NEXT) | instid1(VALU_DEP_1)
	v_dual_mul_f32 v14, v13, v12 :: v_dual_add_nc_u32 v5, s4, v2
	v_fma_f32 v6, -v8, v14, v13
	s_delay_alu instid0(VALU_DEP_1) | instskip(NEXT) | instid1(VALU_DEP_3)
	v_fmac_f32_e32 v14, v6, v12
	v_ashrrev_i32_e32 v6, 31, v5
	s_delay_alu instid0(VALU_DEP_2) | instskip(NEXT) | instid1(VALU_DEP_2)
	v_fma_f32 v8, -v8, v14, v13
	v_lshlrev_b64 v[5:6], 2, v[5:6]
	s_delay_alu instid0(VALU_DEP_2) | instskip(NEXT) | instid1(VALU_DEP_2)
	v_div_fmas_f32 v8, v8, v12, v14
	v_add_co_u32 v5, vcc_lo, s12, v5
	s_delay_alu instid0(VALU_DEP_3) | instskip(NEXT) | instid1(VALU_DEP_3)
	v_add_co_ci_u32_e32 v6, vcc_lo, s13, v6, vcc_lo
	v_div_fixup_f32 v7, v8, v7, 1.0
	global_store_b32 v[5:6], v7, off
	global_load_b32 v3, v[3:4], off offset:12
	s_waitcnt vmcnt(0)
	v_mul_f32_e32 v4, 0xbfb8aa3b, v3
	v_cmp_nlt_f32_e32 vcc_lo, 0x42ce8ed0, v3
	s_delay_alu instid0(VALU_DEP_2) | instskip(SKIP_1) | instid1(VALU_DEP_1)
	v_fma_f32 v7, 0xbfb8aa3b, v3, -v4
	v_rndne_f32_e32 v8, v4
	v_dual_fmac_f32 v7, 0xb2a5705f, v3 :: v_dual_sub_f32 v4, v4, v8
	s_delay_alu instid0(VALU_DEP_1) | instskip(SKIP_1) | instid1(VALU_DEP_2)
	v_add_f32_e32 v4, v4, v7
	v_cvt_i32_f32_e32 v7, v8
	v_exp_f32_e32 v4, v4
	s_waitcnt_depctr 0xfff
	v_ldexp_f32 v4, v4, v7
	s_delay_alu instid0(VALU_DEP_1) | instskip(SKIP_1) | instid1(VALU_DEP_2)
	v_cndmask_b32_e32 v4, 0, v4, vcc_lo
	v_cmp_ngt_f32_e32 vcc_lo, 0xc2b17218, v3
	v_cndmask_b32_e32 v3, 0x7f800000, v4, vcc_lo
	s_delay_alu instid0(VALU_DEP_1) | instskip(NEXT) | instid1(VALU_DEP_1)
	v_add_f32_e32 v3, 1.0, v3
	v_div_scale_f32 v4, null, v3, v3, 1.0
	v_div_scale_f32 v12, vcc_lo, 1.0, v3, 1.0
	s_delay_alu instid0(VALU_DEP_2) | instskip(SKIP_2) | instid1(VALU_DEP_1)
	v_rcp_f32_e32 v7, v4
	s_waitcnt_depctr 0xfff
	v_fma_f32 v8, -v4, v7, 1.0
	v_fmac_f32_e32 v7, v8, v7
	s_delay_alu instid0(VALU_DEP_1) | instskip(NEXT) | instid1(VALU_DEP_1)
	v_mul_f32_e32 v8, v12, v7
	v_fma_f32 v13, -v4, v8, v12
	s_delay_alu instid0(VALU_DEP_1) | instskip(NEXT) | instid1(VALU_DEP_1)
	v_dual_fmac_f32 v8, v13, v7 :: v_dual_mov_b32 v13, 0
	v_fma_f32 v4, -v4, v8, v12
	s_delay_alu instid0(VALU_DEP_1) | instskip(NEXT) | instid1(VALU_DEP_1)
	v_div_fmas_f32 v4, v4, v7, v8
	v_div_fixup_f32 v3, v4, v3, 1.0
	global_store_b32 v[5:6], v3, off offset:4
	s_cbranch_scc1 .LBB15_8
; %bb.5:
	v_cmp_lt_f32_e32 vcc_lo, v0, v1
	s_load_b128 s[8:11], s[0:1], 0x20
	v_mul_lo_u32 v7, v11, s2
	v_mul_lo_u32 v15, v11, s4
	v_cndmask_b32_e32 v12, v0, v1, vcc_lo
	v_cndmask_b32_e64 v14, 0, 1, vcc_lo
	s_delay_alu instid0(VALU_DEP_4) | instskip(NEXT) | instid1(VALU_DEP_3)
	v_ashrrev_i32_e32 v8, 31, v7
	v_sub_f32_e32 v13, v12, v12
	s_delay_alu instid0(VALU_DEP_3) | instskip(SKIP_4) | instid1(VALU_DEP_4)
	v_cmp_le_i32_e64 s0, s5, v14
	v_cmp_gt_i32_e64 s1, s6, v14
	v_subrev_nc_u32_e32 v18, s5, v14
	v_ashrrev_i32_e32 v16, 31, v15
	v_mul_f32_e32 v3, 0x3fb8aa3b, v13
	s_and_b32 s0, s0, s1
	s_delay_alu instid0(SALU_CYCLE_1) | instskip(NEXT) | instid1(VALU_DEP_1)
	s_and_b32 s0, s15, s0
	v_rndne_f32_e32 v5, v3
	s_cmp_eq_u32 s4, 1
	s_delay_alu instid0(VALU_DEP_1) | instskip(SKIP_3) | instid1(VALU_DEP_3)
	v_sub_f32_e32 v6, v3, v5
	v_fma_f32 v4, 0x3fb8aa3b, v13, -v3
	v_ashrrev_i32_e32 v3, 31, v2
	v_cvt_i32_f32_e32 v19, v5
	v_fmac_f32_e32 v4, 0x32a5705f, v13
	s_delay_alu instid0(VALU_DEP_1) | instskip(NEXT) | instid1(VALU_DEP_4)
	v_add_f32_e32 v6, v6, v4
	v_lshlrev_b64 v[3:4], 2, v[2:3]
	s_delay_alu instid0(VALU_DEP_2) | instskip(NEXT) | instid1(VALU_DEP_1)
	v_exp_f32_e32 v17, v6
	v_add_co_u32 v5, s2, s12, v3
	s_delay_alu instid0(VALU_DEP_1)
	v_add_co_ci_u32_e64 v6, s2, s13, v4, s2
	v_lshlrev_b64 v[3:4], 2, v[7:8]
	v_lshlrev_b64 v[7:8], 2, v[15:16]
	s_waitcnt_depctr 0xfff
	v_ldexp_f32 v17, v17, v19
	v_cndmask_b32_e64 v19, 2, v18, s0
	v_cmp_ngt_f32_e64 s0, 0xc2ce8ed0, v13
	s_delay_alu instid0(VALU_DEP_1) | instskip(SKIP_2) | instid1(VALU_DEP_1)
	v_cndmask_b32_e64 v17, 0, v17, s0
	s_waitcnt lgkmcnt(0)
	v_add_co_u32 v15, s0, s8, v3
	v_add_co_ci_u32_e64 v16, s0, s9, v4, s0
	v_cmp_nlt_f32_e64 s0, 0x42b17218, v13
	s_delay_alu instid0(VALU_DEP_1) | instskip(SKIP_1) | instid1(VALU_DEP_1)
	v_cndmask_b32_e64 v13, 0x7f800000, v17, s0
	v_add_co_u32 v17, s0, s10, v7
	v_add_co_ci_u32_e64 v18, s0, s11, v8, s0
	global_store_b32 v[15:16], v19, off
	global_store_b32 v[5:6], v13, off
	;; [unrolled: 1-line block ×3, first 2 shown]
	s_cbranch_scc1 .LBB15_8
; %bb.6:
	v_cndmask_b32_e32 v11, 0xff800000, v0, vcc_lo
	v_cmp_ne_u32_e32 vcc_lo, 1, v14
	s_add_i32 s16, s16, s14
	s_add_i32 s1, s4, -1
	v_cndmask_b32_e32 v14, 0xff800000, v1, vcc_lo
	v_add_co_u32 v0, vcc_lo, v7, s10
	v_add_co_ci_u32_e32 v1, vcc_lo, s11, v8, vcc_lo
	v_add_co_u32 v3, vcc_lo, v3, s8
	v_add_co_ci_u32_e32 v4, vcc_lo, s9, v4, vcc_lo
	s_delay_alu instid0(VALU_DEP_4) | instskip(NEXT) | instid1(VALU_DEP_4)
	v_add_co_u32 v0, vcc_lo, v0, 4
	v_add_co_ci_u32_e32 v1, vcc_lo, 0, v1, vcc_lo
	s_delay_alu instid0(VALU_DEP_4) | instskip(NEXT) | instid1(VALU_DEP_4)
	v_add_co_u32 v3, vcc_lo, v3, 4
	v_add_co_ci_u32_e32 v4, vcc_lo, 0, v4, vcc_lo
	v_add_co_u32 v5, vcc_lo, v5, 4
	v_add_co_ci_u32_e32 v6, vcc_lo, 0, v6, vcc_lo
	v_add3_u32 v7, s16, v10, v9
.LBB15_7:                               ; =>This Inner Loop Header: Depth=1
	v_cmp_gt_f32_e32 vcc_lo, v14, v11
	s_add_i32 s1, s1, -1
	v_cndmask_b32_e64 v9, 0, 1, vcc_lo
	v_cndmask_b32_e32 v8, v11, v14, vcc_lo
	v_cndmask_b32_e64 v14, v14, 0xff800000, vcc_lo
	v_cndmask_b32_e32 v11, 0xff800000, v11, vcc_lo
	s_delay_alu instid0(VALU_DEP_4) | instskip(SKIP_2) | instid1(VALU_DEP_2)
	v_cmp_le_i32_e32 vcc_lo, s5, v9
	v_cmp_gt_i32_e64 s0, s6, v9
	v_subrev_nc_u32_e32 v9, s5, v9
	s_and_b32 s0, vcc_lo, s0
	s_delay_alu instid0(SALU_CYCLE_1) | instskip(SKIP_1) | instid1(VALU_DEP_1)
	s_and_b32 vcc_lo, s15, s0
	s_cmp_eq_u32 s1, 0
	v_dual_cndmask_b32 v9, 2, v9 :: v_dual_sub_f32 v8, v8, v12
	global_store_b32 v[3:4], v9, off
	global_store_b32 v[0:1], v7, off
	v_dual_mul_f32 v10, 0x3fb8aa3b, v8 :: v_dual_add_nc_u32 v7, s14, v7
	v_add_co_u32 v0, vcc_lo, v0, 4
	v_add_co_ci_u32_e32 v1, vcc_lo, 0, v1, vcc_lo
	s_delay_alu instid0(VALU_DEP_3) | instskip(SKIP_3) | instid1(VALU_DEP_4)
	v_fma_f32 v15, 0x3fb8aa3b, v8, -v10
	v_rndne_f32_e32 v16, v10
	v_add_co_u32 v3, vcc_lo, v3, 4
	v_add_co_ci_u32_e32 v4, vcc_lo, 0, v4, vcc_lo
	v_fmac_f32_e32 v15, 0x32a5705f, v8
	s_delay_alu instid0(VALU_DEP_4) | instskip(SKIP_1) | instid1(VALU_DEP_2)
	v_sub_f32_e32 v10, v10, v16
	v_cvt_i32_f32_e32 v16, v16
	v_add_f32_e32 v9, v10, v15
	v_cmp_ngt_f32_e32 vcc_lo, 0xc2ce8ed0, v8
	s_delay_alu instid0(VALU_DEP_2) | instskip(SKIP_2) | instid1(VALU_DEP_1)
	v_exp_f32_e32 v9, v9
	s_waitcnt_depctr 0xfff
	v_ldexp_f32 v9, v9, v16
	v_cndmask_b32_e32 v9, 0, v9, vcc_lo
	v_cmp_nlt_f32_e32 vcc_lo, 0x42b17218, v8
	s_delay_alu instid0(VALU_DEP_2)
	v_cndmask_b32_e32 v8, 0x7f800000, v9, vcc_lo
	global_store_b32 v[5:6], v8, off
	v_add_co_u32 v5, vcc_lo, v5, 4
	v_add_f32_e32 v13, v13, v8
	v_add_co_ci_u32_e32 v6, vcc_lo, 0, v6, vcc_lo
	s_cbranch_scc0 .LBB15_7
.LBB15_8:
	s_delay_alu instid0(VALU_DEP_2)
	v_cmp_neq_f32_e32 vcc_lo, 0, v13
	s_and_b32 exec_lo, exec_lo, vcc_lo
	s_cbranch_execz .LBB15_12
; %bb.9:
	s_and_not1_b32 vcc_lo, exec_lo, s3
	s_cbranch_vccnz .LBB15_12
; %bb.10:
	v_div_scale_f32 v0, null, v13, v13, 1.0
	v_div_scale_f32 v4, vcc_lo, 1.0, v13, 1.0
	s_delay_alu instid0(VALU_DEP_2) | instskip(SKIP_2) | instid1(VALU_DEP_1)
	v_rcp_f32_e32 v1, v0
	s_waitcnt_depctr 0xfff
	v_fma_f32 v3, -v0, v1, 1.0
	v_fmac_f32_e32 v1, v3, v1
	s_delay_alu instid0(VALU_DEP_1) | instskip(NEXT) | instid1(VALU_DEP_1)
	v_mul_f32_e32 v5, v4, v1
	v_fma_f32 v3, -v0, v5, v4
	s_delay_alu instid0(VALU_DEP_1) | instskip(SKIP_1) | instid1(VALU_DEP_2)
	v_fmac_f32_e32 v5, v3, v1
	v_ashrrev_i32_e32 v3, 31, v2
	v_fma_f32 v0, -v0, v5, v4
	s_delay_alu instid0(VALU_DEP_1) | instskip(NEXT) | instid1(VALU_DEP_3)
	v_div_fmas_f32 v4, v0, v1, v5
	v_lshlrev_b64 v[0:1], 2, v[2:3]
	s_delay_alu instid0(VALU_DEP_2) | instskip(NEXT) | instid1(VALU_DEP_2)
	v_div_fixup_f32 v2, v4, v13, 1.0
	v_add_co_u32 v0, vcc_lo, s12, v0
	s_delay_alu instid0(VALU_DEP_3)
	v_add_co_ci_u32_e32 v1, vcc_lo, s13, v1, vcc_lo
.LBB15_11:                              ; =>This Inner Loop Header: Depth=1
	global_load_b32 v3, v[0:1], off
	s_add_i32 s4, s4, -1
	s_delay_alu instid0(SALU_CYCLE_1)
	s_cmp_lg_u32 s4, 0
	s_waitcnt vmcnt(0)
	v_mul_f32_e32 v3, v2, v3
	global_store_b32 v[0:1], v3, off
	v_add_co_u32 v0, vcc_lo, v0, 4
	v_add_co_ci_u32_e32 v1, vcc_lo, 0, v1, vcc_lo
	s_cbranch_scc1 .LBB15_11
.LBB15_12:
	s_nop 0
	s_sendmsg sendmsg(MSG_DEALLOC_VGPRS)
	s_endpgm
	.section	.rodata,"a",@progbits
	.p2align	6, 0x0
	.amdhsa_kernel _ZN4vllm3moe17topkGatingSoftmaxIfLi2ELi2ELi8ELi8ELb1ELi2ELNS0_23SharedExpertScoringFuncE1EEEvPKT_PKbPfiPiS9_iiiiii
		.amdhsa_group_segment_fixed_size 0
		.amdhsa_private_segment_fixed_size 0
		.amdhsa_kernarg_size 72
		.amdhsa_user_sgpr_count 15
		.amdhsa_user_sgpr_dispatch_ptr 0
		.amdhsa_user_sgpr_queue_ptr 0
		.amdhsa_user_sgpr_kernarg_segment_ptr 1
		.amdhsa_user_sgpr_dispatch_id 0
		.amdhsa_user_sgpr_private_segment_size 0
		.amdhsa_wavefront_size32 1
		.amdhsa_uses_dynamic_stack 0
		.amdhsa_enable_private_segment 0
		.amdhsa_system_sgpr_workgroup_id_x 1
		.amdhsa_system_sgpr_workgroup_id_y 0
		.amdhsa_system_sgpr_workgroup_id_z 0
		.amdhsa_system_sgpr_workgroup_info 0
		.amdhsa_system_vgpr_workitem_id 1
		.amdhsa_next_free_vgpr 20
		.amdhsa_next_free_sgpr 17
		.amdhsa_reserve_vcc 1
		.amdhsa_float_round_mode_32 0
		.amdhsa_float_round_mode_16_64 0
		.amdhsa_float_denorm_mode_32 3
		.amdhsa_float_denorm_mode_16_64 3
		.amdhsa_dx10_clamp 1
		.amdhsa_ieee_mode 1
		.amdhsa_fp16_overflow 0
		.amdhsa_workgroup_processor_mode 1
		.amdhsa_memory_ordered 1
		.amdhsa_forward_progress 0
		.amdhsa_shared_vgpr_count 0
		.amdhsa_exception_fp_ieee_invalid_op 0
		.amdhsa_exception_fp_denorm_src 0
		.amdhsa_exception_fp_ieee_div_zero 0
		.amdhsa_exception_fp_ieee_overflow 0
		.amdhsa_exception_fp_ieee_underflow 0
		.amdhsa_exception_fp_ieee_inexact 0
		.amdhsa_exception_int_div_zero 0
	.end_amdhsa_kernel
	.section	.text._ZN4vllm3moe17topkGatingSoftmaxIfLi2ELi2ELi8ELi8ELb1ELi2ELNS0_23SharedExpertScoringFuncE1EEEvPKT_PKbPfiPiS9_iiiiii,"axG",@progbits,_ZN4vllm3moe17topkGatingSoftmaxIfLi2ELi2ELi8ELi8ELb1ELi2ELNS0_23SharedExpertScoringFuncE1EEEvPKT_PKbPfiPiS9_iiiiii,comdat
.Lfunc_end15:
	.size	_ZN4vllm3moe17topkGatingSoftmaxIfLi2ELi2ELi8ELi8ELb1ELi2ELNS0_23SharedExpertScoringFuncE1EEEvPKT_PKbPfiPiS9_iiiiii, .Lfunc_end15-_ZN4vllm3moe17topkGatingSoftmaxIfLi2ELi2ELi8ELi8ELb1ELi2ELNS0_23SharedExpertScoringFuncE1EEEvPKT_PKbPfiPiS9_iiiiii
                                        ; -- End function
	.section	.AMDGPU.csdata,"",@progbits
; Kernel info:
; codeLenInByte = 1644
; NumSgprs: 19
; NumVgprs: 20
; ScratchSize: 0
; MemoryBound: 0
; FloatMode: 240
; IeeeMode: 1
; LDSByteSize: 0 bytes/workgroup (compile time only)
; SGPRBlocks: 2
; VGPRBlocks: 2
; NumSGPRsForWavesPerEU: 19
; NumVGPRsForWavesPerEU: 20
; Occupancy: 16
; WaveLimiterHint : 0
; COMPUTE_PGM_RSRC2:SCRATCH_EN: 0
; COMPUTE_PGM_RSRC2:USER_SGPR: 15
; COMPUTE_PGM_RSRC2:TRAP_HANDLER: 0
; COMPUTE_PGM_RSRC2:TGID_X_EN: 1
; COMPUTE_PGM_RSRC2:TGID_Y_EN: 0
; COMPUTE_PGM_RSRC2:TGID_Z_EN: 0
; COMPUTE_PGM_RSRC2:TIDIG_COMP_CNT: 1
	.section	.text._ZN4vllm3moe17topkGatingSoftmaxIfLi2ELi2ELi8ELi8ELb0ELi2ELNS0_23SharedExpertScoringFuncE1EEEvPKT_PKbPfiPiS9_iiiiii,"axG",@progbits,_ZN4vllm3moe17topkGatingSoftmaxIfLi2ELi2ELi8ELi8ELb0ELi2ELNS0_23SharedExpertScoringFuncE1EEEvPKT_PKbPfiPiS9_iiiiii,comdat
	.protected	_ZN4vllm3moe17topkGatingSoftmaxIfLi2ELi2ELi8ELi8ELb0ELi2ELNS0_23SharedExpertScoringFuncE1EEEvPKT_PKbPfiPiS9_iiiiii ; -- Begin function _ZN4vllm3moe17topkGatingSoftmaxIfLi2ELi2ELi8ELi8ELb0ELi2ELNS0_23SharedExpertScoringFuncE1EEEvPKT_PKbPfiPiS9_iiiiii
	.globl	_ZN4vllm3moe17topkGatingSoftmaxIfLi2ELi2ELi8ELi8ELb0ELi2ELNS0_23SharedExpertScoringFuncE1EEEvPKT_PKbPfiPiS9_iiiiii
	.p2align	8
	.type	_ZN4vllm3moe17topkGatingSoftmaxIfLi2ELi2ELi8ELi8ELb0ELi2ELNS0_23SharedExpertScoringFuncE1EEEvPKT_PKbPfiPiS9_iiiiii,@function
_ZN4vllm3moe17topkGatingSoftmaxIfLi2ELi2ELi8ELi8ELb0ELi2ELNS0_23SharedExpertScoringFuncE1EEEvPKT_PKbPfiPiS9_iiiiii: ; @_ZN4vllm3moe17topkGatingSoftmaxIfLi2ELi2ELi8ELi8ELb0ELi2ELNS0_23SharedExpertScoringFuncE1EEEvPKT_PKbPfiPiS9_iiiiii
; %bb.0:
	s_load_b32 s14, s[0:1], 0x18
	v_bfe_u32 v1, v0, 10, 10
	v_and_b32_e32 v10, 0x3ff, v0
	s_lshl_b32 s16, s15, 8
	s_mov_b32 s2, exec_lo
	s_delay_alu instid0(VALU_DEP_2) | instskip(NEXT) | instid1(VALU_DEP_1)
	v_lshlrev_b32_e32 v9, 5, v1
	v_add3_u32 v12, v9, v10, s16
	s_waitcnt lgkmcnt(0)
	s_delay_alu instid0(VALU_DEP_1)
	v_cmpx_gt_i32_e64 s14, v12
	s_cbranch_execz .LBB16_12
; %bb.1:
	s_clause 0x1
	s_load_b128 s[4:7], s[0:1], 0x0
	s_load_b64 s[2:3], s[0:1], 0x10
	s_waitcnt lgkmcnt(0)
	s_cmp_eq_u64 s[6:7], 0
	s_cbranch_scc1 .LBB16_3
; %bb.2:
	v_ashrrev_i32_e32 v1, 31, v12
	v_add_co_u32 v0, vcc_lo, s6, v12
	s_delay_alu instid0(VALU_DEP_2) | instskip(SKIP_3) | instid1(VALU_DEP_1)
	v_add_co_ci_u32_e32 v1, vcc_lo, s7, v1, vcc_lo
	global_load_u8 v0, v[0:1], off
	s_waitcnt vmcnt(0)
	v_and_b32_e32 v0, 1, v0
	v_cmp_eq_u32_e32 vcc_lo, 1, v0
	s_xor_b32 s6, vcc_lo, -1
	s_delay_alu instid0(SALU_CYCLE_1)
	s_or_not1_b32 s15, s6, exec_lo
	s_branch .LBB16_4
.LBB16_3:
	s_mov_b32 s15, -1
.LBB16_4:
	s_load_b64 s[12:13], s[0:1], 0x40
	s_waitcnt lgkmcnt(0)
	v_mul_lo_u32 v0, v12, s13
	s_delay_alu instid0(VALU_DEP_1) | instskip(NEXT) | instid1(VALU_DEP_1)
	v_ashrrev_i32_e32 v1, 31, v0
	v_lshlrev_b64 v[0:1], 2, v[0:1]
	s_delay_alu instid0(VALU_DEP_1) | instskip(NEXT) | instid1(VALU_DEP_2)
	v_add_co_u32 v3, vcc_lo, s4, v0
	v_add_co_ci_u32_e32 v4, vcc_lo, s5, v1, vcc_lo
	s_load_b128 s[4:7], s[0:1], 0x30
	global_load_b96 v[0:2], v[3:4], off
	s_waitcnt lgkmcnt(0)
	s_cmp_gt_i32 s4, 0
	s_waitcnt vmcnt(0)
	v_mul_f32_e32 v5, 0xbfb8aa3b, v2
	v_cmp_nlt_f32_e32 vcc_lo, 0x42ce8ed0, v2
	s_delay_alu instid0(VALU_DEP_2) | instskip(SKIP_1) | instid1(VALU_DEP_1)
	v_fma_f32 v6, 0xbfb8aa3b, v2, -v5
	v_rndne_f32_e32 v7, v5
	v_dual_fmac_f32 v6, 0xb2a5705f, v2 :: v_dual_sub_f32 v5, v5, v7
	s_delay_alu instid0(VALU_DEP_1) | instskip(SKIP_1) | instid1(VALU_DEP_2)
	v_add_f32_e32 v5, v5, v6
	v_cvt_i32_f32_e32 v6, v7
	v_exp_f32_e32 v5, v5
	s_waitcnt_depctr 0xfff
	v_ldexp_f32 v5, v5, v6
	s_delay_alu instid0(VALU_DEP_1) | instskip(SKIP_1) | instid1(VALU_DEP_2)
	v_cndmask_b32_e32 v5, 0, v5, vcc_lo
	v_cmp_ngt_f32_e32 vcc_lo, 0xc2b17218, v2
	v_cndmask_b32_e32 v2, 0x7f800000, v5, vcc_lo
	s_delay_alu instid0(VALU_DEP_1) | instskip(NEXT) | instid1(VALU_DEP_1)
	v_add_f32_e32 v7, 1.0, v2
	v_div_scale_f32 v8, null, v7, v7, 1.0
	v_div_scale_f32 v13, vcc_lo, 1.0, v7, 1.0
	s_delay_alu instid0(VALU_DEP_2) | instskip(SKIP_2) | instid1(VALU_DEP_1)
	v_rcp_f32_e32 v11, v8
	s_waitcnt_depctr 0xfff
	v_fma_f32 v2, -v8, v11, 1.0
	v_fmac_f32_e32 v11, v2, v11
	v_mul_lo_u32 v2, v12, s7
	s_cselect_b32 s7, -1, 0
	s_cmp_lt_i32 s4, 1
	s_delay_alu instid0(VALU_DEP_1) | instskip(NEXT) | instid1(VALU_DEP_1)
	v_dual_mul_f32 v14, v13, v11 :: v_dual_add_nc_u32 v5, s4, v2
	v_fma_f32 v6, -v8, v14, v13
	s_delay_alu instid0(VALU_DEP_1) | instskip(NEXT) | instid1(VALU_DEP_3)
	v_fmac_f32_e32 v14, v6, v11
	v_ashrrev_i32_e32 v6, 31, v5
	s_delay_alu instid0(VALU_DEP_2) | instskip(NEXT) | instid1(VALU_DEP_2)
	v_fma_f32 v8, -v8, v14, v13
	v_lshlrev_b64 v[5:6], 2, v[5:6]
	s_delay_alu instid0(VALU_DEP_2) | instskip(NEXT) | instid1(VALU_DEP_2)
	v_div_fmas_f32 v8, v8, v11, v14
	v_add_co_u32 v5, vcc_lo, s2, v5
	s_delay_alu instid0(VALU_DEP_3) | instskip(NEXT) | instid1(VALU_DEP_3)
	v_add_co_ci_u32_e32 v6, vcc_lo, s3, v6, vcc_lo
	v_div_fixup_f32 v7, v8, v7, 1.0
	global_store_b32 v[5:6], v7, off
	global_load_b32 v3, v[3:4], off offset:12
	s_waitcnt vmcnt(0)
	v_mul_f32_e32 v4, 0xbfb8aa3b, v3
	v_cmp_nlt_f32_e32 vcc_lo, 0x42ce8ed0, v3
	s_delay_alu instid0(VALU_DEP_2) | instskip(SKIP_1) | instid1(VALU_DEP_1)
	v_fma_f32 v7, 0xbfb8aa3b, v3, -v4
	v_rndne_f32_e32 v8, v4
	v_dual_fmac_f32 v7, 0xb2a5705f, v3 :: v_dual_sub_f32 v4, v4, v8
	s_delay_alu instid0(VALU_DEP_1) | instskip(SKIP_1) | instid1(VALU_DEP_2)
	v_add_f32_e32 v4, v4, v7
	v_cvt_i32_f32_e32 v7, v8
	v_exp_f32_e32 v4, v4
	s_waitcnt_depctr 0xfff
	v_ldexp_f32 v4, v4, v7
	s_delay_alu instid0(VALU_DEP_1) | instskip(SKIP_1) | instid1(VALU_DEP_2)
	v_cndmask_b32_e32 v4, 0, v4, vcc_lo
	v_cmp_ngt_f32_e32 vcc_lo, 0xc2b17218, v3
	v_cndmask_b32_e32 v3, 0x7f800000, v4, vcc_lo
	s_delay_alu instid0(VALU_DEP_1) | instskip(NEXT) | instid1(VALU_DEP_1)
	v_add_f32_e32 v3, 1.0, v3
	v_div_scale_f32 v4, null, v3, v3, 1.0
	v_div_scale_f32 v11, vcc_lo, 1.0, v3, 1.0
	s_delay_alu instid0(VALU_DEP_2) | instskip(SKIP_2) | instid1(VALU_DEP_1)
	v_rcp_f32_e32 v7, v4
	s_waitcnt_depctr 0xfff
	v_fma_f32 v8, -v4, v7, 1.0
	v_fmac_f32_e32 v7, v8, v7
	s_delay_alu instid0(VALU_DEP_1) | instskip(NEXT) | instid1(VALU_DEP_1)
	v_mul_f32_e32 v8, v11, v7
	v_fma_f32 v13, -v4, v8, v11
	s_delay_alu instid0(VALU_DEP_1) | instskip(NEXT) | instid1(VALU_DEP_1)
	v_dual_fmac_f32 v8, v13, v7 :: v_dual_mov_b32 v13, 0
	v_fma_f32 v4, -v4, v8, v11
	s_delay_alu instid0(VALU_DEP_1) | instskip(SKIP_1) | instid1(VALU_DEP_2)
	v_div_fmas_f32 v4, v4, v7, v8
	v_cmp_lt_f32_e32 vcc_lo, v0, v1
	v_div_fixup_f32 v3, v4, v3, 1.0
	v_cndmask_b32_e32 v11, v0, v1, vcc_lo
	global_store_b32 v[5:6], v3, off offset:4
	s_cbranch_scc1 .LBB16_8
; %bb.5:
	v_ashrrev_i32_e32 v3, 31, v2
	v_cndmask_b32_e64 v19, 0, 1, vcc_lo
	s_load_b128 s[8:11], s[0:1], 0x20
	v_cndmask_b32_e32 v0, 0xff800000, v0, vcc_lo
	v_sub_f32_e32 v18, v11, v11
	v_lshlrev_b64 v[7:8], 2, v[2:3]
	v_cmp_le_i32_e32 vcc_lo, s5, v19
	v_cmp_gt_i32_e64 s0, s6, v19
	v_subrev_nc_u32_e32 v15, s5, v19
	v_mul_lo_u32 v4, v12, s12
	v_mul_lo_u32 v13, v12, s4
	s_delay_alu instid0(VALU_DEP_4)
	s_and_b32 s0, vcc_lo, s0
	v_add_co_u32 v7, vcc_lo, s2, v7
	v_add_co_ci_u32_e32 v8, vcc_lo, s3, v8, vcc_lo
	s_and_b32 vcc_lo, s15, s0
	v_dual_mul_f32 v5, 0x3fb8aa3b, v18 :: v_dual_cndmask_b32 v20, 2, v15
	s_cmp_eq_u32 s4, 1
	s_delay_alu instid0(VALU_DEP_1) | instskip(SKIP_1) | instid1(VALU_DEP_2)
	v_rndne_f32_e32 v6, v5
	v_fma_f32 v14, 0x3fb8aa3b, v18, -v5
	v_sub_f32_e32 v5, v5, v6
	s_delay_alu instid0(VALU_DEP_2) | instskip(SKIP_1) | instid1(VALU_DEP_2)
	v_fmac_f32_e32 v14, 0x32a5705f, v18
	v_cvt_i32_f32_e32 v17, v6
	v_add_f32_e32 v3, v5, v14
	v_ashrrev_i32_e32 v5, 31, v4
	v_ashrrev_i32_e32 v14, 31, v13
	s_delay_alu instid0(VALU_DEP_3) | instskip(NEXT) | instid1(VALU_DEP_2)
	v_exp_f32_e32 v16, v3
	v_lshlrev_b64 v[3:4], 2, v[4:5]
	s_delay_alu instid0(VALU_DEP_2) | instskip(SKIP_1) | instid1(VALU_DEP_2)
	v_lshlrev_b64 v[5:6], 2, v[13:14]
	s_waitcnt lgkmcnt(0)
	v_add_co_u32 v14, vcc_lo, s8, v3
	s_delay_alu instid0(VALU_DEP_3) | instskip(SKIP_3) | instid1(VALU_DEP_2)
	v_add_co_ci_u32_e32 v15, vcc_lo, s9, v4, vcc_lo
	s_waitcnt_depctr 0xfff
	v_ldexp_f32 v13, v16, v17
	v_cmp_ngt_f32_e32 vcc_lo, 0xc2ce8ed0, v18
	v_cndmask_b32_e32 v13, 0, v13, vcc_lo
	v_add_co_u32 v16, vcc_lo, s10, v5
	v_add_co_ci_u32_e32 v17, vcc_lo, s11, v6, vcc_lo
	v_cmp_nlt_f32_e32 vcc_lo, 0x42b17218, v18
	s_delay_alu instid0(VALU_DEP_4)
	v_cndmask_b32_e32 v13, 0x7f800000, v13, vcc_lo
	v_cmp_ne_u32_e32 vcc_lo, 1, v19
	global_store_b32 v[14:15], v20, off
	global_store_b32 v[7:8], v13, off
	;; [unrolled: 1-line block ×3, first 2 shown]
	v_cndmask_b32_e32 v1, 0xff800000, v1, vcc_lo
	s_cbranch_scc1 .LBB16_8
; %bb.6:
	v_add_co_u32 v5, vcc_lo, v5, s10
	v_add_co_ci_u32_e32 v6, vcc_lo, s11, v6, vcc_lo
	v_add_co_u32 v12, vcc_lo, v3, s8
	v_add_co_ci_u32_e32 v14, vcc_lo, s9, v4, vcc_lo
	s_delay_alu instid0(VALU_DEP_4) | instskip(NEXT) | instid1(VALU_DEP_4)
	v_add_co_u32 v3, vcc_lo, v5, 4
	v_add_co_ci_u32_e32 v4, vcc_lo, 0, v6, vcc_lo
	s_delay_alu instid0(VALU_DEP_4) | instskip(NEXT) | instid1(VALU_DEP_4)
	v_add_co_u32 v5, vcc_lo, v12, 4
	v_add_co_ci_u32_e32 v6, vcc_lo, 0, v14, vcc_lo
	s_add_i32 s16, s16, s14
	v_add_co_u32 v7, vcc_lo, v7, 4
	v_add_co_ci_u32_e32 v8, vcc_lo, 0, v8, vcc_lo
	v_add3_u32 v9, s16, v10, v9
	s_add_i32 s1, s4, -1
.LBB16_7:                               ; =>This Inner Loop Header: Depth=1
	v_cmp_gt_f32_e32 vcc_lo, v1, v0
	s_add_i32 s1, s1, -1
	v_cndmask_b32_e64 v12, 0, 1, vcc_lo
	v_cndmask_b32_e32 v10, v0, v1, vcc_lo
	v_cndmask_b32_e64 v1, v1, 0xff800000, vcc_lo
	v_cndmask_b32_e32 v0, 0xff800000, v0, vcc_lo
	s_delay_alu instid0(VALU_DEP_4) | instskip(SKIP_3) | instid1(VALU_DEP_3)
	v_cmp_le_i32_e32 vcc_lo, s5, v12
	v_cmp_gt_i32_e64 s0, s6, v12
	v_subrev_nc_u32_e32 v12, s5, v12
	v_sub_f32_e32 v10, v10, v11
	s_and_b32 s0, vcc_lo, s0
	s_delay_alu instid0(SALU_CYCLE_1)
	s_and_b32 vcc_lo, s15, s0
	s_cmp_eq_u32 s1, 0
	v_cndmask_b32_e32 v12, 2, v12, vcc_lo
	global_store_b32 v[5:6], v12, off
	global_store_b32 v[3:4], v9, off
	v_dual_mul_f32 v14, 0x3fb8aa3b, v10 :: v_dual_add_nc_u32 v9, s14, v9
	v_add_co_u32 v3, vcc_lo, v3, 4
	v_add_co_ci_u32_e32 v4, vcc_lo, 0, v4, vcc_lo
	s_delay_alu instid0(VALU_DEP_3) | instskip(SKIP_3) | instid1(VALU_DEP_3)
	v_fma_f32 v15, 0x3fb8aa3b, v10, -v14
	v_rndne_f32_e32 v16, v14
	v_add_co_u32 v5, vcc_lo, v5, 4
	v_add_co_ci_u32_e32 v6, vcc_lo, 0, v6, vcc_lo
	v_dual_fmac_f32 v15, 0x32a5705f, v10 :: v_dual_sub_f32 v14, v14, v16
	v_cvt_i32_f32_e32 v16, v16
	v_cmp_ngt_f32_e32 vcc_lo, 0xc2ce8ed0, v10
	s_delay_alu instid0(VALU_DEP_3) | instskip(NEXT) | instid1(VALU_DEP_1)
	v_add_f32_e32 v12, v14, v15
	v_exp_f32_e32 v12, v12
	s_waitcnt_depctr 0xfff
	v_ldexp_f32 v12, v12, v16
	s_delay_alu instid0(VALU_DEP_1) | instskip(SKIP_1) | instid1(VALU_DEP_2)
	v_cndmask_b32_e32 v12, 0, v12, vcc_lo
	v_cmp_nlt_f32_e32 vcc_lo, 0x42b17218, v10
	v_cndmask_b32_e32 v10, 0x7f800000, v12, vcc_lo
	global_store_b32 v[7:8], v10, off
	v_add_co_u32 v7, vcc_lo, v7, 4
	v_add_f32_e32 v13, v13, v10
	v_add_co_ci_u32_e32 v8, vcc_lo, 0, v8, vcc_lo
	s_cbranch_scc0 .LBB16_7
.LBB16_8:
	v_sub_f32_e32 v0, v0, v11
	s_delay_alu instid0(VALU_DEP_2) | instskip(NEXT) | instid1(VALU_DEP_1)
	v_sub_f32_e32 v1, v1, v11
	v_dual_mul_f32 v3, 0x3fb8aa3b, v0 :: v_dual_mul_f32 v4, 0x3fb8aa3b, v1
	s_delay_alu instid0(VALU_DEP_1) | instskip(SKIP_1) | instid1(VALU_DEP_3)
	v_fma_f32 v5, 0x3fb8aa3b, v0, -v3
	v_rndne_f32_e32 v6, v3
	v_fma_f32 v7, 0x3fb8aa3b, v1, -v4
	v_rndne_f32_e32 v8, v4
	s_delay_alu instid0(VALU_DEP_3) | instskip(SKIP_1) | instid1(VALU_DEP_3)
	v_sub_f32_e32 v3, v3, v6
	v_cmp_ngt_f32_e32 vcc_lo, 0xc2ce8ed0, v0
	v_dual_sub_f32 v4, v4, v8 :: v_dual_fmac_f32 v7, 0x32a5705f, v1
	s_delay_alu instid0(VALU_DEP_1) | instskip(NEXT) | instid1(VALU_DEP_1)
	v_dual_fmac_f32 v5, 0x32a5705f, v0 :: v_dual_add_f32 v4, v4, v7
	v_add_f32_e32 v3, v3, v5
	v_cvt_i32_f32_e32 v5, v6
	v_cvt_i32_f32_e32 v6, v8
	s_delay_alu instid0(VALU_DEP_4) | instskip(NEXT) | instid1(VALU_DEP_3)
	v_exp_f32_e32 v4, v4
	v_exp_f32_e32 v3, v3
	s_waitcnt_depctr 0xfff
	v_ldexp_f32 v4, v4, v6
	v_ldexp_f32 v3, v3, v5
	s_delay_alu instid0(VALU_DEP_1) | instskip(SKIP_1) | instid1(VALU_DEP_4)
	v_cndmask_b32_e32 v3, 0, v3, vcc_lo
	v_cmp_ngt_f32_e32 vcc_lo, 0xc2ce8ed0, v1
	v_cndmask_b32_e32 v4, 0, v4, vcc_lo
	v_cmp_nlt_f32_e32 vcc_lo, 0x42b17218, v0
	s_delay_alu instid0(VALU_DEP_4) | instskip(SKIP_1) | instid1(VALU_DEP_4)
	v_cndmask_b32_e32 v0, 0x7f800000, v3, vcc_lo
	v_cmp_nlt_f32_e32 vcc_lo, 0x42b17218, v1
	v_cndmask_b32_e32 v1, 0x7f800000, v4, vcc_lo
	s_delay_alu instid0(VALU_DEP_1) | instskip(NEXT) | instid1(VALU_DEP_1)
	v_add_f32_e32 v0, v0, v1
	v_add_f32_e32 v0, v13, v0
	s_delay_alu instid0(VALU_DEP_1)
	v_cmp_neq_f32_e32 vcc_lo, 0, v0
	s_and_b32 exec_lo, exec_lo, vcc_lo
	s_cbranch_execz .LBB16_12
; %bb.9:
	s_and_not1_b32 vcc_lo, exec_lo, s7
	s_cbranch_vccnz .LBB16_12
; %bb.10:
	v_div_scale_f32 v1, null, v0, v0, 1.0
	v_div_scale_f32 v5, vcc_lo, 1.0, v0, 1.0
	s_delay_alu instid0(VALU_DEP_2) | instskip(SKIP_2) | instid1(VALU_DEP_1)
	v_rcp_f32_e32 v4, v1
	s_waitcnt_depctr 0xfff
	v_fma_f32 v3, -v1, v4, 1.0
	v_fmac_f32_e32 v4, v3, v4
	s_delay_alu instid0(VALU_DEP_1) | instskip(NEXT) | instid1(VALU_DEP_1)
	v_mul_f32_e32 v6, v5, v4
	v_fma_f32 v3, -v1, v6, v5
	s_delay_alu instid0(VALU_DEP_1) | instskip(SKIP_1) | instid1(VALU_DEP_2)
	v_fmac_f32_e32 v6, v3, v4
	v_ashrrev_i32_e32 v3, 31, v2
	v_fma_f32 v1, -v1, v6, v5
	s_delay_alu instid0(VALU_DEP_1) | instskip(NEXT) | instid1(VALU_DEP_3)
	v_div_fmas_f32 v1, v1, v4, v6
	v_lshlrev_b64 v[3:4], 2, v[2:3]
	s_delay_alu instid0(VALU_DEP_2) | instskip(NEXT) | instid1(VALU_DEP_2)
	v_div_fixup_f32 v2, v1, v0, 1.0
	v_add_co_u32 v0, vcc_lo, s2, v3
	s_delay_alu instid0(VALU_DEP_3)
	v_add_co_ci_u32_e32 v1, vcc_lo, s3, v4, vcc_lo
.LBB16_11:                              ; =>This Inner Loop Header: Depth=1
	global_load_b32 v3, v[0:1], off
	s_add_i32 s4, s4, -1
	s_delay_alu instid0(SALU_CYCLE_1)
	s_cmp_lg_u32 s4, 0
	s_waitcnt vmcnt(0)
	v_mul_f32_e32 v3, v2, v3
	global_store_b32 v[0:1], v3, off
	v_add_co_u32 v0, vcc_lo, v0, 4
	v_add_co_ci_u32_e32 v1, vcc_lo, 0, v1, vcc_lo
	s_cbranch_scc1 .LBB16_11
.LBB16_12:
	s_nop 0
	s_sendmsg sendmsg(MSG_DEALLOC_VGPRS)
	s_endpgm
	.section	.rodata,"a",@progbits
	.p2align	6, 0x0
	.amdhsa_kernel _ZN4vllm3moe17topkGatingSoftmaxIfLi2ELi2ELi8ELi8ELb0ELi2ELNS0_23SharedExpertScoringFuncE1EEEvPKT_PKbPfiPiS9_iiiiii
		.amdhsa_group_segment_fixed_size 0
		.amdhsa_private_segment_fixed_size 0
		.amdhsa_kernarg_size 72
		.amdhsa_user_sgpr_count 15
		.amdhsa_user_sgpr_dispatch_ptr 0
		.amdhsa_user_sgpr_queue_ptr 0
		.amdhsa_user_sgpr_kernarg_segment_ptr 1
		.amdhsa_user_sgpr_dispatch_id 0
		.amdhsa_user_sgpr_private_segment_size 0
		.amdhsa_wavefront_size32 1
		.amdhsa_uses_dynamic_stack 0
		.amdhsa_enable_private_segment 0
		.amdhsa_system_sgpr_workgroup_id_x 1
		.amdhsa_system_sgpr_workgroup_id_y 0
		.amdhsa_system_sgpr_workgroup_id_z 0
		.amdhsa_system_sgpr_workgroup_info 0
		.amdhsa_system_vgpr_workitem_id 1
		.amdhsa_next_free_vgpr 21
		.amdhsa_next_free_sgpr 17
		.amdhsa_reserve_vcc 1
		.amdhsa_float_round_mode_32 0
		.amdhsa_float_round_mode_16_64 0
		.amdhsa_float_denorm_mode_32 3
		.amdhsa_float_denorm_mode_16_64 3
		.amdhsa_dx10_clamp 1
		.amdhsa_ieee_mode 1
		.amdhsa_fp16_overflow 0
		.amdhsa_workgroup_processor_mode 1
		.amdhsa_memory_ordered 1
		.amdhsa_forward_progress 0
		.amdhsa_shared_vgpr_count 0
		.amdhsa_exception_fp_ieee_invalid_op 0
		.amdhsa_exception_fp_denorm_src 0
		.amdhsa_exception_fp_ieee_div_zero 0
		.amdhsa_exception_fp_ieee_overflow 0
		.amdhsa_exception_fp_ieee_underflow 0
		.amdhsa_exception_fp_ieee_inexact 0
		.amdhsa_exception_int_div_zero 0
	.end_amdhsa_kernel
	.section	.text._ZN4vllm3moe17topkGatingSoftmaxIfLi2ELi2ELi8ELi8ELb0ELi2ELNS0_23SharedExpertScoringFuncE1EEEvPKT_PKbPfiPiS9_iiiiii,"axG",@progbits,_ZN4vllm3moe17topkGatingSoftmaxIfLi2ELi2ELi8ELi8ELb0ELi2ELNS0_23SharedExpertScoringFuncE1EEEvPKT_PKbPfiPiS9_iiiiii,comdat
.Lfunc_end16:
	.size	_ZN4vllm3moe17topkGatingSoftmaxIfLi2ELi2ELi8ELi8ELb0ELi2ELNS0_23SharedExpertScoringFuncE1EEEvPKT_PKbPfiPiS9_iiiiii, .Lfunc_end16-_ZN4vllm3moe17topkGatingSoftmaxIfLi2ELi2ELi8ELi8ELb0ELi2ELNS0_23SharedExpertScoringFuncE1EEEvPKT_PKbPfiPiS9_iiiiii
                                        ; -- End function
	.section	.AMDGPU.csdata,"",@progbits
; Kernel info:
; codeLenInByte = 1812
; NumSgprs: 19
; NumVgprs: 21
; ScratchSize: 0
; MemoryBound: 0
; FloatMode: 240
; IeeeMode: 1
; LDSByteSize: 0 bytes/workgroup (compile time only)
; SGPRBlocks: 2
; VGPRBlocks: 2
; NumSGPRsForWavesPerEU: 19
; NumVGPRsForWavesPerEU: 21
; Occupancy: 16
; WaveLimiterHint : 0
; COMPUTE_PGM_RSRC2:SCRATCH_EN: 0
; COMPUTE_PGM_RSRC2:USER_SGPR: 15
; COMPUTE_PGM_RSRC2:TRAP_HANDLER: 0
; COMPUTE_PGM_RSRC2:TGID_X_EN: 1
; COMPUTE_PGM_RSRC2:TGID_Y_EN: 0
; COMPUTE_PGM_RSRC2:TGID_Z_EN: 0
; COMPUTE_PGM_RSRC2:TIDIG_COMP_CNT: 1
	.section	.text._ZN4vllm3moe17topkGatingSoftmaxIfLi2ELi2ELi8ELi8ELb1ELi4ELNS0_23SharedExpertScoringFuncE1EEEvPKT_PKbPfiPiS9_iiiiii,"axG",@progbits,_ZN4vllm3moe17topkGatingSoftmaxIfLi2ELi2ELi8ELi8ELb1ELi4ELNS0_23SharedExpertScoringFuncE1EEEvPKT_PKbPfiPiS9_iiiiii,comdat
	.protected	_ZN4vllm3moe17topkGatingSoftmaxIfLi2ELi2ELi8ELi8ELb1ELi4ELNS0_23SharedExpertScoringFuncE1EEEvPKT_PKbPfiPiS9_iiiiii ; -- Begin function _ZN4vllm3moe17topkGatingSoftmaxIfLi2ELi2ELi8ELi8ELb1ELi4ELNS0_23SharedExpertScoringFuncE1EEEvPKT_PKbPfiPiS9_iiiiii
	.globl	_ZN4vllm3moe17topkGatingSoftmaxIfLi2ELi2ELi8ELi8ELb1ELi4ELNS0_23SharedExpertScoringFuncE1EEEvPKT_PKbPfiPiS9_iiiiii
	.p2align	8
	.type	_ZN4vllm3moe17topkGatingSoftmaxIfLi2ELi2ELi8ELi8ELb1ELi4ELNS0_23SharedExpertScoringFuncE1EEEvPKT_PKbPfiPiS9_iiiiii,@function
_ZN4vllm3moe17topkGatingSoftmaxIfLi2ELi2ELi8ELi8ELb1ELi4ELNS0_23SharedExpertScoringFuncE1EEEvPKT_PKbPfiPiS9_iiiiii: ; @_ZN4vllm3moe17topkGatingSoftmaxIfLi2ELi2ELi8ELi8ELb1ELi4ELNS0_23SharedExpertScoringFuncE1EEEvPKT_PKbPfiPiS9_iiiiii
; %bb.0:
	s_load_b32 s14, s[0:1], 0x18
	v_bfe_u32 v1, v0, 10, 10
	v_and_b32_e32 v10, 0x3ff, v0
	s_lshl_b32 s16, s15, 8
	s_mov_b32 s2, exec_lo
	s_delay_alu instid0(VALU_DEP_2) | instskip(NEXT) | instid1(VALU_DEP_1)
	v_lshlrev_b32_e32 v9, 5, v1
	v_add3_u32 v11, v9, v10, s16
	s_waitcnt lgkmcnt(0)
	s_delay_alu instid0(VALU_DEP_1)
	v_cmpx_gt_i32_e64 s14, v11
	s_cbranch_execz .LBB17_12
; %bb.1:
	s_clause 0x1
	s_load_b128 s[4:7], s[0:1], 0x0
	s_load_b64 s[12:13], s[0:1], 0x10
	s_waitcnt lgkmcnt(0)
	s_cmp_eq_u64 s[6:7], 0
	s_cbranch_scc1 .LBB17_3
; %bb.2:
	v_ashrrev_i32_e32 v1, 31, v11
	v_add_co_u32 v0, vcc_lo, s6, v11
	s_delay_alu instid0(VALU_DEP_2) | instskip(SKIP_3) | instid1(VALU_DEP_1)
	v_add_co_ci_u32_e32 v1, vcc_lo, s7, v1, vcc_lo
	global_load_u8 v0, v[0:1], off
	s_waitcnt vmcnt(0)
	v_and_b32_e32 v0, 1, v0
	v_cmp_eq_u32_e32 vcc_lo, 1, v0
	s_xor_b32 s2, vcc_lo, -1
	s_delay_alu instid0(SALU_CYCLE_1)
	s_or_not1_b32 s15, s2, exec_lo
	s_branch .LBB17_4
.LBB17_3:
	s_mov_b32 s15, -1
.LBB17_4:
	s_load_b64 s[2:3], s[0:1], 0x40
	s_waitcnt lgkmcnt(0)
	v_mul_lo_u32 v0, v11, s3
	s_delay_alu instid0(VALU_DEP_1) | instskip(NEXT) | instid1(VALU_DEP_1)
	v_ashrrev_i32_e32 v1, 31, v0
	v_lshlrev_b64 v[0:1], 2, v[0:1]
	s_delay_alu instid0(VALU_DEP_1) | instskip(NEXT) | instid1(VALU_DEP_2)
	v_add_co_u32 v3, vcc_lo, s4, v0
	v_add_co_ci_u32_e32 v4, vcc_lo, s5, v1, vcc_lo
	s_load_b128 s[4:7], s[0:1], 0x30
	global_load_b96 v[0:2], v[3:4], off
	s_waitcnt lgkmcnt(0)
	s_cmp_gt_i32 s4, 0
	s_cselect_b32 s3, -1, 0
	s_cmp_lt_i32 s4, 1
	s_waitcnt vmcnt(0)
	v_mul_f32_e32 v5, 0xbfb8aa3b, v2
	v_cmp_nlt_f32_e32 vcc_lo, 0x42ce8ed0, v2
	s_delay_alu instid0(VALU_DEP_2) | instskip(SKIP_1) | instid1(VALU_DEP_1)
	v_fma_f32 v6, 0xbfb8aa3b, v2, -v5
	v_rndne_f32_e32 v7, v5
	v_dual_fmac_f32 v6, 0xb2a5705f, v2 :: v_dual_sub_f32 v5, v5, v7
	s_delay_alu instid0(VALU_DEP_1) | instskip(SKIP_1) | instid1(VALU_DEP_2)
	v_add_f32_e32 v5, v5, v6
	v_cvt_i32_f32_e32 v6, v7
	v_exp_f32_e32 v5, v5
	s_waitcnt_depctr 0xfff
	v_ldexp_f32 v5, v5, v6
	s_delay_alu instid0(VALU_DEP_1) | instskip(SKIP_1) | instid1(VALU_DEP_2)
	v_cndmask_b32_e32 v5, 0, v5, vcc_lo
	v_cmp_ngt_f32_e32 vcc_lo, 0xc2b17218, v2
	v_cndmask_b32_e32 v2, 0x7f800000, v5, vcc_lo
	s_delay_alu instid0(VALU_DEP_1) | instskip(NEXT) | instid1(VALU_DEP_1)
	v_add_f32_e32 v7, 1.0, v2
	v_div_scale_f32 v8, null, v7, v7, 1.0
	v_div_scale_f32 v13, vcc_lo, 1.0, v7, 1.0
	s_delay_alu instid0(VALU_DEP_2) | instskip(SKIP_2) | instid1(VALU_DEP_1)
	v_rcp_f32_e32 v12, v8
	s_waitcnt_depctr 0xfff
	v_fma_f32 v2, -v8, v12, 1.0
	v_fmac_f32_e32 v12, v2, v12
	v_mul_lo_u32 v2, v11, s7
	s_delay_alu instid0(VALU_DEP_1) | instskip(NEXT) | instid1(VALU_DEP_1)
	v_dual_mul_f32 v14, v13, v12 :: v_dual_add_nc_u32 v5, s4, v2
	v_fma_f32 v6, -v8, v14, v13
	s_delay_alu instid0(VALU_DEP_1) | instskip(NEXT) | instid1(VALU_DEP_3)
	v_fmac_f32_e32 v14, v6, v12
	v_ashrrev_i32_e32 v6, 31, v5
	s_delay_alu instid0(VALU_DEP_2) | instskip(NEXT) | instid1(VALU_DEP_2)
	v_fma_f32 v8, -v8, v14, v13
	v_lshlrev_b64 v[5:6], 2, v[5:6]
	s_delay_alu instid0(VALU_DEP_2) | instskip(NEXT) | instid1(VALU_DEP_2)
	v_div_fmas_f32 v8, v8, v12, v14
	v_add_co_u32 v5, vcc_lo, s12, v5
	s_delay_alu instid0(VALU_DEP_3) | instskip(NEXT) | instid1(VALU_DEP_3)
	v_add_co_ci_u32_e32 v6, vcc_lo, s13, v6, vcc_lo
	v_div_fixup_f32 v7, v8, v7, 1.0
	global_store_b32 v[5:6], v7, off
	global_load_b32 v7, v[3:4], off offset:12
	s_waitcnt vmcnt(0)
	v_mul_f32_e32 v8, 0xbfb8aa3b, v7
	v_cmp_nlt_f32_e32 vcc_lo, 0x42ce8ed0, v7
	s_delay_alu instid0(VALU_DEP_2) | instskip(SKIP_1) | instid1(VALU_DEP_2)
	v_fma_f32 v12, 0xbfb8aa3b, v7, -v8
	v_rndne_f32_e32 v13, v8
	v_fmac_f32_e32 v12, 0xb2a5705f, v7
	s_delay_alu instid0(VALU_DEP_2) | instskip(NEXT) | instid1(VALU_DEP_1)
	v_sub_f32_e32 v8, v8, v13
	v_add_f32_e32 v8, v8, v12
	v_cvt_i32_f32_e32 v12, v13
	s_delay_alu instid0(VALU_DEP_2) | instskip(SKIP_2) | instid1(VALU_DEP_1)
	v_exp_f32_e32 v8, v8
	s_waitcnt_depctr 0xfff
	v_ldexp_f32 v8, v8, v12
	v_cndmask_b32_e32 v8, 0, v8, vcc_lo
	v_cmp_ngt_f32_e32 vcc_lo, 0xc2b17218, v7
	s_delay_alu instid0(VALU_DEP_2) | instskip(NEXT) | instid1(VALU_DEP_1)
	v_cndmask_b32_e32 v7, 0x7f800000, v8, vcc_lo
	v_add_f32_e32 v7, 1.0, v7
	s_delay_alu instid0(VALU_DEP_1) | instskip(SKIP_1) | instid1(VALU_DEP_2)
	v_div_scale_f32 v8, null, v7, v7, 1.0
	v_div_scale_f32 v14, vcc_lo, 1.0, v7, 1.0
	v_rcp_f32_e32 v12, v8
	s_waitcnt_depctr 0xfff
	v_fma_f32 v13, -v8, v12, 1.0
	s_delay_alu instid0(VALU_DEP_1) | instskip(NEXT) | instid1(VALU_DEP_1)
	v_fmac_f32_e32 v12, v13, v12
	v_mul_f32_e32 v13, v14, v12
	s_delay_alu instid0(VALU_DEP_1) | instskip(NEXT) | instid1(VALU_DEP_1)
	v_fma_f32 v15, -v8, v13, v14
	v_fmac_f32_e32 v13, v15, v12
	s_delay_alu instid0(VALU_DEP_1) | instskip(NEXT) | instid1(VALU_DEP_1)
	v_fma_f32 v8, -v8, v13, v14
	v_div_fmas_f32 v8, v8, v12, v13
	s_delay_alu instid0(VALU_DEP_1)
	v_div_fixup_f32 v7, v8, v7, 1.0
	global_store_b32 v[5:6], v7, off offset:4
	global_load_b32 v7, v[3:4], off offset:16
	s_waitcnt vmcnt(0)
	v_mul_f32_e32 v8, 0xbfb8aa3b, v7
	v_cmp_nlt_f32_e32 vcc_lo, 0x42ce8ed0, v7
	s_delay_alu instid0(VALU_DEP_2) | instskip(SKIP_1) | instid1(VALU_DEP_2)
	v_fma_f32 v12, 0xbfb8aa3b, v7, -v8
	v_rndne_f32_e32 v13, v8
	v_fmac_f32_e32 v12, 0xb2a5705f, v7
	s_delay_alu instid0(VALU_DEP_2) | instskip(NEXT) | instid1(VALU_DEP_1)
	v_sub_f32_e32 v8, v8, v13
	v_add_f32_e32 v8, v8, v12
	v_cvt_i32_f32_e32 v12, v13
	s_delay_alu instid0(VALU_DEP_2) | instskip(SKIP_2) | instid1(VALU_DEP_1)
	v_exp_f32_e32 v8, v8
	s_waitcnt_depctr 0xfff
	v_ldexp_f32 v8, v8, v12
	v_cndmask_b32_e32 v8, 0, v8, vcc_lo
	v_cmp_ngt_f32_e32 vcc_lo, 0xc2b17218, v7
	s_delay_alu instid0(VALU_DEP_2) | instskip(NEXT) | instid1(VALU_DEP_1)
	v_cndmask_b32_e32 v7, 0x7f800000, v8, vcc_lo
	v_add_f32_e32 v7, 1.0, v7
	s_delay_alu instid0(VALU_DEP_1) | instskip(SKIP_1) | instid1(VALU_DEP_2)
	v_div_scale_f32 v8, null, v7, v7, 1.0
	v_div_scale_f32 v14, vcc_lo, 1.0, v7, 1.0
	v_rcp_f32_e32 v12, v8
	s_waitcnt_depctr 0xfff
	v_fma_f32 v13, -v8, v12, 1.0
	s_delay_alu instid0(VALU_DEP_1) | instskip(NEXT) | instid1(VALU_DEP_1)
	v_fmac_f32_e32 v12, v13, v12
	v_mul_f32_e32 v13, v14, v12
	s_delay_alu instid0(VALU_DEP_1) | instskip(NEXT) | instid1(VALU_DEP_1)
	v_fma_f32 v15, -v8, v13, v14
	v_fmac_f32_e32 v13, v15, v12
	s_delay_alu instid0(VALU_DEP_1) | instskip(NEXT) | instid1(VALU_DEP_1)
	v_fma_f32 v8, -v8, v13, v14
	v_div_fmas_f32 v8, v8, v12, v13
	s_delay_alu instid0(VALU_DEP_1)
	v_div_fixup_f32 v7, v8, v7, 1.0
	global_store_b32 v[5:6], v7, off offset:8
	global_load_b32 v3, v[3:4], off offset:20
	s_waitcnt vmcnt(0)
	v_mul_f32_e32 v4, 0xbfb8aa3b, v3
	v_cmp_nlt_f32_e32 vcc_lo, 0x42ce8ed0, v3
	s_delay_alu instid0(VALU_DEP_2) | instskip(SKIP_1) | instid1(VALU_DEP_1)
	v_fma_f32 v7, 0xbfb8aa3b, v3, -v4
	v_rndne_f32_e32 v8, v4
	v_dual_fmac_f32 v7, 0xb2a5705f, v3 :: v_dual_sub_f32 v4, v4, v8
	s_delay_alu instid0(VALU_DEP_1) | instskip(SKIP_1) | instid1(VALU_DEP_2)
	v_add_f32_e32 v4, v4, v7
	v_cvt_i32_f32_e32 v7, v8
	v_exp_f32_e32 v4, v4
	s_waitcnt_depctr 0xfff
	v_ldexp_f32 v4, v4, v7
	s_delay_alu instid0(VALU_DEP_1) | instskip(SKIP_1) | instid1(VALU_DEP_2)
	v_cndmask_b32_e32 v4, 0, v4, vcc_lo
	v_cmp_ngt_f32_e32 vcc_lo, 0xc2b17218, v3
	v_cndmask_b32_e32 v3, 0x7f800000, v4, vcc_lo
	s_delay_alu instid0(VALU_DEP_1) | instskip(NEXT) | instid1(VALU_DEP_1)
	v_add_f32_e32 v3, 1.0, v3
	v_div_scale_f32 v4, null, v3, v3, 1.0
	v_div_scale_f32 v12, vcc_lo, 1.0, v3, 1.0
	s_delay_alu instid0(VALU_DEP_2) | instskip(SKIP_2) | instid1(VALU_DEP_1)
	v_rcp_f32_e32 v7, v4
	s_waitcnt_depctr 0xfff
	v_fma_f32 v8, -v4, v7, 1.0
	v_fmac_f32_e32 v7, v8, v7
	s_delay_alu instid0(VALU_DEP_1) | instskip(NEXT) | instid1(VALU_DEP_1)
	v_mul_f32_e32 v8, v12, v7
	v_fma_f32 v13, -v4, v8, v12
	s_delay_alu instid0(VALU_DEP_1) | instskip(NEXT) | instid1(VALU_DEP_1)
	v_dual_fmac_f32 v8, v13, v7 :: v_dual_mov_b32 v13, 0
	v_fma_f32 v4, -v4, v8, v12
	s_delay_alu instid0(VALU_DEP_1) | instskip(NEXT) | instid1(VALU_DEP_1)
	v_div_fmas_f32 v4, v4, v7, v8
	v_div_fixup_f32 v3, v4, v3, 1.0
	global_store_b32 v[5:6], v3, off offset:12
	s_cbranch_scc1 .LBB17_8
; %bb.5:
	v_cmp_lt_f32_e32 vcc_lo, v0, v1
	s_load_b128 s[8:11], s[0:1], 0x20
	v_mul_lo_u32 v7, v11, s2
	v_mul_lo_u32 v15, v11, s4
	v_cndmask_b32_e32 v12, v0, v1, vcc_lo
	v_cndmask_b32_e64 v14, 0, 1, vcc_lo
	s_delay_alu instid0(VALU_DEP_4) | instskip(NEXT) | instid1(VALU_DEP_3)
	v_ashrrev_i32_e32 v8, 31, v7
	v_sub_f32_e32 v13, v12, v12
	s_delay_alu instid0(VALU_DEP_3) | instskip(SKIP_4) | instid1(VALU_DEP_4)
	v_cmp_le_i32_e64 s0, s5, v14
	v_cmp_gt_i32_e64 s1, s6, v14
	v_subrev_nc_u32_e32 v18, s5, v14
	v_ashrrev_i32_e32 v16, 31, v15
	v_mul_f32_e32 v3, 0x3fb8aa3b, v13
	s_and_b32 s0, s0, s1
	s_delay_alu instid0(SALU_CYCLE_1) | instskip(NEXT) | instid1(VALU_DEP_1)
	s_and_b32 s0, s15, s0
	v_rndne_f32_e32 v5, v3
	s_cmp_eq_u32 s4, 1
	s_delay_alu instid0(VALU_DEP_1) | instskip(SKIP_3) | instid1(VALU_DEP_3)
	v_sub_f32_e32 v6, v3, v5
	v_fma_f32 v4, 0x3fb8aa3b, v13, -v3
	v_ashrrev_i32_e32 v3, 31, v2
	v_cvt_i32_f32_e32 v19, v5
	v_fmac_f32_e32 v4, 0x32a5705f, v13
	s_delay_alu instid0(VALU_DEP_1) | instskip(NEXT) | instid1(VALU_DEP_4)
	v_add_f32_e32 v6, v6, v4
	v_lshlrev_b64 v[3:4], 2, v[2:3]
	s_delay_alu instid0(VALU_DEP_2) | instskip(NEXT) | instid1(VALU_DEP_1)
	v_exp_f32_e32 v17, v6
	v_add_co_u32 v5, s2, s12, v3
	s_delay_alu instid0(VALU_DEP_1)
	v_add_co_ci_u32_e64 v6, s2, s13, v4, s2
	v_lshlrev_b64 v[3:4], 2, v[7:8]
	v_lshlrev_b64 v[7:8], 2, v[15:16]
	s_waitcnt_depctr 0xfff
	v_ldexp_f32 v17, v17, v19
	v_cndmask_b32_e64 v19, 2, v18, s0
	v_cmp_ngt_f32_e64 s0, 0xc2ce8ed0, v13
	s_delay_alu instid0(VALU_DEP_1) | instskip(SKIP_2) | instid1(VALU_DEP_1)
	v_cndmask_b32_e64 v17, 0, v17, s0
	s_waitcnt lgkmcnt(0)
	v_add_co_u32 v15, s0, s8, v3
	v_add_co_ci_u32_e64 v16, s0, s9, v4, s0
	v_cmp_nlt_f32_e64 s0, 0x42b17218, v13
	s_delay_alu instid0(VALU_DEP_1) | instskip(SKIP_1) | instid1(VALU_DEP_1)
	v_cndmask_b32_e64 v13, 0x7f800000, v17, s0
	v_add_co_u32 v17, s0, s10, v7
	v_add_co_ci_u32_e64 v18, s0, s11, v8, s0
	global_store_b32 v[15:16], v19, off
	global_store_b32 v[5:6], v13, off
	global_store_b32 v[17:18], v11, off
	s_cbranch_scc1 .LBB17_8
; %bb.6:
	v_cndmask_b32_e32 v11, 0xff800000, v0, vcc_lo
	v_cmp_ne_u32_e32 vcc_lo, 1, v14
	s_add_i32 s16, s16, s14
	s_add_i32 s1, s4, -1
	v_cndmask_b32_e32 v14, 0xff800000, v1, vcc_lo
	v_add_co_u32 v0, vcc_lo, v7, s10
	v_add_co_ci_u32_e32 v1, vcc_lo, s11, v8, vcc_lo
	v_add_co_u32 v3, vcc_lo, v3, s8
	v_add_co_ci_u32_e32 v4, vcc_lo, s9, v4, vcc_lo
	s_delay_alu instid0(VALU_DEP_4) | instskip(NEXT) | instid1(VALU_DEP_4)
	v_add_co_u32 v0, vcc_lo, v0, 4
	v_add_co_ci_u32_e32 v1, vcc_lo, 0, v1, vcc_lo
	s_delay_alu instid0(VALU_DEP_4) | instskip(NEXT) | instid1(VALU_DEP_4)
	v_add_co_u32 v3, vcc_lo, v3, 4
	v_add_co_ci_u32_e32 v4, vcc_lo, 0, v4, vcc_lo
	v_add_co_u32 v5, vcc_lo, v5, 4
	v_add_co_ci_u32_e32 v6, vcc_lo, 0, v6, vcc_lo
	v_add3_u32 v7, s16, v10, v9
.LBB17_7:                               ; =>This Inner Loop Header: Depth=1
	v_cmp_gt_f32_e32 vcc_lo, v14, v11
	s_add_i32 s1, s1, -1
	v_cndmask_b32_e64 v9, 0, 1, vcc_lo
	v_cndmask_b32_e32 v8, v11, v14, vcc_lo
	v_cndmask_b32_e64 v14, v14, 0xff800000, vcc_lo
	v_cndmask_b32_e32 v11, 0xff800000, v11, vcc_lo
	s_delay_alu instid0(VALU_DEP_4) | instskip(SKIP_2) | instid1(VALU_DEP_2)
	v_cmp_le_i32_e32 vcc_lo, s5, v9
	v_cmp_gt_i32_e64 s0, s6, v9
	v_subrev_nc_u32_e32 v9, s5, v9
	s_and_b32 s0, vcc_lo, s0
	s_delay_alu instid0(SALU_CYCLE_1) | instskip(SKIP_1) | instid1(VALU_DEP_1)
	s_and_b32 vcc_lo, s15, s0
	s_cmp_eq_u32 s1, 0
	v_dual_cndmask_b32 v9, 2, v9 :: v_dual_sub_f32 v8, v8, v12
	global_store_b32 v[3:4], v9, off
	global_store_b32 v[0:1], v7, off
	v_dual_mul_f32 v10, 0x3fb8aa3b, v8 :: v_dual_add_nc_u32 v7, s14, v7
	v_add_co_u32 v0, vcc_lo, v0, 4
	v_add_co_ci_u32_e32 v1, vcc_lo, 0, v1, vcc_lo
	s_delay_alu instid0(VALU_DEP_3) | instskip(SKIP_3) | instid1(VALU_DEP_4)
	v_fma_f32 v15, 0x3fb8aa3b, v8, -v10
	v_rndne_f32_e32 v16, v10
	v_add_co_u32 v3, vcc_lo, v3, 4
	v_add_co_ci_u32_e32 v4, vcc_lo, 0, v4, vcc_lo
	v_fmac_f32_e32 v15, 0x32a5705f, v8
	s_delay_alu instid0(VALU_DEP_4) | instskip(SKIP_1) | instid1(VALU_DEP_2)
	v_sub_f32_e32 v10, v10, v16
	v_cvt_i32_f32_e32 v16, v16
	v_add_f32_e32 v9, v10, v15
	v_cmp_ngt_f32_e32 vcc_lo, 0xc2ce8ed0, v8
	s_delay_alu instid0(VALU_DEP_2) | instskip(SKIP_2) | instid1(VALU_DEP_1)
	v_exp_f32_e32 v9, v9
	s_waitcnt_depctr 0xfff
	v_ldexp_f32 v9, v9, v16
	v_cndmask_b32_e32 v9, 0, v9, vcc_lo
	v_cmp_nlt_f32_e32 vcc_lo, 0x42b17218, v8
	s_delay_alu instid0(VALU_DEP_2)
	v_cndmask_b32_e32 v8, 0x7f800000, v9, vcc_lo
	global_store_b32 v[5:6], v8, off
	v_add_co_u32 v5, vcc_lo, v5, 4
	v_add_f32_e32 v13, v13, v8
	v_add_co_ci_u32_e32 v6, vcc_lo, 0, v6, vcc_lo
	s_cbranch_scc0 .LBB17_7
.LBB17_8:
	s_delay_alu instid0(VALU_DEP_2)
	v_cmp_neq_f32_e32 vcc_lo, 0, v13
	s_and_b32 exec_lo, exec_lo, vcc_lo
	s_cbranch_execz .LBB17_12
; %bb.9:
	s_and_not1_b32 vcc_lo, exec_lo, s3
	s_cbranch_vccnz .LBB17_12
; %bb.10:
	v_div_scale_f32 v0, null, v13, v13, 1.0
	v_div_scale_f32 v4, vcc_lo, 1.0, v13, 1.0
	s_delay_alu instid0(VALU_DEP_2) | instskip(SKIP_2) | instid1(VALU_DEP_1)
	v_rcp_f32_e32 v1, v0
	s_waitcnt_depctr 0xfff
	v_fma_f32 v3, -v0, v1, 1.0
	v_fmac_f32_e32 v1, v3, v1
	s_delay_alu instid0(VALU_DEP_1) | instskip(NEXT) | instid1(VALU_DEP_1)
	v_mul_f32_e32 v5, v4, v1
	v_fma_f32 v3, -v0, v5, v4
	s_delay_alu instid0(VALU_DEP_1) | instskip(SKIP_1) | instid1(VALU_DEP_2)
	v_fmac_f32_e32 v5, v3, v1
	v_ashrrev_i32_e32 v3, 31, v2
	v_fma_f32 v0, -v0, v5, v4
	s_delay_alu instid0(VALU_DEP_1) | instskip(NEXT) | instid1(VALU_DEP_3)
	v_div_fmas_f32 v4, v0, v1, v5
	v_lshlrev_b64 v[0:1], 2, v[2:3]
	s_delay_alu instid0(VALU_DEP_2) | instskip(NEXT) | instid1(VALU_DEP_2)
	v_div_fixup_f32 v2, v4, v13, 1.0
	v_add_co_u32 v0, vcc_lo, s12, v0
	s_delay_alu instid0(VALU_DEP_3)
	v_add_co_ci_u32_e32 v1, vcc_lo, s13, v1, vcc_lo
.LBB17_11:                              ; =>This Inner Loop Header: Depth=1
	global_load_b32 v3, v[0:1], off
	s_add_i32 s4, s4, -1
	s_delay_alu instid0(SALU_CYCLE_1)
	s_cmp_lg_u32 s4, 0
	s_waitcnt vmcnt(0)
	v_mul_f32_e32 v3, v2, v3
	global_store_b32 v[0:1], v3, off
	v_add_co_u32 v0, vcc_lo, v0, 4
	v_add_co_ci_u32_e32 v1, vcc_lo, 0, v1, vcc_lo
	s_cbranch_scc1 .LBB17_11
.LBB17_12:
	s_nop 0
	s_sendmsg sendmsg(MSG_DEALLOC_VGPRS)
	s_endpgm
	.section	.rodata,"a",@progbits
	.p2align	6, 0x0
	.amdhsa_kernel _ZN4vllm3moe17topkGatingSoftmaxIfLi2ELi2ELi8ELi8ELb1ELi4ELNS0_23SharedExpertScoringFuncE1EEEvPKT_PKbPfiPiS9_iiiiii
		.amdhsa_group_segment_fixed_size 0
		.amdhsa_private_segment_fixed_size 0
		.amdhsa_kernarg_size 72
		.amdhsa_user_sgpr_count 15
		.amdhsa_user_sgpr_dispatch_ptr 0
		.amdhsa_user_sgpr_queue_ptr 0
		.amdhsa_user_sgpr_kernarg_segment_ptr 1
		.amdhsa_user_sgpr_dispatch_id 0
		.amdhsa_user_sgpr_private_segment_size 0
		.amdhsa_wavefront_size32 1
		.amdhsa_uses_dynamic_stack 0
		.amdhsa_enable_private_segment 0
		.amdhsa_system_sgpr_workgroup_id_x 1
		.amdhsa_system_sgpr_workgroup_id_y 0
		.amdhsa_system_sgpr_workgroup_id_z 0
		.amdhsa_system_sgpr_workgroup_info 0
		.amdhsa_system_vgpr_workitem_id 1
		.amdhsa_next_free_vgpr 20
		.amdhsa_next_free_sgpr 17
		.amdhsa_reserve_vcc 1
		.amdhsa_float_round_mode_32 0
		.amdhsa_float_round_mode_16_64 0
		.amdhsa_float_denorm_mode_32 3
		.amdhsa_float_denorm_mode_16_64 3
		.amdhsa_dx10_clamp 1
		.amdhsa_ieee_mode 1
		.amdhsa_fp16_overflow 0
		.amdhsa_workgroup_processor_mode 1
		.amdhsa_memory_ordered 1
		.amdhsa_forward_progress 0
		.amdhsa_shared_vgpr_count 0
		.amdhsa_exception_fp_ieee_invalid_op 0
		.amdhsa_exception_fp_denorm_src 0
		.amdhsa_exception_fp_ieee_div_zero 0
		.amdhsa_exception_fp_ieee_overflow 0
		.amdhsa_exception_fp_ieee_underflow 0
		.amdhsa_exception_fp_ieee_inexact 0
		.amdhsa_exception_int_div_zero 0
	.end_amdhsa_kernel
	.section	.text._ZN4vllm3moe17topkGatingSoftmaxIfLi2ELi2ELi8ELi8ELb1ELi4ELNS0_23SharedExpertScoringFuncE1EEEvPKT_PKbPfiPiS9_iiiiii,"axG",@progbits,_ZN4vllm3moe17topkGatingSoftmaxIfLi2ELi2ELi8ELi8ELb1ELi4ELNS0_23SharedExpertScoringFuncE1EEEvPKT_PKbPfiPiS9_iiiiii,comdat
.Lfunc_end17:
	.size	_ZN4vllm3moe17topkGatingSoftmaxIfLi2ELi2ELi8ELi8ELb1ELi4ELNS0_23SharedExpertScoringFuncE1EEEvPKT_PKbPfiPiS9_iiiiii, .Lfunc_end17-_ZN4vllm3moe17topkGatingSoftmaxIfLi2ELi2ELi8ELi8ELb1ELi4ELNS0_23SharedExpertScoringFuncE1EEEvPKT_PKbPfiPiS9_iiiiii
                                        ; -- End function
	.section	.AMDGPU.csdata,"",@progbits
; Kernel info:
; codeLenInByte = 2092
; NumSgprs: 19
; NumVgprs: 20
; ScratchSize: 0
; MemoryBound: 0
; FloatMode: 240
; IeeeMode: 1
; LDSByteSize: 0 bytes/workgroup (compile time only)
; SGPRBlocks: 2
; VGPRBlocks: 2
; NumSGPRsForWavesPerEU: 19
; NumVGPRsForWavesPerEU: 20
; Occupancy: 16
; WaveLimiterHint : 0
; COMPUTE_PGM_RSRC2:SCRATCH_EN: 0
; COMPUTE_PGM_RSRC2:USER_SGPR: 15
; COMPUTE_PGM_RSRC2:TRAP_HANDLER: 0
; COMPUTE_PGM_RSRC2:TGID_X_EN: 1
; COMPUTE_PGM_RSRC2:TGID_Y_EN: 0
; COMPUTE_PGM_RSRC2:TGID_Z_EN: 0
; COMPUTE_PGM_RSRC2:TIDIG_COMP_CNT: 1
	.section	.text._ZN4vllm3moe17topkGatingSoftmaxIfLi2ELi2ELi8ELi8ELb0ELi4ELNS0_23SharedExpertScoringFuncE1EEEvPKT_PKbPfiPiS9_iiiiii,"axG",@progbits,_ZN4vllm3moe17topkGatingSoftmaxIfLi2ELi2ELi8ELi8ELb0ELi4ELNS0_23SharedExpertScoringFuncE1EEEvPKT_PKbPfiPiS9_iiiiii,comdat
	.protected	_ZN4vllm3moe17topkGatingSoftmaxIfLi2ELi2ELi8ELi8ELb0ELi4ELNS0_23SharedExpertScoringFuncE1EEEvPKT_PKbPfiPiS9_iiiiii ; -- Begin function _ZN4vllm3moe17topkGatingSoftmaxIfLi2ELi2ELi8ELi8ELb0ELi4ELNS0_23SharedExpertScoringFuncE1EEEvPKT_PKbPfiPiS9_iiiiii
	.globl	_ZN4vllm3moe17topkGatingSoftmaxIfLi2ELi2ELi8ELi8ELb0ELi4ELNS0_23SharedExpertScoringFuncE1EEEvPKT_PKbPfiPiS9_iiiiii
	.p2align	8
	.type	_ZN4vllm3moe17topkGatingSoftmaxIfLi2ELi2ELi8ELi8ELb0ELi4ELNS0_23SharedExpertScoringFuncE1EEEvPKT_PKbPfiPiS9_iiiiii,@function
_ZN4vllm3moe17topkGatingSoftmaxIfLi2ELi2ELi8ELi8ELb0ELi4ELNS0_23SharedExpertScoringFuncE1EEEvPKT_PKbPfiPiS9_iiiiii: ; @_ZN4vllm3moe17topkGatingSoftmaxIfLi2ELi2ELi8ELi8ELb0ELi4ELNS0_23SharedExpertScoringFuncE1EEEvPKT_PKbPfiPiS9_iiiiii
; %bb.0:
	s_load_b32 s14, s[0:1], 0x18
	v_bfe_u32 v1, v0, 10, 10
	v_and_b32_e32 v10, 0x3ff, v0
	s_lshl_b32 s16, s15, 8
	s_mov_b32 s2, exec_lo
	s_delay_alu instid0(VALU_DEP_2) | instskip(NEXT) | instid1(VALU_DEP_1)
	v_lshlrev_b32_e32 v9, 5, v1
	v_add3_u32 v11, v9, v10, s16
	s_waitcnt lgkmcnt(0)
	s_delay_alu instid0(VALU_DEP_1)
	v_cmpx_gt_i32_e64 s14, v11
	s_cbranch_execz .LBB18_12
; %bb.1:
	s_clause 0x1
	s_load_b128 s[4:7], s[0:1], 0x0
	s_load_b64 s[2:3], s[0:1], 0x10
	s_waitcnt lgkmcnt(0)
	s_cmp_eq_u64 s[6:7], 0
	s_cbranch_scc1 .LBB18_3
; %bb.2:
	v_ashrrev_i32_e32 v1, 31, v11
	v_add_co_u32 v0, vcc_lo, s6, v11
	s_delay_alu instid0(VALU_DEP_2) | instskip(SKIP_3) | instid1(VALU_DEP_1)
	v_add_co_ci_u32_e32 v1, vcc_lo, s7, v1, vcc_lo
	global_load_u8 v0, v[0:1], off
	s_waitcnt vmcnt(0)
	v_and_b32_e32 v0, 1, v0
	v_cmp_eq_u32_e32 vcc_lo, 1, v0
	s_xor_b32 s6, vcc_lo, -1
	s_delay_alu instid0(SALU_CYCLE_1)
	s_or_not1_b32 s15, s6, exec_lo
	s_branch .LBB18_4
.LBB18_3:
	s_mov_b32 s15, -1
.LBB18_4:
	s_load_b64 s[12:13], s[0:1], 0x40
	s_waitcnt lgkmcnt(0)
	v_mul_lo_u32 v0, v11, s13
	s_delay_alu instid0(VALU_DEP_1) | instskip(NEXT) | instid1(VALU_DEP_1)
	v_ashrrev_i32_e32 v1, 31, v0
	v_lshlrev_b64 v[0:1], 2, v[0:1]
	s_delay_alu instid0(VALU_DEP_1) | instskip(NEXT) | instid1(VALU_DEP_2)
	v_add_co_u32 v3, vcc_lo, s4, v0
	v_add_co_ci_u32_e32 v4, vcc_lo, s5, v1, vcc_lo
	s_load_b128 s[4:7], s[0:1], 0x30
	global_load_b96 v[0:2], v[3:4], off
	s_waitcnt lgkmcnt(0)
	s_cmp_gt_i32 s4, 0
	s_waitcnt vmcnt(0)
	v_mul_f32_e32 v5, 0xbfb8aa3b, v2
	v_cmp_nlt_f32_e32 vcc_lo, 0x42ce8ed0, v2
	s_delay_alu instid0(VALU_DEP_2) | instskip(SKIP_1) | instid1(VALU_DEP_1)
	v_fma_f32 v6, 0xbfb8aa3b, v2, -v5
	v_rndne_f32_e32 v7, v5
	v_dual_fmac_f32 v6, 0xb2a5705f, v2 :: v_dual_sub_f32 v5, v5, v7
	s_delay_alu instid0(VALU_DEP_1) | instskip(SKIP_1) | instid1(VALU_DEP_2)
	v_add_f32_e32 v5, v5, v6
	v_cvt_i32_f32_e32 v6, v7
	v_exp_f32_e32 v5, v5
	s_waitcnt_depctr 0xfff
	v_ldexp_f32 v5, v5, v6
	s_delay_alu instid0(VALU_DEP_1) | instskip(SKIP_1) | instid1(VALU_DEP_2)
	v_cndmask_b32_e32 v5, 0, v5, vcc_lo
	v_cmp_ngt_f32_e32 vcc_lo, 0xc2b17218, v2
	v_cndmask_b32_e32 v2, 0x7f800000, v5, vcc_lo
	s_delay_alu instid0(VALU_DEP_1) | instskip(NEXT) | instid1(VALU_DEP_1)
	v_add_f32_e32 v7, 1.0, v2
	v_div_scale_f32 v8, null, v7, v7, 1.0
	v_div_scale_f32 v13, vcc_lo, 1.0, v7, 1.0
	s_delay_alu instid0(VALU_DEP_2) | instskip(SKIP_2) | instid1(VALU_DEP_1)
	v_rcp_f32_e32 v12, v8
	s_waitcnt_depctr 0xfff
	v_fma_f32 v2, -v8, v12, 1.0
	v_fmac_f32_e32 v12, v2, v12
	v_mul_lo_u32 v2, v11, s7
	s_cselect_b32 s7, -1, 0
	s_cmp_lt_i32 s4, 1
	s_delay_alu instid0(VALU_DEP_1) | instskip(NEXT) | instid1(VALU_DEP_1)
	v_dual_mul_f32 v14, v13, v12 :: v_dual_add_nc_u32 v5, s4, v2
	v_fma_f32 v6, -v8, v14, v13
	s_delay_alu instid0(VALU_DEP_1) | instskip(NEXT) | instid1(VALU_DEP_3)
	v_fmac_f32_e32 v14, v6, v12
	v_ashrrev_i32_e32 v6, 31, v5
	s_delay_alu instid0(VALU_DEP_2) | instskip(NEXT) | instid1(VALU_DEP_2)
	v_fma_f32 v8, -v8, v14, v13
	v_lshlrev_b64 v[5:6], 2, v[5:6]
	s_delay_alu instid0(VALU_DEP_2) | instskip(NEXT) | instid1(VALU_DEP_2)
	v_div_fmas_f32 v8, v8, v12, v14
	v_add_co_u32 v5, vcc_lo, s2, v5
	s_delay_alu instid0(VALU_DEP_3) | instskip(NEXT) | instid1(VALU_DEP_3)
	v_add_co_ci_u32_e32 v6, vcc_lo, s3, v6, vcc_lo
	v_div_fixup_f32 v7, v8, v7, 1.0
	global_store_b32 v[5:6], v7, off
	global_load_b32 v7, v[3:4], off offset:12
	s_waitcnt vmcnt(0)
	v_mul_f32_e32 v8, 0xbfb8aa3b, v7
	v_cmp_nlt_f32_e32 vcc_lo, 0x42ce8ed0, v7
	s_delay_alu instid0(VALU_DEP_2) | instskip(SKIP_1) | instid1(VALU_DEP_2)
	v_fma_f32 v12, 0xbfb8aa3b, v7, -v8
	v_rndne_f32_e32 v13, v8
	v_fmac_f32_e32 v12, 0xb2a5705f, v7
	s_delay_alu instid0(VALU_DEP_2) | instskip(NEXT) | instid1(VALU_DEP_1)
	v_sub_f32_e32 v8, v8, v13
	v_add_f32_e32 v8, v8, v12
	v_cvt_i32_f32_e32 v12, v13
	s_delay_alu instid0(VALU_DEP_2) | instskip(SKIP_2) | instid1(VALU_DEP_1)
	v_exp_f32_e32 v8, v8
	s_waitcnt_depctr 0xfff
	v_ldexp_f32 v8, v8, v12
	v_cndmask_b32_e32 v8, 0, v8, vcc_lo
	v_cmp_ngt_f32_e32 vcc_lo, 0xc2b17218, v7
	s_delay_alu instid0(VALU_DEP_2) | instskip(NEXT) | instid1(VALU_DEP_1)
	v_cndmask_b32_e32 v7, 0x7f800000, v8, vcc_lo
	v_add_f32_e32 v7, 1.0, v7
	s_delay_alu instid0(VALU_DEP_1) | instskip(SKIP_1) | instid1(VALU_DEP_2)
	v_div_scale_f32 v8, null, v7, v7, 1.0
	v_div_scale_f32 v14, vcc_lo, 1.0, v7, 1.0
	v_rcp_f32_e32 v12, v8
	s_waitcnt_depctr 0xfff
	v_fma_f32 v13, -v8, v12, 1.0
	s_delay_alu instid0(VALU_DEP_1) | instskip(NEXT) | instid1(VALU_DEP_1)
	v_fmac_f32_e32 v12, v13, v12
	v_mul_f32_e32 v13, v14, v12
	s_delay_alu instid0(VALU_DEP_1) | instskip(NEXT) | instid1(VALU_DEP_1)
	v_fma_f32 v15, -v8, v13, v14
	v_fmac_f32_e32 v13, v15, v12
	s_delay_alu instid0(VALU_DEP_1) | instskip(NEXT) | instid1(VALU_DEP_1)
	v_fma_f32 v8, -v8, v13, v14
	v_div_fmas_f32 v8, v8, v12, v13
	s_delay_alu instid0(VALU_DEP_1)
	v_div_fixup_f32 v7, v8, v7, 1.0
	global_store_b32 v[5:6], v7, off offset:4
	global_load_b32 v7, v[3:4], off offset:16
	s_waitcnt vmcnt(0)
	v_mul_f32_e32 v8, 0xbfb8aa3b, v7
	v_cmp_nlt_f32_e32 vcc_lo, 0x42ce8ed0, v7
	s_delay_alu instid0(VALU_DEP_2) | instskip(SKIP_1) | instid1(VALU_DEP_2)
	v_fma_f32 v12, 0xbfb8aa3b, v7, -v8
	v_rndne_f32_e32 v13, v8
	v_fmac_f32_e32 v12, 0xb2a5705f, v7
	s_delay_alu instid0(VALU_DEP_2) | instskip(NEXT) | instid1(VALU_DEP_1)
	v_sub_f32_e32 v8, v8, v13
	v_add_f32_e32 v8, v8, v12
	v_cvt_i32_f32_e32 v12, v13
	s_delay_alu instid0(VALU_DEP_2) | instskip(SKIP_2) | instid1(VALU_DEP_1)
	v_exp_f32_e32 v8, v8
	s_waitcnt_depctr 0xfff
	v_ldexp_f32 v8, v8, v12
	v_cndmask_b32_e32 v8, 0, v8, vcc_lo
	v_cmp_ngt_f32_e32 vcc_lo, 0xc2b17218, v7
	s_delay_alu instid0(VALU_DEP_2) | instskip(NEXT) | instid1(VALU_DEP_1)
	v_cndmask_b32_e32 v7, 0x7f800000, v8, vcc_lo
	v_add_f32_e32 v7, 1.0, v7
	s_delay_alu instid0(VALU_DEP_1) | instskip(SKIP_1) | instid1(VALU_DEP_2)
	v_div_scale_f32 v8, null, v7, v7, 1.0
	v_div_scale_f32 v14, vcc_lo, 1.0, v7, 1.0
	v_rcp_f32_e32 v12, v8
	s_waitcnt_depctr 0xfff
	v_fma_f32 v13, -v8, v12, 1.0
	s_delay_alu instid0(VALU_DEP_1) | instskip(NEXT) | instid1(VALU_DEP_1)
	v_fmac_f32_e32 v12, v13, v12
	v_mul_f32_e32 v13, v14, v12
	s_delay_alu instid0(VALU_DEP_1) | instskip(NEXT) | instid1(VALU_DEP_1)
	v_fma_f32 v15, -v8, v13, v14
	v_fmac_f32_e32 v13, v15, v12
	s_delay_alu instid0(VALU_DEP_1) | instskip(NEXT) | instid1(VALU_DEP_1)
	v_fma_f32 v8, -v8, v13, v14
	v_div_fmas_f32 v8, v8, v12, v13
	s_delay_alu instid0(VALU_DEP_1)
	v_div_fixup_f32 v7, v8, v7, 1.0
	global_store_b32 v[5:6], v7, off offset:8
	global_load_b32 v3, v[3:4], off offset:20
	s_waitcnt vmcnt(0)
	v_mul_f32_e32 v4, 0xbfb8aa3b, v3
	v_cmp_nlt_f32_e32 vcc_lo, 0x42ce8ed0, v3
	s_delay_alu instid0(VALU_DEP_2) | instskip(SKIP_1) | instid1(VALU_DEP_1)
	v_fma_f32 v7, 0xbfb8aa3b, v3, -v4
	v_rndne_f32_e32 v8, v4
	v_dual_fmac_f32 v7, 0xb2a5705f, v3 :: v_dual_sub_f32 v4, v4, v8
	s_delay_alu instid0(VALU_DEP_1) | instskip(SKIP_1) | instid1(VALU_DEP_2)
	v_add_f32_e32 v4, v4, v7
	v_cvt_i32_f32_e32 v7, v8
	v_exp_f32_e32 v4, v4
	s_waitcnt_depctr 0xfff
	v_ldexp_f32 v4, v4, v7
	s_delay_alu instid0(VALU_DEP_1) | instskip(SKIP_1) | instid1(VALU_DEP_2)
	v_cndmask_b32_e32 v4, 0, v4, vcc_lo
	v_cmp_ngt_f32_e32 vcc_lo, 0xc2b17218, v3
	v_cndmask_b32_e32 v3, 0x7f800000, v4, vcc_lo
	s_delay_alu instid0(VALU_DEP_1) | instskip(NEXT) | instid1(VALU_DEP_1)
	v_add_f32_e32 v3, 1.0, v3
	v_div_scale_f32 v4, null, v3, v3, 1.0
	v_div_scale_f32 v12, vcc_lo, 1.0, v3, 1.0
	s_delay_alu instid0(VALU_DEP_2) | instskip(SKIP_2) | instid1(VALU_DEP_1)
	v_rcp_f32_e32 v7, v4
	s_waitcnt_depctr 0xfff
	v_fma_f32 v8, -v4, v7, 1.0
	v_fmac_f32_e32 v7, v8, v7
	s_delay_alu instid0(VALU_DEP_1) | instskip(NEXT) | instid1(VALU_DEP_1)
	v_mul_f32_e32 v8, v12, v7
	v_fma_f32 v13, -v4, v8, v12
	s_delay_alu instid0(VALU_DEP_1) | instskip(NEXT) | instid1(VALU_DEP_1)
	v_dual_fmac_f32 v8, v13, v7 :: v_dual_mov_b32 v13, 0
	v_fma_f32 v4, -v4, v8, v12
	s_delay_alu instid0(VALU_DEP_1) | instskip(SKIP_1) | instid1(VALU_DEP_2)
	v_div_fmas_f32 v4, v4, v7, v8
	v_cmp_lt_f32_e32 vcc_lo, v0, v1
	v_div_fixup_f32 v3, v4, v3, 1.0
	v_cndmask_b32_e32 v12, v0, v1, vcc_lo
	global_store_b32 v[5:6], v3, off offset:12
	s_cbranch_scc1 .LBB18_8
; %bb.5:
	v_ashrrev_i32_e32 v3, 31, v2
	v_cndmask_b32_e64 v19, 0, 1, vcc_lo
	s_load_b128 s[8:11], s[0:1], 0x20
	v_cndmask_b32_e32 v0, 0xff800000, v0, vcc_lo
	v_sub_f32_e32 v18, v12, v12
	v_lshlrev_b64 v[7:8], 2, v[2:3]
	v_cmp_le_i32_e32 vcc_lo, s5, v19
	v_cmp_gt_i32_e64 s0, s6, v19
	v_subrev_nc_u32_e32 v15, s5, v19
	v_mul_lo_u32 v4, v11, s12
	v_mul_lo_u32 v13, v11, s4
	s_delay_alu instid0(VALU_DEP_4)
	s_and_b32 s0, vcc_lo, s0
	v_add_co_u32 v7, vcc_lo, s2, v7
	v_add_co_ci_u32_e32 v8, vcc_lo, s3, v8, vcc_lo
	s_and_b32 vcc_lo, s15, s0
	v_dual_mul_f32 v5, 0x3fb8aa3b, v18 :: v_dual_cndmask_b32 v20, 2, v15
	s_cmp_eq_u32 s4, 1
	s_delay_alu instid0(VALU_DEP_1) | instskip(SKIP_1) | instid1(VALU_DEP_2)
	v_rndne_f32_e32 v6, v5
	v_fma_f32 v14, 0x3fb8aa3b, v18, -v5
	v_sub_f32_e32 v5, v5, v6
	s_delay_alu instid0(VALU_DEP_2) | instskip(SKIP_1) | instid1(VALU_DEP_2)
	v_fmac_f32_e32 v14, 0x32a5705f, v18
	v_cvt_i32_f32_e32 v17, v6
	v_add_f32_e32 v3, v5, v14
	v_ashrrev_i32_e32 v5, 31, v4
	v_ashrrev_i32_e32 v14, 31, v13
	s_delay_alu instid0(VALU_DEP_3) | instskip(NEXT) | instid1(VALU_DEP_2)
	v_exp_f32_e32 v16, v3
	v_lshlrev_b64 v[3:4], 2, v[4:5]
	s_delay_alu instid0(VALU_DEP_2) | instskip(SKIP_1) | instid1(VALU_DEP_2)
	v_lshlrev_b64 v[5:6], 2, v[13:14]
	s_waitcnt lgkmcnt(0)
	v_add_co_u32 v14, vcc_lo, s8, v3
	s_delay_alu instid0(VALU_DEP_3) | instskip(SKIP_3) | instid1(VALU_DEP_2)
	v_add_co_ci_u32_e32 v15, vcc_lo, s9, v4, vcc_lo
	s_waitcnt_depctr 0xfff
	v_ldexp_f32 v13, v16, v17
	v_cmp_ngt_f32_e32 vcc_lo, 0xc2ce8ed0, v18
	v_cndmask_b32_e32 v13, 0, v13, vcc_lo
	v_add_co_u32 v16, vcc_lo, s10, v5
	v_add_co_ci_u32_e32 v17, vcc_lo, s11, v6, vcc_lo
	v_cmp_nlt_f32_e32 vcc_lo, 0x42b17218, v18
	s_delay_alu instid0(VALU_DEP_4)
	v_cndmask_b32_e32 v13, 0x7f800000, v13, vcc_lo
	v_cmp_ne_u32_e32 vcc_lo, 1, v19
	global_store_b32 v[14:15], v20, off
	global_store_b32 v[7:8], v13, off
	;; [unrolled: 1-line block ×3, first 2 shown]
	v_cndmask_b32_e32 v1, 0xff800000, v1, vcc_lo
	s_cbranch_scc1 .LBB18_8
; %bb.6:
	v_add_co_u32 v5, vcc_lo, v5, s10
	v_add_co_ci_u32_e32 v6, vcc_lo, s11, v6, vcc_lo
	v_add_co_u32 v11, vcc_lo, v3, s8
	v_add_co_ci_u32_e32 v14, vcc_lo, s9, v4, vcc_lo
	s_delay_alu instid0(VALU_DEP_4) | instskip(NEXT) | instid1(VALU_DEP_4)
	v_add_co_u32 v3, vcc_lo, v5, 4
	v_add_co_ci_u32_e32 v4, vcc_lo, 0, v6, vcc_lo
	s_delay_alu instid0(VALU_DEP_4) | instskip(NEXT) | instid1(VALU_DEP_4)
	v_add_co_u32 v5, vcc_lo, v11, 4
	v_add_co_ci_u32_e32 v6, vcc_lo, 0, v14, vcc_lo
	s_add_i32 s16, s16, s14
	v_add_co_u32 v7, vcc_lo, v7, 4
	v_add_co_ci_u32_e32 v8, vcc_lo, 0, v8, vcc_lo
	v_add3_u32 v9, s16, v10, v9
	s_add_i32 s1, s4, -1
.LBB18_7:                               ; =>This Inner Loop Header: Depth=1
	v_cmp_gt_f32_e32 vcc_lo, v1, v0
	s_add_i32 s1, s1, -1
	v_cndmask_b32_e64 v11, 0, 1, vcc_lo
	v_cndmask_b32_e32 v10, v0, v1, vcc_lo
	v_cndmask_b32_e64 v1, v1, 0xff800000, vcc_lo
	v_cndmask_b32_e32 v0, 0xff800000, v0, vcc_lo
	s_delay_alu instid0(VALU_DEP_4) | instskip(SKIP_2) | instid1(VALU_DEP_2)
	v_cmp_le_i32_e32 vcc_lo, s5, v11
	v_cmp_gt_i32_e64 s0, s6, v11
	v_subrev_nc_u32_e32 v11, s5, v11
	s_and_b32 s0, vcc_lo, s0
	s_delay_alu instid0(SALU_CYCLE_1) | instskip(SKIP_1) | instid1(VALU_DEP_1)
	s_and_b32 vcc_lo, s15, s0
	s_cmp_eq_u32 s1, 0
	v_dual_cndmask_b32 v11, 2, v11 :: v_dual_sub_f32 v10, v10, v12
	global_store_b32 v[5:6], v11, off
	global_store_b32 v[3:4], v9, off
	v_add_nc_u32_e32 v9, s14, v9
	v_add_co_u32 v3, vcc_lo, v3, 4
	v_add_co_ci_u32_e32 v4, vcc_lo, 0, v4, vcc_lo
	v_add_co_u32 v5, vcc_lo, v5, 4
	v_add_co_ci_u32_e32 v6, vcc_lo, 0, v6, vcc_lo
	v_cmp_ngt_f32_e32 vcc_lo, 0xc2ce8ed0, v10
	v_mul_f32_e32 v14, 0x3fb8aa3b, v10
	s_delay_alu instid0(VALU_DEP_1) | instskip(SKIP_1) | instid1(VALU_DEP_1)
	v_fma_f32 v15, 0x3fb8aa3b, v10, -v14
	v_rndne_f32_e32 v16, v14
	v_dual_fmac_f32 v15, 0x32a5705f, v10 :: v_dual_sub_f32 v14, v14, v16
	v_cvt_i32_f32_e32 v16, v16
	s_delay_alu instid0(VALU_DEP_2) | instskip(NEXT) | instid1(VALU_DEP_1)
	v_add_f32_e32 v11, v14, v15
	v_exp_f32_e32 v11, v11
	s_waitcnt_depctr 0xfff
	v_ldexp_f32 v11, v11, v16
	s_delay_alu instid0(VALU_DEP_1) | instskip(SKIP_1) | instid1(VALU_DEP_2)
	v_cndmask_b32_e32 v11, 0, v11, vcc_lo
	v_cmp_nlt_f32_e32 vcc_lo, 0x42b17218, v10
	v_cndmask_b32_e32 v10, 0x7f800000, v11, vcc_lo
	global_store_b32 v[7:8], v10, off
	v_add_co_u32 v7, vcc_lo, v7, 4
	v_add_f32_e32 v13, v13, v10
	v_add_co_ci_u32_e32 v8, vcc_lo, 0, v8, vcc_lo
	s_cbranch_scc0 .LBB18_7
.LBB18_8:
	v_sub_f32_e32 v0, v0, v12
	s_delay_alu instid0(VALU_DEP_2) | instskip(NEXT) | instid1(VALU_DEP_1)
	v_sub_f32_e32 v1, v1, v12
	v_dual_mul_f32 v3, 0x3fb8aa3b, v0 :: v_dual_mul_f32 v4, 0x3fb8aa3b, v1
	s_delay_alu instid0(VALU_DEP_1) | instskip(SKIP_1) | instid1(VALU_DEP_3)
	v_fma_f32 v5, 0x3fb8aa3b, v0, -v3
	v_rndne_f32_e32 v6, v3
	v_fma_f32 v7, 0x3fb8aa3b, v1, -v4
	v_rndne_f32_e32 v8, v4
	s_delay_alu instid0(VALU_DEP_3) | instskip(SKIP_1) | instid1(VALU_DEP_3)
	v_sub_f32_e32 v3, v3, v6
	v_fmac_f32_e32 v5, 0x32a5705f, v0
	v_dual_fmac_f32 v7, 0x32a5705f, v1 :: v_dual_sub_f32 v4, v4, v8
	v_cmp_ngt_f32_e32 vcc_lo, 0xc2ce8ed0, v0
	s_delay_alu instid0(VALU_DEP_3) | instskip(SKIP_1) | instid1(VALU_DEP_4)
	v_add_f32_e32 v3, v3, v5
	v_cvt_i32_f32_e32 v5, v6
	v_add_f32_e32 v4, v4, v7
	v_cvt_i32_f32_e32 v6, v8
	s_delay_alu instid0(VALU_DEP_4) | instskip(NEXT) | instid1(VALU_DEP_2)
	v_exp_f32_e32 v3, v3
	v_exp_f32_e32 v4, v4
	s_waitcnt_depctr 0xfff
	v_ldexp_f32 v3, v3, v5
	v_ldexp_f32 v4, v4, v6
	s_delay_alu instid0(VALU_DEP_2) | instskip(SKIP_1) | instid1(VALU_DEP_3)
	v_cndmask_b32_e32 v3, 0, v3, vcc_lo
	v_cmp_ngt_f32_e32 vcc_lo, 0xc2ce8ed0, v1
	v_cndmask_b32_e32 v4, 0, v4, vcc_lo
	v_cmp_nlt_f32_e32 vcc_lo, 0x42b17218, v0
	s_delay_alu instid0(VALU_DEP_4) | instskip(SKIP_1) | instid1(VALU_DEP_4)
	v_cndmask_b32_e32 v0, 0x7f800000, v3, vcc_lo
	v_cmp_nlt_f32_e32 vcc_lo, 0x42b17218, v1
	v_cndmask_b32_e32 v1, 0x7f800000, v4, vcc_lo
	s_delay_alu instid0(VALU_DEP_1) | instskip(NEXT) | instid1(VALU_DEP_1)
	v_add_f32_e32 v0, v0, v1
	v_add_f32_e32 v0, v13, v0
	s_delay_alu instid0(VALU_DEP_1)
	v_cmp_neq_f32_e32 vcc_lo, 0, v0
	s_and_b32 exec_lo, exec_lo, vcc_lo
	s_cbranch_execz .LBB18_12
; %bb.9:
	s_and_not1_b32 vcc_lo, exec_lo, s7
	s_cbranch_vccnz .LBB18_12
; %bb.10:
	v_div_scale_f32 v1, null, v0, v0, 1.0
	v_div_scale_f32 v5, vcc_lo, 1.0, v0, 1.0
	s_delay_alu instid0(VALU_DEP_2) | instskip(SKIP_2) | instid1(VALU_DEP_1)
	v_rcp_f32_e32 v4, v1
	s_waitcnt_depctr 0xfff
	v_fma_f32 v3, -v1, v4, 1.0
	v_fmac_f32_e32 v4, v3, v4
	s_delay_alu instid0(VALU_DEP_1) | instskip(NEXT) | instid1(VALU_DEP_1)
	v_mul_f32_e32 v6, v5, v4
	v_fma_f32 v3, -v1, v6, v5
	s_delay_alu instid0(VALU_DEP_1) | instskip(SKIP_1) | instid1(VALU_DEP_2)
	v_fmac_f32_e32 v6, v3, v4
	v_ashrrev_i32_e32 v3, 31, v2
	v_fma_f32 v1, -v1, v6, v5
	s_delay_alu instid0(VALU_DEP_1) | instskip(NEXT) | instid1(VALU_DEP_3)
	v_div_fmas_f32 v1, v1, v4, v6
	v_lshlrev_b64 v[3:4], 2, v[2:3]
	s_delay_alu instid0(VALU_DEP_2) | instskip(NEXT) | instid1(VALU_DEP_2)
	v_div_fixup_f32 v2, v1, v0, 1.0
	v_add_co_u32 v0, vcc_lo, s2, v3
	s_delay_alu instid0(VALU_DEP_3)
	v_add_co_ci_u32_e32 v1, vcc_lo, s3, v4, vcc_lo
.LBB18_11:                              ; =>This Inner Loop Header: Depth=1
	global_load_b32 v3, v[0:1], off
	s_add_i32 s4, s4, -1
	s_delay_alu instid0(SALU_CYCLE_1)
	s_cmp_lg_u32 s4, 0
	s_waitcnt vmcnt(0)
	v_mul_f32_e32 v3, v2, v3
	global_store_b32 v[0:1], v3, off
	v_add_co_u32 v0, vcc_lo, v0, 4
	v_add_co_ci_u32_e32 v1, vcc_lo, 0, v1, vcc_lo
	s_cbranch_scc1 .LBB18_11
.LBB18_12:
	s_nop 0
	s_sendmsg sendmsg(MSG_DEALLOC_VGPRS)
	s_endpgm
	.section	.rodata,"a",@progbits
	.p2align	6, 0x0
	.amdhsa_kernel _ZN4vllm3moe17topkGatingSoftmaxIfLi2ELi2ELi8ELi8ELb0ELi4ELNS0_23SharedExpertScoringFuncE1EEEvPKT_PKbPfiPiS9_iiiiii
		.amdhsa_group_segment_fixed_size 0
		.amdhsa_private_segment_fixed_size 0
		.amdhsa_kernarg_size 72
		.amdhsa_user_sgpr_count 15
		.amdhsa_user_sgpr_dispatch_ptr 0
		.amdhsa_user_sgpr_queue_ptr 0
		.amdhsa_user_sgpr_kernarg_segment_ptr 1
		.amdhsa_user_sgpr_dispatch_id 0
		.amdhsa_user_sgpr_private_segment_size 0
		.amdhsa_wavefront_size32 1
		.amdhsa_uses_dynamic_stack 0
		.amdhsa_enable_private_segment 0
		.amdhsa_system_sgpr_workgroup_id_x 1
		.amdhsa_system_sgpr_workgroup_id_y 0
		.amdhsa_system_sgpr_workgroup_id_z 0
		.amdhsa_system_sgpr_workgroup_info 0
		.amdhsa_system_vgpr_workitem_id 1
		.amdhsa_next_free_vgpr 21
		.amdhsa_next_free_sgpr 17
		.amdhsa_reserve_vcc 1
		.amdhsa_float_round_mode_32 0
		.amdhsa_float_round_mode_16_64 0
		.amdhsa_float_denorm_mode_32 3
		.amdhsa_float_denorm_mode_16_64 3
		.amdhsa_dx10_clamp 1
		.amdhsa_ieee_mode 1
		.amdhsa_fp16_overflow 0
		.amdhsa_workgroup_processor_mode 1
		.amdhsa_memory_ordered 1
		.amdhsa_forward_progress 0
		.amdhsa_shared_vgpr_count 0
		.amdhsa_exception_fp_ieee_invalid_op 0
		.amdhsa_exception_fp_denorm_src 0
		.amdhsa_exception_fp_ieee_div_zero 0
		.amdhsa_exception_fp_ieee_overflow 0
		.amdhsa_exception_fp_ieee_underflow 0
		.amdhsa_exception_fp_ieee_inexact 0
		.amdhsa_exception_int_div_zero 0
	.end_amdhsa_kernel
	.section	.text._ZN4vllm3moe17topkGatingSoftmaxIfLi2ELi2ELi8ELi8ELb0ELi4ELNS0_23SharedExpertScoringFuncE1EEEvPKT_PKbPfiPiS9_iiiiii,"axG",@progbits,_ZN4vllm3moe17topkGatingSoftmaxIfLi2ELi2ELi8ELi8ELb0ELi4ELNS0_23SharedExpertScoringFuncE1EEEvPKT_PKbPfiPiS9_iiiiii,comdat
.Lfunc_end18:
	.size	_ZN4vllm3moe17topkGatingSoftmaxIfLi2ELi2ELi8ELi8ELb0ELi4ELNS0_23SharedExpertScoringFuncE1EEEvPKT_PKbPfiPiS9_iiiiii, .Lfunc_end18-_ZN4vllm3moe17topkGatingSoftmaxIfLi2ELi2ELi8ELi8ELb0ELi4ELNS0_23SharedExpertScoringFuncE1EEEvPKT_PKbPfiPiS9_iiiiii
                                        ; -- End function
	.section	.AMDGPU.csdata,"",@progbits
; Kernel info:
; codeLenInByte = 2260
; NumSgprs: 19
; NumVgprs: 21
; ScratchSize: 0
; MemoryBound: 0
; FloatMode: 240
; IeeeMode: 1
; LDSByteSize: 0 bytes/workgroup (compile time only)
; SGPRBlocks: 2
; VGPRBlocks: 2
; NumSGPRsForWavesPerEU: 19
; NumVGPRsForWavesPerEU: 21
; Occupancy: 16
; WaveLimiterHint : 0
; COMPUTE_PGM_RSRC2:SCRATCH_EN: 0
; COMPUTE_PGM_RSRC2:USER_SGPR: 15
; COMPUTE_PGM_RSRC2:TRAP_HANDLER: 0
; COMPUTE_PGM_RSRC2:TGID_X_EN: 1
; COMPUTE_PGM_RSRC2:TGID_Y_EN: 0
; COMPUTE_PGM_RSRC2:TGID_Z_EN: 0
; COMPUTE_PGM_RSRC2:TIDIG_COMP_CNT: 1
	.section	.text._ZN4vllm3moe17topkGatingSoftmaxIfLi2ELi2ELi8ELi8ELb1ELi8ELNS0_23SharedExpertScoringFuncE1EEEvPKT_PKbPfiPiS9_iiiiii,"axG",@progbits,_ZN4vllm3moe17topkGatingSoftmaxIfLi2ELi2ELi8ELi8ELb1ELi8ELNS0_23SharedExpertScoringFuncE1EEEvPKT_PKbPfiPiS9_iiiiii,comdat
	.protected	_ZN4vllm3moe17topkGatingSoftmaxIfLi2ELi2ELi8ELi8ELb1ELi8ELNS0_23SharedExpertScoringFuncE1EEEvPKT_PKbPfiPiS9_iiiiii ; -- Begin function _ZN4vllm3moe17topkGatingSoftmaxIfLi2ELi2ELi8ELi8ELb1ELi8ELNS0_23SharedExpertScoringFuncE1EEEvPKT_PKbPfiPiS9_iiiiii
	.globl	_ZN4vllm3moe17topkGatingSoftmaxIfLi2ELi2ELi8ELi8ELb1ELi8ELNS0_23SharedExpertScoringFuncE1EEEvPKT_PKbPfiPiS9_iiiiii
	.p2align	8
	.type	_ZN4vllm3moe17topkGatingSoftmaxIfLi2ELi2ELi8ELi8ELb1ELi8ELNS0_23SharedExpertScoringFuncE1EEEvPKT_PKbPfiPiS9_iiiiii,@function
_ZN4vllm3moe17topkGatingSoftmaxIfLi2ELi2ELi8ELi8ELb1ELi8ELNS0_23SharedExpertScoringFuncE1EEEvPKT_PKbPfiPiS9_iiiiii: ; @_ZN4vllm3moe17topkGatingSoftmaxIfLi2ELi2ELi8ELi8ELb1ELi8ELNS0_23SharedExpertScoringFuncE1EEEvPKT_PKbPfiPiS9_iiiiii
; %bb.0:
	s_load_b32 s14, s[0:1], 0x18
	v_bfe_u32 v1, v0, 10, 10
	v_and_b32_e32 v10, 0x3ff, v0
	s_lshl_b32 s16, s15, 8
	s_mov_b32 s2, exec_lo
	s_delay_alu instid0(VALU_DEP_2) | instskip(NEXT) | instid1(VALU_DEP_1)
	v_lshlrev_b32_e32 v9, 5, v1
	v_add3_u32 v11, v9, v10, s16
	s_waitcnt lgkmcnt(0)
	s_delay_alu instid0(VALU_DEP_1)
	v_cmpx_gt_i32_e64 s14, v11
	s_cbranch_execz .LBB19_12
; %bb.1:
	s_clause 0x1
	s_load_b128 s[4:7], s[0:1], 0x0
	s_load_b64 s[12:13], s[0:1], 0x10
	s_waitcnt lgkmcnt(0)
	s_cmp_eq_u64 s[6:7], 0
	s_cbranch_scc1 .LBB19_3
; %bb.2:
	v_ashrrev_i32_e32 v1, 31, v11
	v_add_co_u32 v0, vcc_lo, s6, v11
	s_delay_alu instid0(VALU_DEP_2) | instskip(SKIP_3) | instid1(VALU_DEP_1)
	v_add_co_ci_u32_e32 v1, vcc_lo, s7, v1, vcc_lo
	global_load_u8 v0, v[0:1], off
	s_waitcnt vmcnt(0)
	v_and_b32_e32 v0, 1, v0
	v_cmp_eq_u32_e32 vcc_lo, 1, v0
	s_xor_b32 s2, vcc_lo, -1
	s_delay_alu instid0(SALU_CYCLE_1)
	s_or_not1_b32 s15, s2, exec_lo
	s_branch .LBB19_4
.LBB19_3:
	s_mov_b32 s15, -1
.LBB19_4:
	s_load_b64 s[2:3], s[0:1], 0x40
	s_waitcnt lgkmcnt(0)
	v_mul_lo_u32 v0, v11, s3
	s_delay_alu instid0(VALU_DEP_1) | instskip(NEXT) | instid1(VALU_DEP_1)
	v_ashrrev_i32_e32 v1, 31, v0
	v_lshlrev_b64 v[0:1], 2, v[0:1]
	s_delay_alu instid0(VALU_DEP_1) | instskip(NEXT) | instid1(VALU_DEP_2)
	v_add_co_u32 v3, vcc_lo, s4, v0
	v_add_co_ci_u32_e32 v4, vcc_lo, s5, v1, vcc_lo
	s_load_b128 s[4:7], s[0:1], 0x30
	global_load_b96 v[0:2], v[3:4], off
	s_waitcnt lgkmcnt(0)
	s_cmp_gt_i32 s4, 0
	s_cselect_b32 s3, -1, 0
	s_cmp_lt_i32 s4, 1
	s_waitcnt vmcnt(0)
	v_mul_f32_e32 v5, 0xbfb8aa3b, v2
	v_cmp_nlt_f32_e32 vcc_lo, 0x42ce8ed0, v2
	s_delay_alu instid0(VALU_DEP_2) | instskip(SKIP_1) | instid1(VALU_DEP_1)
	v_fma_f32 v6, 0xbfb8aa3b, v2, -v5
	v_rndne_f32_e32 v7, v5
	v_dual_fmac_f32 v6, 0xb2a5705f, v2 :: v_dual_sub_f32 v5, v5, v7
	s_delay_alu instid0(VALU_DEP_1) | instskip(SKIP_1) | instid1(VALU_DEP_2)
	v_add_f32_e32 v5, v5, v6
	v_cvt_i32_f32_e32 v6, v7
	v_exp_f32_e32 v5, v5
	s_waitcnt_depctr 0xfff
	v_ldexp_f32 v5, v5, v6
	s_delay_alu instid0(VALU_DEP_1) | instskip(SKIP_1) | instid1(VALU_DEP_2)
	v_cndmask_b32_e32 v5, 0, v5, vcc_lo
	v_cmp_ngt_f32_e32 vcc_lo, 0xc2b17218, v2
	v_cndmask_b32_e32 v2, 0x7f800000, v5, vcc_lo
	s_delay_alu instid0(VALU_DEP_1) | instskip(NEXT) | instid1(VALU_DEP_1)
	v_add_f32_e32 v7, 1.0, v2
	v_div_scale_f32 v8, null, v7, v7, 1.0
	v_div_scale_f32 v13, vcc_lo, 1.0, v7, 1.0
	s_delay_alu instid0(VALU_DEP_2) | instskip(SKIP_2) | instid1(VALU_DEP_1)
	v_rcp_f32_e32 v12, v8
	s_waitcnt_depctr 0xfff
	v_fma_f32 v2, -v8, v12, 1.0
	v_fmac_f32_e32 v12, v2, v12
	v_mul_lo_u32 v2, v11, s7
	s_delay_alu instid0(VALU_DEP_1) | instskip(NEXT) | instid1(VALU_DEP_1)
	v_dual_mul_f32 v14, v13, v12 :: v_dual_add_nc_u32 v5, s4, v2
	v_fma_f32 v6, -v8, v14, v13
	s_delay_alu instid0(VALU_DEP_1) | instskip(NEXT) | instid1(VALU_DEP_3)
	v_fmac_f32_e32 v14, v6, v12
	v_ashrrev_i32_e32 v6, 31, v5
	s_delay_alu instid0(VALU_DEP_2) | instskip(NEXT) | instid1(VALU_DEP_2)
	v_fma_f32 v8, -v8, v14, v13
	v_lshlrev_b64 v[5:6], 2, v[5:6]
	s_delay_alu instid0(VALU_DEP_2) | instskip(NEXT) | instid1(VALU_DEP_2)
	v_div_fmas_f32 v8, v8, v12, v14
	v_add_co_u32 v5, vcc_lo, s12, v5
	s_delay_alu instid0(VALU_DEP_3) | instskip(NEXT) | instid1(VALU_DEP_3)
	v_add_co_ci_u32_e32 v6, vcc_lo, s13, v6, vcc_lo
	v_div_fixup_f32 v7, v8, v7, 1.0
	global_store_b32 v[5:6], v7, off
	global_load_b32 v7, v[3:4], off offset:12
	s_waitcnt vmcnt(0)
	v_mul_f32_e32 v8, 0xbfb8aa3b, v7
	v_cmp_nlt_f32_e32 vcc_lo, 0x42ce8ed0, v7
	s_delay_alu instid0(VALU_DEP_2) | instskip(SKIP_1) | instid1(VALU_DEP_2)
	v_fma_f32 v12, 0xbfb8aa3b, v7, -v8
	v_rndne_f32_e32 v13, v8
	v_fmac_f32_e32 v12, 0xb2a5705f, v7
	s_delay_alu instid0(VALU_DEP_2) | instskip(NEXT) | instid1(VALU_DEP_1)
	v_sub_f32_e32 v8, v8, v13
	v_add_f32_e32 v8, v8, v12
	v_cvt_i32_f32_e32 v12, v13
	s_delay_alu instid0(VALU_DEP_2) | instskip(SKIP_2) | instid1(VALU_DEP_1)
	v_exp_f32_e32 v8, v8
	s_waitcnt_depctr 0xfff
	v_ldexp_f32 v8, v8, v12
	v_cndmask_b32_e32 v8, 0, v8, vcc_lo
	v_cmp_ngt_f32_e32 vcc_lo, 0xc2b17218, v7
	s_delay_alu instid0(VALU_DEP_2) | instskip(NEXT) | instid1(VALU_DEP_1)
	v_cndmask_b32_e32 v7, 0x7f800000, v8, vcc_lo
	v_add_f32_e32 v7, 1.0, v7
	s_delay_alu instid0(VALU_DEP_1) | instskip(SKIP_1) | instid1(VALU_DEP_2)
	v_div_scale_f32 v8, null, v7, v7, 1.0
	v_div_scale_f32 v14, vcc_lo, 1.0, v7, 1.0
	v_rcp_f32_e32 v12, v8
	s_waitcnt_depctr 0xfff
	v_fma_f32 v13, -v8, v12, 1.0
	s_delay_alu instid0(VALU_DEP_1) | instskip(NEXT) | instid1(VALU_DEP_1)
	v_fmac_f32_e32 v12, v13, v12
	v_mul_f32_e32 v13, v14, v12
	s_delay_alu instid0(VALU_DEP_1) | instskip(NEXT) | instid1(VALU_DEP_1)
	v_fma_f32 v15, -v8, v13, v14
	v_fmac_f32_e32 v13, v15, v12
	s_delay_alu instid0(VALU_DEP_1) | instskip(NEXT) | instid1(VALU_DEP_1)
	v_fma_f32 v8, -v8, v13, v14
	v_div_fmas_f32 v8, v8, v12, v13
	s_delay_alu instid0(VALU_DEP_1)
	v_div_fixup_f32 v7, v8, v7, 1.0
	global_store_b32 v[5:6], v7, off offset:4
	global_load_b32 v7, v[3:4], off offset:16
	s_waitcnt vmcnt(0)
	v_mul_f32_e32 v8, 0xbfb8aa3b, v7
	v_cmp_nlt_f32_e32 vcc_lo, 0x42ce8ed0, v7
	s_delay_alu instid0(VALU_DEP_2) | instskip(SKIP_1) | instid1(VALU_DEP_2)
	v_fma_f32 v12, 0xbfb8aa3b, v7, -v8
	v_rndne_f32_e32 v13, v8
	v_fmac_f32_e32 v12, 0xb2a5705f, v7
	s_delay_alu instid0(VALU_DEP_2) | instskip(NEXT) | instid1(VALU_DEP_1)
	v_sub_f32_e32 v8, v8, v13
	v_add_f32_e32 v8, v8, v12
	v_cvt_i32_f32_e32 v12, v13
	s_delay_alu instid0(VALU_DEP_2) | instskip(SKIP_2) | instid1(VALU_DEP_1)
	v_exp_f32_e32 v8, v8
	s_waitcnt_depctr 0xfff
	v_ldexp_f32 v8, v8, v12
	v_cndmask_b32_e32 v8, 0, v8, vcc_lo
	v_cmp_ngt_f32_e32 vcc_lo, 0xc2b17218, v7
	s_delay_alu instid0(VALU_DEP_2) | instskip(NEXT) | instid1(VALU_DEP_1)
	v_cndmask_b32_e32 v7, 0x7f800000, v8, vcc_lo
	v_add_f32_e32 v7, 1.0, v7
	s_delay_alu instid0(VALU_DEP_1) | instskip(SKIP_1) | instid1(VALU_DEP_2)
	v_div_scale_f32 v8, null, v7, v7, 1.0
	v_div_scale_f32 v14, vcc_lo, 1.0, v7, 1.0
	v_rcp_f32_e32 v12, v8
	s_waitcnt_depctr 0xfff
	v_fma_f32 v13, -v8, v12, 1.0
	s_delay_alu instid0(VALU_DEP_1) | instskip(NEXT) | instid1(VALU_DEP_1)
	v_fmac_f32_e32 v12, v13, v12
	v_mul_f32_e32 v13, v14, v12
	s_delay_alu instid0(VALU_DEP_1) | instskip(NEXT) | instid1(VALU_DEP_1)
	v_fma_f32 v15, -v8, v13, v14
	v_fmac_f32_e32 v13, v15, v12
	s_delay_alu instid0(VALU_DEP_1) | instskip(NEXT) | instid1(VALU_DEP_1)
	v_fma_f32 v8, -v8, v13, v14
	v_div_fmas_f32 v8, v8, v12, v13
	s_delay_alu instid0(VALU_DEP_1)
	v_div_fixup_f32 v7, v8, v7, 1.0
	global_store_b32 v[5:6], v7, off offset:8
	;; [unrolled: 39-line block ×6, first 2 shown]
	global_load_b32 v3, v[3:4], off offset:36
	s_waitcnt vmcnt(0)
	v_mul_f32_e32 v4, 0xbfb8aa3b, v3
	v_cmp_nlt_f32_e32 vcc_lo, 0x42ce8ed0, v3
	s_delay_alu instid0(VALU_DEP_2) | instskip(SKIP_1) | instid1(VALU_DEP_1)
	v_fma_f32 v7, 0xbfb8aa3b, v3, -v4
	v_rndne_f32_e32 v8, v4
	v_dual_fmac_f32 v7, 0xb2a5705f, v3 :: v_dual_sub_f32 v4, v4, v8
	s_delay_alu instid0(VALU_DEP_1) | instskip(SKIP_1) | instid1(VALU_DEP_2)
	v_add_f32_e32 v4, v4, v7
	v_cvt_i32_f32_e32 v7, v8
	v_exp_f32_e32 v4, v4
	s_waitcnt_depctr 0xfff
	v_ldexp_f32 v4, v4, v7
	s_delay_alu instid0(VALU_DEP_1) | instskip(SKIP_1) | instid1(VALU_DEP_2)
	v_cndmask_b32_e32 v4, 0, v4, vcc_lo
	v_cmp_ngt_f32_e32 vcc_lo, 0xc2b17218, v3
	v_cndmask_b32_e32 v3, 0x7f800000, v4, vcc_lo
	s_delay_alu instid0(VALU_DEP_1) | instskip(NEXT) | instid1(VALU_DEP_1)
	v_add_f32_e32 v3, 1.0, v3
	v_div_scale_f32 v4, null, v3, v3, 1.0
	v_div_scale_f32 v12, vcc_lo, 1.0, v3, 1.0
	s_delay_alu instid0(VALU_DEP_2) | instskip(SKIP_2) | instid1(VALU_DEP_1)
	v_rcp_f32_e32 v7, v4
	s_waitcnt_depctr 0xfff
	v_fma_f32 v8, -v4, v7, 1.0
	v_fmac_f32_e32 v7, v8, v7
	s_delay_alu instid0(VALU_DEP_1) | instskip(NEXT) | instid1(VALU_DEP_1)
	v_mul_f32_e32 v8, v12, v7
	v_fma_f32 v13, -v4, v8, v12
	s_delay_alu instid0(VALU_DEP_1) | instskip(NEXT) | instid1(VALU_DEP_1)
	v_dual_fmac_f32 v8, v13, v7 :: v_dual_mov_b32 v13, 0
	v_fma_f32 v4, -v4, v8, v12
	s_delay_alu instid0(VALU_DEP_1) | instskip(NEXT) | instid1(VALU_DEP_1)
	v_div_fmas_f32 v4, v4, v7, v8
	v_div_fixup_f32 v3, v4, v3, 1.0
	global_store_b32 v[5:6], v3, off offset:28
	s_cbranch_scc1 .LBB19_8
; %bb.5:
	v_cmp_lt_f32_e32 vcc_lo, v0, v1
	s_load_b128 s[8:11], s[0:1], 0x20
	v_mul_lo_u32 v7, v11, s2
	v_mul_lo_u32 v15, v11, s4
	v_cndmask_b32_e32 v12, v0, v1, vcc_lo
	v_cndmask_b32_e64 v14, 0, 1, vcc_lo
	s_delay_alu instid0(VALU_DEP_4) | instskip(NEXT) | instid1(VALU_DEP_3)
	v_ashrrev_i32_e32 v8, 31, v7
	v_sub_f32_e32 v13, v12, v12
	s_delay_alu instid0(VALU_DEP_3) | instskip(SKIP_4) | instid1(VALU_DEP_4)
	v_cmp_le_i32_e64 s0, s5, v14
	v_cmp_gt_i32_e64 s1, s6, v14
	v_subrev_nc_u32_e32 v18, s5, v14
	v_ashrrev_i32_e32 v16, 31, v15
	v_mul_f32_e32 v3, 0x3fb8aa3b, v13
	s_and_b32 s0, s0, s1
	s_delay_alu instid0(SALU_CYCLE_1) | instskip(NEXT) | instid1(VALU_DEP_1)
	s_and_b32 s0, s15, s0
	v_rndne_f32_e32 v5, v3
	s_cmp_eq_u32 s4, 1
	s_delay_alu instid0(VALU_DEP_1) | instskip(SKIP_3) | instid1(VALU_DEP_3)
	v_sub_f32_e32 v6, v3, v5
	v_fma_f32 v4, 0x3fb8aa3b, v13, -v3
	v_ashrrev_i32_e32 v3, 31, v2
	v_cvt_i32_f32_e32 v19, v5
	v_fmac_f32_e32 v4, 0x32a5705f, v13
	s_delay_alu instid0(VALU_DEP_1) | instskip(NEXT) | instid1(VALU_DEP_4)
	v_add_f32_e32 v6, v6, v4
	v_lshlrev_b64 v[3:4], 2, v[2:3]
	s_delay_alu instid0(VALU_DEP_2) | instskip(NEXT) | instid1(VALU_DEP_1)
	v_exp_f32_e32 v17, v6
	v_add_co_u32 v5, s2, s12, v3
	s_delay_alu instid0(VALU_DEP_1)
	v_add_co_ci_u32_e64 v6, s2, s13, v4, s2
	v_lshlrev_b64 v[3:4], 2, v[7:8]
	v_lshlrev_b64 v[7:8], 2, v[15:16]
	s_waitcnt_depctr 0xfff
	v_ldexp_f32 v17, v17, v19
	v_cndmask_b32_e64 v19, 2, v18, s0
	v_cmp_ngt_f32_e64 s0, 0xc2ce8ed0, v13
	s_delay_alu instid0(VALU_DEP_1) | instskip(SKIP_2) | instid1(VALU_DEP_1)
	v_cndmask_b32_e64 v17, 0, v17, s0
	s_waitcnt lgkmcnt(0)
	v_add_co_u32 v15, s0, s8, v3
	v_add_co_ci_u32_e64 v16, s0, s9, v4, s0
	v_cmp_nlt_f32_e64 s0, 0x42b17218, v13
	s_delay_alu instid0(VALU_DEP_1) | instskip(SKIP_1) | instid1(VALU_DEP_1)
	v_cndmask_b32_e64 v13, 0x7f800000, v17, s0
	v_add_co_u32 v17, s0, s10, v7
	v_add_co_ci_u32_e64 v18, s0, s11, v8, s0
	global_store_b32 v[15:16], v19, off
	global_store_b32 v[5:6], v13, off
	;; [unrolled: 1-line block ×3, first 2 shown]
	s_cbranch_scc1 .LBB19_8
; %bb.6:
	v_cndmask_b32_e32 v11, 0xff800000, v0, vcc_lo
	v_cmp_ne_u32_e32 vcc_lo, 1, v14
	s_add_i32 s16, s16, s14
	s_add_i32 s1, s4, -1
	v_cndmask_b32_e32 v14, 0xff800000, v1, vcc_lo
	v_add_co_u32 v0, vcc_lo, v7, s10
	v_add_co_ci_u32_e32 v1, vcc_lo, s11, v8, vcc_lo
	v_add_co_u32 v3, vcc_lo, v3, s8
	v_add_co_ci_u32_e32 v4, vcc_lo, s9, v4, vcc_lo
	s_delay_alu instid0(VALU_DEP_4) | instskip(NEXT) | instid1(VALU_DEP_4)
	v_add_co_u32 v0, vcc_lo, v0, 4
	v_add_co_ci_u32_e32 v1, vcc_lo, 0, v1, vcc_lo
	s_delay_alu instid0(VALU_DEP_4) | instskip(NEXT) | instid1(VALU_DEP_4)
	v_add_co_u32 v3, vcc_lo, v3, 4
	v_add_co_ci_u32_e32 v4, vcc_lo, 0, v4, vcc_lo
	v_add_co_u32 v5, vcc_lo, v5, 4
	v_add_co_ci_u32_e32 v6, vcc_lo, 0, v6, vcc_lo
	v_add3_u32 v7, s16, v10, v9
.LBB19_7:                               ; =>This Inner Loop Header: Depth=1
	v_cmp_gt_f32_e32 vcc_lo, v14, v11
	s_add_i32 s1, s1, -1
	v_cndmask_b32_e64 v9, 0, 1, vcc_lo
	v_cndmask_b32_e32 v8, v11, v14, vcc_lo
	v_cndmask_b32_e64 v14, v14, 0xff800000, vcc_lo
	v_cndmask_b32_e32 v11, 0xff800000, v11, vcc_lo
	s_delay_alu instid0(VALU_DEP_4) | instskip(SKIP_2) | instid1(VALU_DEP_2)
	v_cmp_le_i32_e32 vcc_lo, s5, v9
	v_cmp_gt_i32_e64 s0, s6, v9
	v_subrev_nc_u32_e32 v9, s5, v9
	s_and_b32 s0, vcc_lo, s0
	s_delay_alu instid0(SALU_CYCLE_1) | instskip(SKIP_1) | instid1(VALU_DEP_1)
	s_and_b32 vcc_lo, s15, s0
	s_cmp_eq_u32 s1, 0
	v_dual_cndmask_b32 v9, 2, v9 :: v_dual_sub_f32 v8, v8, v12
	global_store_b32 v[3:4], v9, off
	global_store_b32 v[0:1], v7, off
	v_dual_mul_f32 v10, 0x3fb8aa3b, v8 :: v_dual_add_nc_u32 v7, s14, v7
	v_add_co_u32 v0, vcc_lo, v0, 4
	v_add_co_ci_u32_e32 v1, vcc_lo, 0, v1, vcc_lo
	s_delay_alu instid0(VALU_DEP_3) | instskip(SKIP_3) | instid1(VALU_DEP_4)
	v_fma_f32 v15, 0x3fb8aa3b, v8, -v10
	v_rndne_f32_e32 v16, v10
	v_add_co_u32 v3, vcc_lo, v3, 4
	v_add_co_ci_u32_e32 v4, vcc_lo, 0, v4, vcc_lo
	v_fmac_f32_e32 v15, 0x32a5705f, v8
	s_delay_alu instid0(VALU_DEP_4) | instskip(SKIP_1) | instid1(VALU_DEP_2)
	v_sub_f32_e32 v10, v10, v16
	v_cvt_i32_f32_e32 v16, v16
	v_add_f32_e32 v9, v10, v15
	v_cmp_ngt_f32_e32 vcc_lo, 0xc2ce8ed0, v8
	s_delay_alu instid0(VALU_DEP_2) | instskip(SKIP_2) | instid1(VALU_DEP_1)
	v_exp_f32_e32 v9, v9
	s_waitcnt_depctr 0xfff
	v_ldexp_f32 v9, v9, v16
	v_cndmask_b32_e32 v9, 0, v9, vcc_lo
	v_cmp_nlt_f32_e32 vcc_lo, 0x42b17218, v8
	s_delay_alu instid0(VALU_DEP_2)
	v_cndmask_b32_e32 v8, 0x7f800000, v9, vcc_lo
	global_store_b32 v[5:6], v8, off
	v_add_co_u32 v5, vcc_lo, v5, 4
	v_add_f32_e32 v13, v13, v8
	v_add_co_ci_u32_e32 v6, vcc_lo, 0, v6, vcc_lo
	s_cbranch_scc0 .LBB19_7
.LBB19_8:
	s_delay_alu instid0(VALU_DEP_2)
	v_cmp_neq_f32_e32 vcc_lo, 0, v13
	s_and_b32 exec_lo, exec_lo, vcc_lo
	s_cbranch_execz .LBB19_12
; %bb.9:
	s_and_not1_b32 vcc_lo, exec_lo, s3
	s_cbranch_vccnz .LBB19_12
; %bb.10:
	v_div_scale_f32 v0, null, v13, v13, 1.0
	v_div_scale_f32 v4, vcc_lo, 1.0, v13, 1.0
	s_delay_alu instid0(VALU_DEP_2) | instskip(SKIP_2) | instid1(VALU_DEP_1)
	v_rcp_f32_e32 v1, v0
	s_waitcnt_depctr 0xfff
	v_fma_f32 v3, -v0, v1, 1.0
	v_fmac_f32_e32 v1, v3, v1
	s_delay_alu instid0(VALU_DEP_1) | instskip(NEXT) | instid1(VALU_DEP_1)
	v_mul_f32_e32 v5, v4, v1
	v_fma_f32 v3, -v0, v5, v4
	s_delay_alu instid0(VALU_DEP_1) | instskip(SKIP_1) | instid1(VALU_DEP_2)
	v_fmac_f32_e32 v5, v3, v1
	v_ashrrev_i32_e32 v3, 31, v2
	v_fma_f32 v0, -v0, v5, v4
	s_delay_alu instid0(VALU_DEP_1) | instskip(NEXT) | instid1(VALU_DEP_3)
	v_div_fmas_f32 v4, v0, v1, v5
	v_lshlrev_b64 v[0:1], 2, v[2:3]
	s_delay_alu instid0(VALU_DEP_2) | instskip(NEXT) | instid1(VALU_DEP_2)
	v_div_fixup_f32 v2, v4, v13, 1.0
	v_add_co_u32 v0, vcc_lo, s12, v0
	s_delay_alu instid0(VALU_DEP_3)
	v_add_co_ci_u32_e32 v1, vcc_lo, s13, v1, vcc_lo
.LBB19_11:                              ; =>This Inner Loop Header: Depth=1
	global_load_b32 v3, v[0:1], off
	s_add_i32 s4, s4, -1
	s_delay_alu instid0(SALU_CYCLE_1)
	s_cmp_lg_u32 s4, 0
	s_waitcnt vmcnt(0)
	v_mul_f32_e32 v3, v2, v3
	global_store_b32 v[0:1], v3, off
	v_add_co_u32 v0, vcc_lo, v0, 4
	v_add_co_ci_u32_e32 v1, vcc_lo, 0, v1, vcc_lo
	s_cbranch_scc1 .LBB19_11
.LBB19_12:
	s_nop 0
	s_sendmsg sendmsg(MSG_DEALLOC_VGPRS)
	s_endpgm
	.section	.rodata,"a",@progbits
	.p2align	6, 0x0
	.amdhsa_kernel _ZN4vllm3moe17topkGatingSoftmaxIfLi2ELi2ELi8ELi8ELb1ELi8ELNS0_23SharedExpertScoringFuncE1EEEvPKT_PKbPfiPiS9_iiiiii
		.amdhsa_group_segment_fixed_size 0
		.amdhsa_private_segment_fixed_size 0
		.amdhsa_kernarg_size 72
		.amdhsa_user_sgpr_count 15
		.amdhsa_user_sgpr_dispatch_ptr 0
		.amdhsa_user_sgpr_queue_ptr 0
		.amdhsa_user_sgpr_kernarg_segment_ptr 1
		.amdhsa_user_sgpr_dispatch_id 0
		.amdhsa_user_sgpr_private_segment_size 0
		.amdhsa_wavefront_size32 1
		.amdhsa_uses_dynamic_stack 0
		.amdhsa_enable_private_segment 0
		.amdhsa_system_sgpr_workgroup_id_x 1
		.amdhsa_system_sgpr_workgroup_id_y 0
		.amdhsa_system_sgpr_workgroup_id_z 0
		.amdhsa_system_sgpr_workgroup_info 0
		.amdhsa_system_vgpr_workitem_id 1
		.amdhsa_next_free_vgpr 20
		.amdhsa_next_free_sgpr 17
		.amdhsa_reserve_vcc 1
		.amdhsa_float_round_mode_32 0
		.amdhsa_float_round_mode_16_64 0
		.amdhsa_float_denorm_mode_32 3
		.amdhsa_float_denorm_mode_16_64 3
		.amdhsa_dx10_clamp 1
		.amdhsa_ieee_mode 1
		.amdhsa_fp16_overflow 0
		.amdhsa_workgroup_processor_mode 1
		.amdhsa_memory_ordered 1
		.amdhsa_forward_progress 0
		.amdhsa_shared_vgpr_count 0
		.amdhsa_exception_fp_ieee_invalid_op 0
		.amdhsa_exception_fp_denorm_src 0
		.amdhsa_exception_fp_ieee_div_zero 0
		.amdhsa_exception_fp_ieee_overflow 0
		.amdhsa_exception_fp_ieee_underflow 0
		.amdhsa_exception_fp_ieee_inexact 0
		.amdhsa_exception_int_div_zero 0
	.end_amdhsa_kernel
	.section	.text._ZN4vllm3moe17topkGatingSoftmaxIfLi2ELi2ELi8ELi8ELb1ELi8ELNS0_23SharedExpertScoringFuncE1EEEvPKT_PKbPfiPiS9_iiiiii,"axG",@progbits,_ZN4vllm3moe17topkGatingSoftmaxIfLi2ELi2ELi8ELi8ELb1ELi8ELNS0_23SharedExpertScoringFuncE1EEEvPKT_PKbPfiPiS9_iiiiii,comdat
.Lfunc_end19:
	.size	_ZN4vllm3moe17topkGatingSoftmaxIfLi2ELi2ELi8ELi8ELb1ELi8ELNS0_23SharedExpertScoringFuncE1EEEvPKT_PKbPfiPiS9_iiiiii, .Lfunc_end19-_ZN4vllm3moe17topkGatingSoftmaxIfLi2ELi2ELi8ELi8ELb1ELi8ELNS0_23SharedExpertScoringFuncE1EEEvPKT_PKbPfiPiS9_iiiiii
                                        ; -- End function
	.section	.AMDGPU.csdata,"",@progbits
; Kernel info:
; codeLenInByte = 2988
; NumSgprs: 19
; NumVgprs: 20
; ScratchSize: 0
; MemoryBound: 0
; FloatMode: 240
; IeeeMode: 1
; LDSByteSize: 0 bytes/workgroup (compile time only)
; SGPRBlocks: 2
; VGPRBlocks: 2
; NumSGPRsForWavesPerEU: 19
; NumVGPRsForWavesPerEU: 20
; Occupancy: 16
; WaveLimiterHint : 0
; COMPUTE_PGM_RSRC2:SCRATCH_EN: 0
; COMPUTE_PGM_RSRC2:USER_SGPR: 15
; COMPUTE_PGM_RSRC2:TRAP_HANDLER: 0
; COMPUTE_PGM_RSRC2:TGID_X_EN: 1
; COMPUTE_PGM_RSRC2:TGID_Y_EN: 0
; COMPUTE_PGM_RSRC2:TGID_Z_EN: 0
; COMPUTE_PGM_RSRC2:TIDIG_COMP_CNT: 1
	.section	.text._ZN4vllm3moe17topkGatingSoftmaxIfLi2ELi2ELi8ELi8ELb0ELi8ELNS0_23SharedExpertScoringFuncE1EEEvPKT_PKbPfiPiS9_iiiiii,"axG",@progbits,_ZN4vllm3moe17topkGatingSoftmaxIfLi2ELi2ELi8ELi8ELb0ELi8ELNS0_23SharedExpertScoringFuncE1EEEvPKT_PKbPfiPiS9_iiiiii,comdat
	.protected	_ZN4vllm3moe17topkGatingSoftmaxIfLi2ELi2ELi8ELi8ELb0ELi8ELNS0_23SharedExpertScoringFuncE1EEEvPKT_PKbPfiPiS9_iiiiii ; -- Begin function _ZN4vllm3moe17topkGatingSoftmaxIfLi2ELi2ELi8ELi8ELb0ELi8ELNS0_23SharedExpertScoringFuncE1EEEvPKT_PKbPfiPiS9_iiiiii
	.globl	_ZN4vllm3moe17topkGatingSoftmaxIfLi2ELi2ELi8ELi8ELb0ELi8ELNS0_23SharedExpertScoringFuncE1EEEvPKT_PKbPfiPiS9_iiiiii
	.p2align	8
	.type	_ZN4vllm3moe17topkGatingSoftmaxIfLi2ELi2ELi8ELi8ELb0ELi8ELNS0_23SharedExpertScoringFuncE1EEEvPKT_PKbPfiPiS9_iiiiii,@function
_ZN4vllm3moe17topkGatingSoftmaxIfLi2ELi2ELi8ELi8ELb0ELi8ELNS0_23SharedExpertScoringFuncE1EEEvPKT_PKbPfiPiS9_iiiiii: ; @_ZN4vllm3moe17topkGatingSoftmaxIfLi2ELi2ELi8ELi8ELb0ELi8ELNS0_23SharedExpertScoringFuncE1EEEvPKT_PKbPfiPiS9_iiiiii
; %bb.0:
	s_load_b32 s14, s[0:1], 0x18
	v_bfe_u32 v1, v0, 10, 10
	v_and_b32_e32 v10, 0x3ff, v0
	s_lshl_b32 s16, s15, 8
	s_mov_b32 s2, exec_lo
	s_delay_alu instid0(VALU_DEP_2) | instskip(NEXT) | instid1(VALU_DEP_1)
	v_lshlrev_b32_e32 v9, 5, v1
	v_add3_u32 v11, v9, v10, s16
	s_waitcnt lgkmcnt(0)
	s_delay_alu instid0(VALU_DEP_1)
	v_cmpx_gt_i32_e64 s14, v11
	s_cbranch_execz .LBB20_12
; %bb.1:
	s_clause 0x1
	s_load_b128 s[4:7], s[0:1], 0x0
	s_load_b64 s[2:3], s[0:1], 0x10
	s_waitcnt lgkmcnt(0)
	s_cmp_eq_u64 s[6:7], 0
	s_cbranch_scc1 .LBB20_3
; %bb.2:
	v_ashrrev_i32_e32 v1, 31, v11
	v_add_co_u32 v0, vcc_lo, s6, v11
	s_delay_alu instid0(VALU_DEP_2) | instskip(SKIP_3) | instid1(VALU_DEP_1)
	v_add_co_ci_u32_e32 v1, vcc_lo, s7, v1, vcc_lo
	global_load_u8 v0, v[0:1], off
	s_waitcnt vmcnt(0)
	v_and_b32_e32 v0, 1, v0
	v_cmp_eq_u32_e32 vcc_lo, 1, v0
	s_xor_b32 s6, vcc_lo, -1
	s_delay_alu instid0(SALU_CYCLE_1)
	s_or_not1_b32 s15, s6, exec_lo
	s_branch .LBB20_4
.LBB20_3:
	s_mov_b32 s15, -1
.LBB20_4:
	s_load_b64 s[12:13], s[0:1], 0x40
	s_waitcnt lgkmcnt(0)
	v_mul_lo_u32 v0, v11, s13
	s_delay_alu instid0(VALU_DEP_1) | instskip(NEXT) | instid1(VALU_DEP_1)
	v_ashrrev_i32_e32 v1, 31, v0
	v_lshlrev_b64 v[0:1], 2, v[0:1]
	s_delay_alu instid0(VALU_DEP_1) | instskip(NEXT) | instid1(VALU_DEP_2)
	v_add_co_u32 v3, vcc_lo, s4, v0
	v_add_co_ci_u32_e32 v4, vcc_lo, s5, v1, vcc_lo
	s_load_b128 s[4:7], s[0:1], 0x30
	global_load_b96 v[0:2], v[3:4], off
	s_waitcnt lgkmcnt(0)
	s_cmp_gt_i32 s4, 0
	s_waitcnt vmcnt(0)
	v_mul_f32_e32 v5, 0xbfb8aa3b, v2
	v_cmp_nlt_f32_e32 vcc_lo, 0x42ce8ed0, v2
	s_delay_alu instid0(VALU_DEP_2) | instskip(SKIP_1) | instid1(VALU_DEP_1)
	v_fma_f32 v6, 0xbfb8aa3b, v2, -v5
	v_rndne_f32_e32 v7, v5
	v_dual_fmac_f32 v6, 0xb2a5705f, v2 :: v_dual_sub_f32 v5, v5, v7
	s_delay_alu instid0(VALU_DEP_1) | instskip(SKIP_1) | instid1(VALU_DEP_2)
	v_add_f32_e32 v5, v5, v6
	v_cvt_i32_f32_e32 v6, v7
	v_exp_f32_e32 v5, v5
	s_waitcnt_depctr 0xfff
	v_ldexp_f32 v5, v5, v6
	s_delay_alu instid0(VALU_DEP_1) | instskip(SKIP_1) | instid1(VALU_DEP_2)
	v_cndmask_b32_e32 v5, 0, v5, vcc_lo
	v_cmp_ngt_f32_e32 vcc_lo, 0xc2b17218, v2
	v_cndmask_b32_e32 v2, 0x7f800000, v5, vcc_lo
	s_delay_alu instid0(VALU_DEP_1) | instskip(NEXT) | instid1(VALU_DEP_1)
	v_add_f32_e32 v7, 1.0, v2
	v_div_scale_f32 v8, null, v7, v7, 1.0
	v_div_scale_f32 v13, vcc_lo, 1.0, v7, 1.0
	s_delay_alu instid0(VALU_DEP_2) | instskip(SKIP_2) | instid1(VALU_DEP_1)
	v_rcp_f32_e32 v12, v8
	s_waitcnt_depctr 0xfff
	v_fma_f32 v2, -v8, v12, 1.0
	v_fmac_f32_e32 v12, v2, v12
	v_mul_lo_u32 v2, v11, s7
	s_cselect_b32 s7, -1, 0
	s_cmp_lt_i32 s4, 1
	s_delay_alu instid0(VALU_DEP_1) | instskip(NEXT) | instid1(VALU_DEP_1)
	v_dual_mul_f32 v14, v13, v12 :: v_dual_add_nc_u32 v5, s4, v2
	v_fma_f32 v6, -v8, v14, v13
	s_delay_alu instid0(VALU_DEP_1) | instskip(NEXT) | instid1(VALU_DEP_3)
	v_fmac_f32_e32 v14, v6, v12
	v_ashrrev_i32_e32 v6, 31, v5
	s_delay_alu instid0(VALU_DEP_2) | instskip(NEXT) | instid1(VALU_DEP_2)
	v_fma_f32 v8, -v8, v14, v13
	v_lshlrev_b64 v[5:6], 2, v[5:6]
	s_delay_alu instid0(VALU_DEP_2) | instskip(NEXT) | instid1(VALU_DEP_2)
	v_div_fmas_f32 v8, v8, v12, v14
	v_add_co_u32 v5, vcc_lo, s2, v5
	s_delay_alu instid0(VALU_DEP_3) | instskip(NEXT) | instid1(VALU_DEP_3)
	v_add_co_ci_u32_e32 v6, vcc_lo, s3, v6, vcc_lo
	v_div_fixup_f32 v7, v8, v7, 1.0
	global_store_b32 v[5:6], v7, off
	global_load_b32 v7, v[3:4], off offset:12
	s_waitcnt vmcnt(0)
	v_mul_f32_e32 v8, 0xbfb8aa3b, v7
	v_cmp_nlt_f32_e32 vcc_lo, 0x42ce8ed0, v7
	s_delay_alu instid0(VALU_DEP_2) | instskip(SKIP_1) | instid1(VALU_DEP_2)
	v_fma_f32 v12, 0xbfb8aa3b, v7, -v8
	v_rndne_f32_e32 v13, v8
	v_fmac_f32_e32 v12, 0xb2a5705f, v7
	s_delay_alu instid0(VALU_DEP_2) | instskip(NEXT) | instid1(VALU_DEP_1)
	v_sub_f32_e32 v8, v8, v13
	v_add_f32_e32 v8, v8, v12
	v_cvt_i32_f32_e32 v12, v13
	s_delay_alu instid0(VALU_DEP_2) | instskip(SKIP_2) | instid1(VALU_DEP_1)
	v_exp_f32_e32 v8, v8
	s_waitcnt_depctr 0xfff
	v_ldexp_f32 v8, v8, v12
	v_cndmask_b32_e32 v8, 0, v8, vcc_lo
	v_cmp_ngt_f32_e32 vcc_lo, 0xc2b17218, v7
	s_delay_alu instid0(VALU_DEP_2) | instskip(NEXT) | instid1(VALU_DEP_1)
	v_cndmask_b32_e32 v7, 0x7f800000, v8, vcc_lo
	v_add_f32_e32 v7, 1.0, v7
	s_delay_alu instid0(VALU_DEP_1) | instskip(SKIP_1) | instid1(VALU_DEP_2)
	v_div_scale_f32 v8, null, v7, v7, 1.0
	v_div_scale_f32 v14, vcc_lo, 1.0, v7, 1.0
	v_rcp_f32_e32 v12, v8
	s_waitcnt_depctr 0xfff
	v_fma_f32 v13, -v8, v12, 1.0
	s_delay_alu instid0(VALU_DEP_1) | instskip(NEXT) | instid1(VALU_DEP_1)
	v_fmac_f32_e32 v12, v13, v12
	v_mul_f32_e32 v13, v14, v12
	s_delay_alu instid0(VALU_DEP_1) | instskip(NEXT) | instid1(VALU_DEP_1)
	v_fma_f32 v15, -v8, v13, v14
	v_fmac_f32_e32 v13, v15, v12
	s_delay_alu instid0(VALU_DEP_1) | instskip(NEXT) | instid1(VALU_DEP_1)
	v_fma_f32 v8, -v8, v13, v14
	v_div_fmas_f32 v8, v8, v12, v13
	s_delay_alu instid0(VALU_DEP_1)
	v_div_fixup_f32 v7, v8, v7, 1.0
	global_store_b32 v[5:6], v7, off offset:4
	global_load_b32 v7, v[3:4], off offset:16
	s_waitcnt vmcnt(0)
	v_mul_f32_e32 v8, 0xbfb8aa3b, v7
	v_cmp_nlt_f32_e32 vcc_lo, 0x42ce8ed0, v7
	s_delay_alu instid0(VALU_DEP_2) | instskip(SKIP_1) | instid1(VALU_DEP_2)
	v_fma_f32 v12, 0xbfb8aa3b, v7, -v8
	v_rndne_f32_e32 v13, v8
	v_fmac_f32_e32 v12, 0xb2a5705f, v7
	s_delay_alu instid0(VALU_DEP_2) | instskip(NEXT) | instid1(VALU_DEP_1)
	v_sub_f32_e32 v8, v8, v13
	v_add_f32_e32 v8, v8, v12
	v_cvt_i32_f32_e32 v12, v13
	s_delay_alu instid0(VALU_DEP_2) | instskip(SKIP_2) | instid1(VALU_DEP_1)
	v_exp_f32_e32 v8, v8
	s_waitcnt_depctr 0xfff
	v_ldexp_f32 v8, v8, v12
	v_cndmask_b32_e32 v8, 0, v8, vcc_lo
	v_cmp_ngt_f32_e32 vcc_lo, 0xc2b17218, v7
	s_delay_alu instid0(VALU_DEP_2) | instskip(NEXT) | instid1(VALU_DEP_1)
	v_cndmask_b32_e32 v7, 0x7f800000, v8, vcc_lo
	v_add_f32_e32 v7, 1.0, v7
	s_delay_alu instid0(VALU_DEP_1) | instskip(SKIP_1) | instid1(VALU_DEP_2)
	v_div_scale_f32 v8, null, v7, v7, 1.0
	v_div_scale_f32 v14, vcc_lo, 1.0, v7, 1.0
	v_rcp_f32_e32 v12, v8
	s_waitcnt_depctr 0xfff
	v_fma_f32 v13, -v8, v12, 1.0
	s_delay_alu instid0(VALU_DEP_1) | instskip(NEXT) | instid1(VALU_DEP_1)
	v_fmac_f32_e32 v12, v13, v12
	v_mul_f32_e32 v13, v14, v12
	s_delay_alu instid0(VALU_DEP_1) | instskip(NEXT) | instid1(VALU_DEP_1)
	v_fma_f32 v15, -v8, v13, v14
	v_fmac_f32_e32 v13, v15, v12
	s_delay_alu instid0(VALU_DEP_1) | instskip(NEXT) | instid1(VALU_DEP_1)
	v_fma_f32 v8, -v8, v13, v14
	v_div_fmas_f32 v8, v8, v12, v13
	s_delay_alu instid0(VALU_DEP_1)
	v_div_fixup_f32 v7, v8, v7, 1.0
	global_store_b32 v[5:6], v7, off offset:8
	;; [unrolled: 39-line block ×6, first 2 shown]
	global_load_b32 v3, v[3:4], off offset:36
	s_waitcnt vmcnt(0)
	v_mul_f32_e32 v4, 0xbfb8aa3b, v3
	v_cmp_nlt_f32_e32 vcc_lo, 0x42ce8ed0, v3
	s_delay_alu instid0(VALU_DEP_2) | instskip(SKIP_1) | instid1(VALU_DEP_1)
	v_fma_f32 v7, 0xbfb8aa3b, v3, -v4
	v_rndne_f32_e32 v8, v4
	v_dual_fmac_f32 v7, 0xb2a5705f, v3 :: v_dual_sub_f32 v4, v4, v8
	s_delay_alu instid0(VALU_DEP_1) | instskip(SKIP_1) | instid1(VALU_DEP_2)
	v_add_f32_e32 v4, v4, v7
	v_cvt_i32_f32_e32 v7, v8
	v_exp_f32_e32 v4, v4
	s_waitcnt_depctr 0xfff
	v_ldexp_f32 v4, v4, v7
	s_delay_alu instid0(VALU_DEP_1) | instskip(SKIP_1) | instid1(VALU_DEP_2)
	v_cndmask_b32_e32 v4, 0, v4, vcc_lo
	v_cmp_ngt_f32_e32 vcc_lo, 0xc2b17218, v3
	v_cndmask_b32_e32 v3, 0x7f800000, v4, vcc_lo
	s_delay_alu instid0(VALU_DEP_1) | instskip(NEXT) | instid1(VALU_DEP_1)
	v_add_f32_e32 v3, 1.0, v3
	v_div_scale_f32 v4, null, v3, v3, 1.0
	v_div_scale_f32 v12, vcc_lo, 1.0, v3, 1.0
	s_delay_alu instid0(VALU_DEP_2) | instskip(SKIP_2) | instid1(VALU_DEP_1)
	v_rcp_f32_e32 v7, v4
	s_waitcnt_depctr 0xfff
	v_fma_f32 v8, -v4, v7, 1.0
	v_fmac_f32_e32 v7, v8, v7
	s_delay_alu instid0(VALU_DEP_1) | instskip(NEXT) | instid1(VALU_DEP_1)
	v_mul_f32_e32 v8, v12, v7
	v_fma_f32 v13, -v4, v8, v12
	s_delay_alu instid0(VALU_DEP_1) | instskip(NEXT) | instid1(VALU_DEP_1)
	v_dual_fmac_f32 v8, v13, v7 :: v_dual_mov_b32 v13, 0
	v_fma_f32 v4, -v4, v8, v12
	s_delay_alu instid0(VALU_DEP_1) | instskip(SKIP_1) | instid1(VALU_DEP_2)
	v_div_fmas_f32 v4, v4, v7, v8
	v_cmp_lt_f32_e32 vcc_lo, v0, v1
	v_div_fixup_f32 v3, v4, v3, 1.0
	v_cndmask_b32_e32 v12, v0, v1, vcc_lo
	global_store_b32 v[5:6], v3, off offset:28
	s_cbranch_scc1 .LBB20_8
; %bb.5:
	v_ashrrev_i32_e32 v3, 31, v2
	v_cndmask_b32_e64 v19, 0, 1, vcc_lo
	s_load_b128 s[8:11], s[0:1], 0x20
	v_cndmask_b32_e32 v0, 0xff800000, v0, vcc_lo
	v_sub_f32_e32 v18, v12, v12
	v_lshlrev_b64 v[7:8], 2, v[2:3]
	v_cmp_le_i32_e32 vcc_lo, s5, v19
	v_cmp_gt_i32_e64 s0, s6, v19
	v_subrev_nc_u32_e32 v15, s5, v19
	v_mul_lo_u32 v4, v11, s12
	v_mul_lo_u32 v13, v11, s4
	s_delay_alu instid0(VALU_DEP_4)
	s_and_b32 s0, vcc_lo, s0
	v_add_co_u32 v7, vcc_lo, s2, v7
	v_add_co_ci_u32_e32 v8, vcc_lo, s3, v8, vcc_lo
	s_and_b32 vcc_lo, s15, s0
	v_dual_mul_f32 v5, 0x3fb8aa3b, v18 :: v_dual_cndmask_b32 v20, 2, v15
	s_cmp_eq_u32 s4, 1
	s_delay_alu instid0(VALU_DEP_1) | instskip(SKIP_1) | instid1(VALU_DEP_2)
	v_rndne_f32_e32 v6, v5
	v_fma_f32 v14, 0x3fb8aa3b, v18, -v5
	v_sub_f32_e32 v5, v5, v6
	s_delay_alu instid0(VALU_DEP_2) | instskip(SKIP_1) | instid1(VALU_DEP_2)
	v_fmac_f32_e32 v14, 0x32a5705f, v18
	v_cvt_i32_f32_e32 v17, v6
	v_add_f32_e32 v3, v5, v14
	v_ashrrev_i32_e32 v5, 31, v4
	v_ashrrev_i32_e32 v14, 31, v13
	s_delay_alu instid0(VALU_DEP_3) | instskip(NEXT) | instid1(VALU_DEP_2)
	v_exp_f32_e32 v16, v3
	v_lshlrev_b64 v[3:4], 2, v[4:5]
	s_delay_alu instid0(VALU_DEP_2) | instskip(SKIP_1) | instid1(VALU_DEP_2)
	v_lshlrev_b64 v[5:6], 2, v[13:14]
	s_waitcnt lgkmcnt(0)
	v_add_co_u32 v14, vcc_lo, s8, v3
	s_delay_alu instid0(VALU_DEP_3) | instskip(SKIP_3) | instid1(VALU_DEP_2)
	v_add_co_ci_u32_e32 v15, vcc_lo, s9, v4, vcc_lo
	s_waitcnt_depctr 0xfff
	v_ldexp_f32 v13, v16, v17
	v_cmp_ngt_f32_e32 vcc_lo, 0xc2ce8ed0, v18
	v_cndmask_b32_e32 v13, 0, v13, vcc_lo
	v_add_co_u32 v16, vcc_lo, s10, v5
	v_add_co_ci_u32_e32 v17, vcc_lo, s11, v6, vcc_lo
	v_cmp_nlt_f32_e32 vcc_lo, 0x42b17218, v18
	s_delay_alu instid0(VALU_DEP_4)
	v_cndmask_b32_e32 v13, 0x7f800000, v13, vcc_lo
	v_cmp_ne_u32_e32 vcc_lo, 1, v19
	global_store_b32 v[14:15], v20, off
	global_store_b32 v[7:8], v13, off
	;; [unrolled: 1-line block ×3, first 2 shown]
	v_cndmask_b32_e32 v1, 0xff800000, v1, vcc_lo
	s_cbranch_scc1 .LBB20_8
; %bb.6:
	v_add_co_u32 v5, vcc_lo, v5, s10
	v_add_co_ci_u32_e32 v6, vcc_lo, s11, v6, vcc_lo
	v_add_co_u32 v11, vcc_lo, v3, s8
	v_add_co_ci_u32_e32 v14, vcc_lo, s9, v4, vcc_lo
	s_delay_alu instid0(VALU_DEP_4) | instskip(NEXT) | instid1(VALU_DEP_4)
	v_add_co_u32 v3, vcc_lo, v5, 4
	v_add_co_ci_u32_e32 v4, vcc_lo, 0, v6, vcc_lo
	s_delay_alu instid0(VALU_DEP_4) | instskip(NEXT) | instid1(VALU_DEP_4)
	v_add_co_u32 v5, vcc_lo, v11, 4
	v_add_co_ci_u32_e32 v6, vcc_lo, 0, v14, vcc_lo
	s_add_i32 s16, s16, s14
	v_add_co_u32 v7, vcc_lo, v7, 4
	v_add_co_ci_u32_e32 v8, vcc_lo, 0, v8, vcc_lo
	v_add3_u32 v9, s16, v10, v9
	s_add_i32 s1, s4, -1
.LBB20_7:                               ; =>This Inner Loop Header: Depth=1
	v_cmp_gt_f32_e32 vcc_lo, v1, v0
	s_add_i32 s1, s1, -1
	v_cndmask_b32_e64 v11, 0, 1, vcc_lo
	v_cndmask_b32_e32 v10, v0, v1, vcc_lo
	v_cndmask_b32_e64 v1, v1, 0xff800000, vcc_lo
	v_cndmask_b32_e32 v0, 0xff800000, v0, vcc_lo
	s_delay_alu instid0(VALU_DEP_4) | instskip(SKIP_2) | instid1(VALU_DEP_2)
	v_cmp_le_i32_e32 vcc_lo, s5, v11
	v_cmp_gt_i32_e64 s0, s6, v11
	v_subrev_nc_u32_e32 v11, s5, v11
	s_and_b32 s0, vcc_lo, s0
	s_delay_alu instid0(SALU_CYCLE_1) | instskip(SKIP_1) | instid1(VALU_DEP_1)
	s_and_b32 vcc_lo, s15, s0
	s_cmp_eq_u32 s1, 0
	v_dual_cndmask_b32 v11, 2, v11 :: v_dual_sub_f32 v10, v10, v12
	global_store_b32 v[5:6], v11, off
	global_store_b32 v[3:4], v9, off
	v_add_nc_u32_e32 v9, s14, v9
	v_add_co_u32 v3, vcc_lo, v3, 4
	v_add_co_ci_u32_e32 v4, vcc_lo, 0, v4, vcc_lo
	v_add_co_u32 v5, vcc_lo, v5, 4
	v_add_co_ci_u32_e32 v6, vcc_lo, 0, v6, vcc_lo
	v_cmp_ngt_f32_e32 vcc_lo, 0xc2ce8ed0, v10
	v_mul_f32_e32 v14, 0x3fb8aa3b, v10
	s_delay_alu instid0(VALU_DEP_1) | instskip(SKIP_1) | instid1(VALU_DEP_1)
	v_fma_f32 v15, 0x3fb8aa3b, v10, -v14
	v_rndne_f32_e32 v16, v14
	v_dual_fmac_f32 v15, 0x32a5705f, v10 :: v_dual_sub_f32 v14, v14, v16
	v_cvt_i32_f32_e32 v16, v16
	s_delay_alu instid0(VALU_DEP_2) | instskip(NEXT) | instid1(VALU_DEP_1)
	v_add_f32_e32 v11, v14, v15
	v_exp_f32_e32 v11, v11
	s_waitcnt_depctr 0xfff
	v_ldexp_f32 v11, v11, v16
	s_delay_alu instid0(VALU_DEP_1) | instskip(SKIP_1) | instid1(VALU_DEP_2)
	v_cndmask_b32_e32 v11, 0, v11, vcc_lo
	v_cmp_nlt_f32_e32 vcc_lo, 0x42b17218, v10
	v_cndmask_b32_e32 v10, 0x7f800000, v11, vcc_lo
	global_store_b32 v[7:8], v10, off
	v_add_co_u32 v7, vcc_lo, v7, 4
	v_add_f32_e32 v13, v13, v10
	v_add_co_ci_u32_e32 v8, vcc_lo, 0, v8, vcc_lo
	s_cbranch_scc0 .LBB20_7
.LBB20_8:
	v_sub_f32_e32 v0, v0, v12
	s_delay_alu instid0(VALU_DEP_2) | instskip(NEXT) | instid1(VALU_DEP_1)
	v_sub_f32_e32 v1, v1, v12
	v_dual_mul_f32 v3, 0x3fb8aa3b, v0 :: v_dual_mul_f32 v4, 0x3fb8aa3b, v1
	s_delay_alu instid0(VALU_DEP_1) | instskip(SKIP_1) | instid1(VALU_DEP_3)
	v_fma_f32 v5, 0x3fb8aa3b, v0, -v3
	v_rndne_f32_e32 v6, v3
	v_fma_f32 v7, 0x3fb8aa3b, v1, -v4
	v_rndne_f32_e32 v8, v4
	s_delay_alu instid0(VALU_DEP_3) | instskip(SKIP_1) | instid1(VALU_DEP_3)
	v_sub_f32_e32 v3, v3, v6
	v_fmac_f32_e32 v5, 0x32a5705f, v0
	v_dual_fmac_f32 v7, 0x32a5705f, v1 :: v_dual_sub_f32 v4, v4, v8
	v_cmp_ngt_f32_e32 vcc_lo, 0xc2ce8ed0, v0
	s_delay_alu instid0(VALU_DEP_3) | instskip(SKIP_1) | instid1(VALU_DEP_4)
	v_add_f32_e32 v3, v3, v5
	v_cvt_i32_f32_e32 v5, v6
	v_add_f32_e32 v4, v4, v7
	v_cvt_i32_f32_e32 v6, v8
	s_delay_alu instid0(VALU_DEP_4) | instskip(NEXT) | instid1(VALU_DEP_2)
	v_exp_f32_e32 v3, v3
	v_exp_f32_e32 v4, v4
	s_waitcnt_depctr 0xfff
	v_ldexp_f32 v3, v3, v5
	v_ldexp_f32 v4, v4, v6
	s_delay_alu instid0(VALU_DEP_2) | instskip(SKIP_1) | instid1(VALU_DEP_3)
	v_cndmask_b32_e32 v3, 0, v3, vcc_lo
	v_cmp_ngt_f32_e32 vcc_lo, 0xc2ce8ed0, v1
	v_cndmask_b32_e32 v4, 0, v4, vcc_lo
	v_cmp_nlt_f32_e32 vcc_lo, 0x42b17218, v0
	s_delay_alu instid0(VALU_DEP_4) | instskip(SKIP_1) | instid1(VALU_DEP_4)
	v_cndmask_b32_e32 v0, 0x7f800000, v3, vcc_lo
	v_cmp_nlt_f32_e32 vcc_lo, 0x42b17218, v1
	v_cndmask_b32_e32 v1, 0x7f800000, v4, vcc_lo
	s_delay_alu instid0(VALU_DEP_1) | instskip(NEXT) | instid1(VALU_DEP_1)
	v_add_f32_e32 v0, v0, v1
	v_add_f32_e32 v0, v13, v0
	s_delay_alu instid0(VALU_DEP_1)
	v_cmp_neq_f32_e32 vcc_lo, 0, v0
	s_and_b32 exec_lo, exec_lo, vcc_lo
	s_cbranch_execz .LBB20_12
; %bb.9:
	s_and_not1_b32 vcc_lo, exec_lo, s7
	s_cbranch_vccnz .LBB20_12
; %bb.10:
	v_div_scale_f32 v1, null, v0, v0, 1.0
	v_div_scale_f32 v5, vcc_lo, 1.0, v0, 1.0
	s_delay_alu instid0(VALU_DEP_2) | instskip(SKIP_2) | instid1(VALU_DEP_1)
	v_rcp_f32_e32 v4, v1
	s_waitcnt_depctr 0xfff
	v_fma_f32 v3, -v1, v4, 1.0
	v_fmac_f32_e32 v4, v3, v4
	s_delay_alu instid0(VALU_DEP_1) | instskip(NEXT) | instid1(VALU_DEP_1)
	v_mul_f32_e32 v6, v5, v4
	v_fma_f32 v3, -v1, v6, v5
	s_delay_alu instid0(VALU_DEP_1) | instskip(SKIP_1) | instid1(VALU_DEP_2)
	v_fmac_f32_e32 v6, v3, v4
	v_ashrrev_i32_e32 v3, 31, v2
	v_fma_f32 v1, -v1, v6, v5
	s_delay_alu instid0(VALU_DEP_1) | instskip(NEXT) | instid1(VALU_DEP_3)
	v_div_fmas_f32 v1, v1, v4, v6
	v_lshlrev_b64 v[3:4], 2, v[2:3]
	s_delay_alu instid0(VALU_DEP_2) | instskip(NEXT) | instid1(VALU_DEP_2)
	v_div_fixup_f32 v2, v1, v0, 1.0
	v_add_co_u32 v0, vcc_lo, s2, v3
	s_delay_alu instid0(VALU_DEP_3)
	v_add_co_ci_u32_e32 v1, vcc_lo, s3, v4, vcc_lo
.LBB20_11:                              ; =>This Inner Loop Header: Depth=1
	global_load_b32 v3, v[0:1], off
	s_add_i32 s4, s4, -1
	s_delay_alu instid0(SALU_CYCLE_1)
	s_cmp_lg_u32 s4, 0
	s_waitcnt vmcnt(0)
	v_mul_f32_e32 v3, v2, v3
	global_store_b32 v[0:1], v3, off
	v_add_co_u32 v0, vcc_lo, v0, 4
	v_add_co_ci_u32_e32 v1, vcc_lo, 0, v1, vcc_lo
	s_cbranch_scc1 .LBB20_11
.LBB20_12:
	s_nop 0
	s_sendmsg sendmsg(MSG_DEALLOC_VGPRS)
	s_endpgm
	.section	.rodata,"a",@progbits
	.p2align	6, 0x0
	.amdhsa_kernel _ZN4vllm3moe17topkGatingSoftmaxIfLi2ELi2ELi8ELi8ELb0ELi8ELNS0_23SharedExpertScoringFuncE1EEEvPKT_PKbPfiPiS9_iiiiii
		.amdhsa_group_segment_fixed_size 0
		.amdhsa_private_segment_fixed_size 0
		.amdhsa_kernarg_size 72
		.amdhsa_user_sgpr_count 15
		.amdhsa_user_sgpr_dispatch_ptr 0
		.amdhsa_user_sgpr_queue_ptr 0
		.amdhsa_user_sgpr_kernarg_segment_ptr 1
		.amdhsa_user_sgpr_dispatch_id 0
		.amdhsa_user_sgpr_private_segment_size 0
		.amdhsa_wavefront_size32 1
		.amdhsa_uses_dynamic_stack 0
		.amdhsa_enable_private_segment 0
		.amdhsa_system_sgpr_workgroup_id_x 1
		.amdhsa_system_sgpr_workgroup_id_y 0
		.amdhsa_system_sgpr_workgroup_id_z 0
		.amdhsa_system_sgpr_workgroup_info 0
		.amdhsa_system_vgpr_workitem_id 1
		.amdhsa_next_free_vgpr 21
		.amdhsa_next_free_sgpr 17
		.amdhsa_reserve_vcc 1
		.amdhsa_float_round_mode_32 0
		.amdhsa_float_round_mode_16_64 0
		.amdhsa_float_denorm_mode_32 3
		.amdhsa_float_denorm_mode_16_64 3
		.amdhsa_dx10_clamp 1
		.amdhsa_ieee_mode 1
		.amdhsa_fp16_overflow 0
		.amdhsa_workgroup_processor_mode 1
		.amdhsa_memory_ordered 1
		.amdhsa_forward_progress 0
		.amdhsa_shared_vgpr_count 0
		.amdhsa_exception_fp_ieee_invalid_op 0
		.amdhsa_exception_fp_denorm_src 0
		.amdhsa_exception_fp_ieee_div_zero 0
		.amdhsa_exception_fp_ieee_overflow 0
		.amdhsa_exception_fp_ieee_underflow 0
		.amdhsa_exception_fp_ieee_inexact 0
		.amdhsa_exception_int_div_zero 0
	.end_amdhsa_kernel
	.section	.text._ZN4vllm3moe17topkGatingSoftmaxIfLi2ELi2ELi8ELi8ELb0ELi8ELNS0_23SharedExpertScoringFuncE1EEEvPKT_PKbPfiPiS9_iiiiii,"axG",@progbits,_ZN4vllm3moe17topkGatingSoftmaxIfLi2ELi2ELi8ELi8ELb0ELi8ELNS0_23SharedExpertScoringFuncE1EEEvPKT_PKbPfiPiS9_iiiiii,comdat
.Lfunc_end20:
	.size	_ZN4vllm3moe17topkGatingSoftmaxIfLi2ELi2ELi8ELi8ELb0ELi8ELNS0_23SharedExpertScoringFuncE1EEEvPKT_PKbPfiPiS9_iiiiii, .Lfunc_end20-_ZN4vllm3moe17topkGatingSoftmaxIfLi2ELi2ELi8ELi8ELb0ELi8ELNS0_23SharedExpertScoringFuncE1EEEvPKT_PKbPfiPiS9_iiiiii
                                        ; -- End function
	.section	.AMDGPU.csdata,"",@progbits
; Kernel info:
; codeLenInByte = 3156
; NumSgprs: 19
; NumVgprs: 21
; ScratchSize: 0
; MemoryBound: 0
; FloatMode: 240
; IeeeMode: 1
; LDSByteSize: 0 bytes/workgroup (compile time only)
; SGPRBlocks: 2
; VGPRBlocks: 2
; NumSGPRsForWavesPerEU: 19
; NumVGPRsForWavesPerEU: 21
; Occupancy: 16
; WaveLimiterHint : 0
; COMPUTE_PGM_RSRC2:SCRATCH_EN: 0
; COMPUTE_PGM_RSRC2:USER_SGPR: 15
; COMPUTE_PGM_RSRC2:TRAP_HANDLER: 0
; COMPUTE_PGM_RSRC2:TGID_X_EN: 1
; COMPUTE_PGM_RSRC2:TGID_Y_EN: 0
; COMPUTE_PGM_RSRC2:TGID_Z_EN: 0
; COMPUTE_PGM_RSRC2:TIDIG_COMP_CNT: 1
	.section	.text._ZN4vllm3moe17topkGatingSoftmaxIfLi4ELi4ELi8ELi16ELb1ELi0ELNS0_23SharedExpertScoringFuncE0EEEvPKT_PKbPfiPiS9_iiiiii,"axG",@progbits,_ZN4vllm3moe17topkGatingSoftmaxIfLi4ELi4ELi8ELi16ELb1ELi0ELNS0_23SharedExpertScoringFuncE0EEEvPKT_PKbPfiPiS9_iiiiii,comdat
	.protected	_ZN4vllm3moe17topkGatingSoftmaxIfLi4ELi4ELi8ELi16ELb1ELi0ELNS0_23SharedExpertScoringFuncE0EEEvPKT_PKbPfiPiS9_iiiiii ; -- Begin function _ZN4vllm3moe17topkGatingSoftmaxIfLi4ELi4ELi8ELi16ELb1ELi0ELNS0_23SharedExpertScoringFuncE0EEEvPKT_PKbPfiPiS9_iiiiii
	.globl	_ZN4vllm3moe17topkGatingSoftmaxIfLi4ELi4ELi8ELi16ELb1ELi0ELNS0_23SharedExpertScoringFuncE0EEEvPKT_PKbPfiPiS9_iiiiii
	.p2align	8
	.type	_ZN4vllm3moe17topkGatingSoftmaxIfLi4ELi4ELi8ELi16ELb1ELi0ELNS0_23SharedExpertScoringFuncE0EEEvPKT_PKbPfiPiS9_iiiiii,@function
_ZN4vllm3moe17topkGatingSoftmaxIfLi4ELi4ELi8ELi16ELb1ELi0ELNS0_23SharedExpertScoringFuncE0EEEvPKT_PKbPfiPiS9_iiiiii: ; @_ZN4vllm3moe17topkGatingSoftmaxIfLi4ELi4ELi8ELi16ELb1ELi0ELNS0_23SharedExpertScoringFuncE0EEEvPKT_PKbPfiPiS9_iiiiii
; %bb.0:
	s_load_b32 s16, s[0:1], 0x18
	v_bfe_u32 v1, v0, 10, 10
	v_and_b32_e32 v14, 0x3ff, v0
	s_lshl_b32 s17, s15, 8
	s_mov_b32 s2, exec_lo
	s_delay_alu instid0(VALU_DEP_2) | instskip(NEXT) | instid1(VALU_DEP_1)
	v_lshlrev_b32_e32 v13, 5, v1
	v_add3_u32 v10, v13, v14, s17
	s_waitcnt lgkmcnt(0)
	s_delay_alu instid0(VALU_DEP_1)
	v_cmpx_gt_i32_e64 s16, v10
	s_cbranch_execz .LBB21_13
; %bb.1:
	s_clause 0x1
	s_load_b128 s[12:15], s[0:1], 0x0
	s_load_b64 s[2:3], s[0:1], 0x10
	s_waitcnt lgkmcnt(0)
	s_cmp_eq_u64 s[14:15], 0
	s_cbranch_scc1 .LBB21_3
; %bb.2:
	v_ashrrev_i32_e32 v1, 31, v10
	v_add_co_u32 v0, vcc_lo, s14, v10
	s_delay_alu instid0(VALU_DEP_2) | instskip(SKIP_3) | instid1(VALU_DEP_1)
	v_add_co_ci_u32_e32 v1, vcc_lo, s15, v1, vcc_lo
	global_load_u8 v0, v[0:1], off
	s_waitcnt vmcnt(0)
	v_and_b32_e32 v0, 1, v0
	v_cmp_eq_u32_e32 vcc_lo, 1, v0
	s_xor_b32 s4, vcc_lo, -1
	s_delay_alu instid0(SALU_CYCLE_1)
	s_or_not1_b32 s15, s4, exec_lo
	s_branch .LBB21_4
.LBB21_3:
	s_mov_b32 s15, -1
.LBB21_4:
	s_load_b128 s[4:7], s[0:1], 0x30
	s_waitcnt lgkmcnt(0)
	s_cmp_gt_i32 s4, 0
	s_cselect_b32 s14, -1, 0
	s_cmp_lt_i32 s4, 1
	s_cbranch_scc1 .LBB21_9
; %bb.5:
	s_clause 0x1
	s_load_b64 s[18:19], s[0:1], 0x40
	s_load_b128 s[8:11], s[0:1], 0x20
	v_mul_lo_u32 v6, v10, s4
	s_waitcnt lgkmcnt(0)
	v_mul_lo_u32 v0, v10, s19
	v_mul_lo_u32 v8, v10, s18
	s_delay_alu instid0(VALU_DEP_2) | instskip(NEXT) | instid1(VALU_DEP_1)
	v_ashrrev_i32_e32 v1, 31, v0
	v_lshlrev_b64 v[0:1], 2, v[0:1]
	s_delay_alu instid0(VALU_DEP_1) | instskip(NEXT) | instid1(VALU_DEP_2)
	v_add_co_u32 v0, vcc_lo, s12, v0
	v_add_co_ci_u32_e32 v1, vcc_lo, s13, v1, vcc_lo
	global_load_b128 v[0:3], v[0:1], off
	s_waitcnt vmcnt(0)
	v_cmp_lt_f32_e32 vcc_lo, v0, v1
	v_cndmask_b32_e32 v5, v0, v1, vcc_lo
	v_cndmask_b32_e64 v4, 0, 1, vcc_lo
	s_delay_alu instid0(VALU_DEP_2) | instskip(SKIP_1) | instid1(VALU_DEP_3)
	v_cmp_lt_f32_e32 vcc_lo, v5, v2
	v_cndmask_b32_e32 v5, v5, v2, vcc_lo
	v_cndmask_b32_e64 v4, v4, 2, vcc_lo
	s_delay_alu instid0(VALU_DEP_2) | instskip(SKIP_1) | instid1(VALU_DEP_3)
	v_cmp_lt_f32_e32 vcc_lo, v5, v3
	v_cndmask_b32_e32 v11, v5, v3, vcc_lo
	v_cndmask_b32_e64 v18, v4, 3, vcc_lo
	v_mul_lo_u32 v4, v10, s7
	s_delay_alu instid0(VALU_DEP_3) | instskip(NEXT) | instid1(VALU_DEP_3)
	v_sub_f32_e32 v12, v11, v11
	v_cmp_le_i32_e32 vcc_lo, s5, v18
	v_cmp_gt_i32_e64 s0, s6, v18
	v_subrev_nc_u32_e32 v17, s5, v18
	s_delay_alu instid0(VALU_DEP_4) | instskip(NEXT) | instid1(VALU_DEP_3)
	v_mul_f32_e32 v5, 0x3fb8aa3b, v12
	s_and_b32 s0, vcc_lo, s0
	v_cmp_ngt_f32_e32 vcc_lo, 0xc2ce8ed0, v12
	s_delay_alu instid0(VALU_DEP_2) | instskip(SKIP_1) | instid1(VALU_DEP_2)
	v_fma_f32 v7, 0x3fb8aa3b, v12, -v5
	v_rndne_f32_e32 v15, v5
	v_fmac_f32_e32 v7, 0x32a5705f, v12
	s_delay_alu instid0(VALU_DEP_2) | instskip(SKIP_2) | instid1(VALU_DEP_3)
	v_sub_f32_e32 v9, v5, v15
	v_cvt_i32_f32_e32 v15, v15
	v_ashrrev_i32_e32 v5, 31, v4
	v_add_f32_e32 v9, v9, v7
	v_ashrrev_i32_e32 v7, 31, v6
	s_delay_alu instid0(VALU_DEP_3) | instskip(NEXT) | instid1(VALU_DEP_3)
	v_lshlrev_b64 v[4:5], 2, v[4:5]
	v_exp_f32_e32 v16, v9
	v_ashrrev_i32_e32 v9, 31, v8
	s_delay_alu instid0(VALU_DEP_3) | instskip(NEXT) | instid1(VALU_DEP_3)
	v_lshlrev_b64 v[6:7], 2, v[6:7]
	v_add_co_u32 v4, s1, s2, v4
	s_delay_alu instid0(VALU_DEP_1) | instskip(NEXT) | instid1(VALU_DEP_4)
	v_add_co_ci_u32_e64 v5, s1, s3, v5, s1
	v_lshlrev_b64 v[8:9], 2, v[8:9]
	s_waitcnt_depctr 0xfff
	v_ldexp_f32 v15, v16, v15
	s_delay_alu instid0(VALU_DEP_1)
	v_cndmask_b32_e32 v19, 0, v15, vcc_lo
	v_add_co_u32 v15, vcc_lo, s8, v8
	v_add_co_ci_u32_e32 v16, vcc_lo, s9, v9, vcc_lo
	s_and_b32 vcc_lo, s15, s0
	s_cmp_eq_u32 s4, 1
	v_cndmask_b32_e32 v17, 4, v17, vcc_lo
	v_cmp_nlt_f32_e32 vcc_lo, 0x42b17218, v12
	v_cndmask_b32_e32 v12, 0x7f800000, v19, vcc_lo
	v_add_co_u32 v19, vcc_lo, s10, v6
	v_add_co_ci_u32_e32 v20, vcc_lo, s11, v7, vcc_lo
	global_store_b32 v[15:16], v17, off
	global_store_b32 v[4:5], v12, off
	;; [unrolled: 1-line block ×3, first 2 shown]
	s_cbranch_scc1 .LBB21_8
; %bb.6:
	v_cmp_ne_u32_e32 vcc_lo, 3, v18
	s_add_i32 s17, s17, s16
	v_cndmask_b32_e32 v15, 0xff800000, v3, vcc_lo
	v_cmp_ne_u32_e32 vcc_lo, 2, v18
	v_cndmask_b32_e32 v16, 0xff800000, v2, vcc_lo
	v_cmp_ne_u32_e32 vcc_lo, 1, v18
	v_cndmask_b32_e32 v17, 0xff800000, v1, vcc_lo
	v_cmp_ne_u32_e32 vcc_lo, 0, v18
	v_cndmask_b32_e32 v18, 0xff800000, v0, vcc_lo
	v_add_co_u32 v0, vcc_lo, v6, s10
	v_add_co_ci_u32_e32 v1, vcc_lo, s11, v7, vcc_lo
	v_add_co_u32 v2, vcc_lo, v8, s8
	v_add_co_ci_u32_e32 v3, vcc_lo, s9, v9, vcc_lo
	s_delay_alu instid0(VALU_DEP_4) | instskip(NEXT) | instid1(VALU_DEP_4)
	v_add_co_u32 v0, vcc_lo, v0, 4
	v_add_co_ci_u32_e32 v1, vcc_lo, 0, v1, vcc_lo
	s_delay_alu instid0(VALU_DEP_4) | instskip(NEXT) | instid1(VALU_DEP_4)
	v_add_co_u32 v2, vcc_lo, v2, 4
	v_add_co_ci_u32_e32 v3, vcc_lo, 0, v3, vcc_lo
	v_add_co_u32 v4, vcc_lo, v4, 4
	v_add_co_ci_u32_e32 v5, vcc_lo, 0, v5, vcc_lo
	v_add3_u32 v6, s17, v14, v13
	s_add_i32 s8, s4, -1
.LBB21_7:                               ; =>This Inner Loop Header: Depth=1
	v_cmp_gt_f32_e32 vcc_lo, v17, v18
	s_add_i32 s8, s8, -1
	v_cndmask_b32_e32 v7, v18, v17, vcc_lo
	v_cndmask_b32_e64 v8, 0, 1, vcc_lo
	s_delay_alu instid0(VALU_DEP_2) | instskip(SKIP_1) | instid1(VALU_DEP_3)
	v_cmp_gt_f32_e32 vcc_lo, v16, v7
	v_cndmask_b32_e32 v7, v7, v16, vcc_lo
	v_cndmask_b32_e64 v8, v8, 2, vcc_lo
	s_delay_alu instid0(VALU_DEP_2) | instskip(NEXT) | instid1(VALU_DEP_2)
	v_cmp_gt_f32_e32 vcc_lo, v15, v7
	v_cndmask_b32_e64 v8, v8, 3, vcc_lo
	v_cndmask_b32_e32 v7, v7, v15, vcc_lo
	s_delay_alu instid0(VALU_DEP_2) | instskip(NEXT) | instid1(VALU_DEP_2)
	v_cmp_ne_u32_e64 s1, 3, v8
	v_sub_f32_e32 v7, v7, v11
	v_cmp_le_i32_e32 vcc_lo, s5, v8
	v_cmp_gt_i32_e64 s0, s6, v8
	v_subrev_nc_u32_e32 v13, s5, v8
	v_cndmask_b32_e64 v15, 0xff800000, v15, s1
	v_cmp_ne_u32_e64 s1, 2, v8
	v_mul_f32_e32 v9, 0x3fb8aa3b, v7
	s_and_b32 s0, vcc_lo, s0
	s_delay_alu instid0(SALU_CYCLE_1) | instskip(NEXT) | instid1(VALU_DEP_2)
	s_and_b32 vcc_lo, s15, s0
	v_cndmask_b32_e64 v16, 0xff800000, v16, s1
	v_cmp_ne_u32_e64 s1, 1, v8
	v_rndne_f32_e32 v14, v9
	s_cmp_eq_u32 s8, 0
	s_delay_alu instid0(VALU_DEP_2)
	v_cndmask_b32_e64 v17, 0xff800000, v17, s1
	v_cmp_ne_u32_e64 s1, 0, v8
	v_fma_f32 v8, 0x3fb8aa3b, v7, -v9
	v_cndmask_b32_e32 v13, 4, v13, vcc_lo
	v_sub_f32_e32 v9, v9, v14
	v_cvt_i32_f32_e32 v14, v14
	v_cndmask_b32_e64 v18, 0xff800000, v18, s1
	v_fmac_f32_e32 v8, 0x32a5705f, v7
	global_store_b32 v[2:3], v13, off
	global_store_b32 v[0:1], v6, off
	v_add_co_u32 v0, vcc_lo, v0, 4
	v_add_co_ci_u32_e32 v1, vcc_lo, 0, v1, vcc_lo
	v_add_f32_e32 v8, v9, v8
	v_add_co_u32 v2, vcc_lo, v2, 4
	v_add_co_ci_u32_e32 v3, vcc_lo, 0, v3, vcc_lo
	s_delay_alu instid0(VALU_DEP_3) | instskip(SKIP_4) | instid1(VALU_DEP_1)
	v_exp_f32_e32 v8, v8
	v_cmp_ngt_f32_e32 vcc_lo, 0xc2ce8ed0, v7
	v_add_nc_u32_e32 v6, s16, v6
	s_waitcnt_depctr 0xfff
	v_ldexp_f32 v8, v8, v14
	v_cndmask_b32_e32 v8, 0, v8, vcc_lo
	v_cmp_nlt_f32_e32 vcc_lo, 0x42b17218, v7
	s_delay_alu instid0(VALU_DEP_2) | instskip(NEXT) | instid1(VALU_DEP_1)
	v_cndmask_b32_e32 v7, 0x7f800000, v8, vcc_lo
	v_add_f32_e32 v12, v12, v7
	global_store_b32 v[4:5], v7, off
	v_add_co_u32 v4, vcc_lo, v4, 4
	v_add_co_ci_u32_e32 v5, vcc_lo, 0, v5, vcc_lo
	s_cbranch_scc0 .LBB21_7
.LBB21_8:
	v_cmp_neq_f32_e32 vcc_lo, 0, v12
	s_and_b32 exec_lo, exec_lo, vcc_lo
	s_cbranch_execnz .LBB21_10
	s_branch .LBB21_13
.LBB21_9:
	v_mov_b32_e32 v12, 0
	s_delay_alu instid0(VALU_DEP_1)
	v_cmp_neq_f32_e32 vcc_lo, 0, v12
	s_and_b32 exec_lo, exec_lo, vcc_lo
	s_cbranch_execz .LBB21_13
.LBB21_10:
	s_and_not1_b32 vcc_lo, exec_lo, s14
	s_cbranch_vccnz .LBB21_13
; %bb.11:
	v_div_scale_f32 v1, null, v12, v12, 1.0
	v_div_scale_f32 v3, vcc_lo, 1.0, v12, 1.0
	s_delay_alu instid0(VALU_DEP_2) | instskip(SKIP_2) | instid1(VALU_DEP_1)
	v_rcp_f32_e32 v2, v1
	s_waitcnt_depctr 0xfff
	v_fma_f32 v0, -v1, v2, 1.0
	v_fmac_f32_e32 v2, v0, v2
	v_mul_lo_u32 v0, v10, s7
	s_delay_alu instid0(VALU_DEP_2) | instskip(NEXT) | instid1(VALU_DEP_1)
	v_mul_f32_e32 v4, v3, v2
	v_fma_f32 v5, -v1, v4, v3
	s_delay_alu instid0(VALU_DEP_1) | instskip(NEXT) | instid1(VALU_DEP_1)
	v_fmac_f32_e32 v4, v5, v2
	v_fma_f32 v3, -v1, v4, v3
	v_ashrrev_i32_e32 v1, 31, v0
	s_delay_alu instid0(VALU_DEP_2) | instskip(NEXT) | instid1(VALU_DEP_2)
	v_div_fmas_f32 v2, v3, v2, v4
	v_lshlrev_b64 v[0:1], 2, v[0:1]
	s_delay_alu instid0(VALU_DEP_2) | instskip(NEXT) | instid1(VALU_DEP_2)
	v_div_fixup_f32 v2, v2, v12, 1.0
	v_add_co_u32 v0, vcc_lo, s2, v0
	s_delay_alu instid0(VALU_DEP_3)
	v_add_co_ci_u32_e32 v1, vcc_lo, s3, v1, vcc_lo
.LBB21_12:                              ; =>This Inner Loop Header: Depth=1
	global_load_b32 v3, v[0:1], off
	s_add_i32 s4, s4, -1
	s_delay_alu instid0(SALU_CYCLE_1)
	s_cmp_lg_u32 s4, 0
	s_waitcnt vmcnt(0)
	v_mul_f32_e32 v3, v2, v3
	global_store_b32 v[0:1], v3, off
	v_add_co_u32 v0, vcc_lo, v0, 4
	v_add_co_ci_u32_e32 v1, vcc_lo, 0, v1, vcc_lo
	s_cbranch_scc1 .LBB21_12
.LBB21_13:
	s_nop 0
	s_sendmsg sendmsg(MSG_DEALLOC_VGPRS)
	s_endpgm
	.section	.rodata,"a",@progbits
	.p2align	6, 0x0
	.amdhsa_kernel _ZN4vllm3moe17topkGatingSoftmaxIfLi4ELi4ELi8ELi16ELb1ELi0ELNS0_23SharedExpertScoringFuncE0EEEvPKT_PKbPfiPiS9_iiiiii
		.amdhsa_group_segment_fixed_size 0
		.amdhsa_private_segment_fixed_size 0
		.amdhsa_kernarg_size 72
		.amdhsa_user_sgpr_count 15
		.amdhsa_user_sgpr_dispatch_ptr 0
		.amdhsa_user_sgpr_queue_ptr 0
		.amdhsa_user_sgpr_kernarg_segment_ptr 1
		.amdhsa_user_sgpr_dispatch_id 0
		.amdhsa_user_sgpr_private_segment_size 0
		.amdhsa_wavefront_size32 1
		.amdhsa_uses_dynamic_stack 0
		.amdhsa_enable_private_segment 0
		.amdhsa_system_sgpr_workgroup_id_x 1
		.amdhsa_system_sgpr_workgroup_id_y 0
		.amdhsa_system_sgpr_workgroup_id_z 0
		.amdhsa_system_sgpr_workgroup_info 0
		.amdhsa_system_vgpr_workitem_id 1
		.amdhsa_next_free_vgpr 21
		.amdhsa_next_free_sgpr 20
		.amdhsa_reserve_vcc 1
		.amdhsa_float_round_mode_32 0
		.amdhsa_float_round_mode_16_64 0
		.amdhsa_float_denorm_mode_32 3
		.amdhsa_float_denorm_mode_16_64 3
		.amdhsa_dx10_clamp 1
		.amdhsa_ieee_mode 1
		.amdhsa_fp16_overflow 0
		.amdhsa_workgroup_processor_mode 1
		.amdhsa_memory_ordered 1
		.amdhsa_forward_progress 0
		.amdhsa_shared_vgpr_count 0
		.amdhsa_exception_fp_ieee_invalid_op 0
		.amdhsa_exception_fp_denorm_src 0
		.amdhsa_exception_fp_ieee_div_zero 0
		.amdhsa_exception_fp_ieee_overflow 0
		.amdhsa_exception_fp_ieee_underflow 0
		.amdhsa_exception_fp_ieee_inexact 0
		.amdhsa_exception_int_div_zero 0
	.end_amdhsa_kernel
	.section	.text._ZN4vllm3moe17topkGatingSoftmaxIfLi4ELi4ELi8ELi16ELb1ELi0ELNS0_23SharedExpertScoringFuncE0EEEvPKT_PKbPfiPiS9_iiiiii,"axG",@progbits,_ZN4vllm3moe17topkGatingSoftmaxIfLi4ELi4ELi8ELi16ELb1ELi0ELNS0_23SharedExpertScoringFuncE0EEEvPKT_PKbPfiPiS9_iiiiii,comdat
.Lfunc_end21:
	.size	_ZN4vllm3moe17topkGatingSoftmaxIfLi4ELi4ELi8ELi16ELb1ELi0ELNS0_23SharedExpertScoringFuncE0EEEvPKT_PKbPfiPiS9_iiiiii, .Lfunc_end21-_ZN4vllm3moe17topkGatingSoftmaxIfLi4ELi4ELi8ELi16ELb1ELi0ELNS0_23SharedExpertScoringFuncE0EEEvPKT_PKbPfiPiS9_iiiiii
                                        ; -- End function
	.section	.AMDGPU.csdata,"",@progbits
; Kernel info:
; codeLenInByte = 1332
; NumSgprs: 22
; NumVgprs: 21
; ScratchSize: 0
; MemoryBound: 0
; FloatMode: 240
; IeeeMode: 1
; LDSByteSize: 0 bytes/workgroup (compile time only)
; SGPRBlocks: 2
; VGPRBlocks: 2
; NumSGPRsForWavesPerEU: 22
; NumVGPRsForWavesPerEU: 21
; Occupancy: 16
; WaveLimiterHint : 0
; COMPUTE_PGM_RSRC2:SCRATCH_EN: 0
; COMPUTE_PGM_RSRC2:USER_SGPR: 15
; COMPUTE_PGM_RSRC2:TRAP_HANDLER: 0
; COMPUTE_PGM_RSRC2:TGID_X_EN: 1
; COMPUTE_PGM_RSRC2:TGID_Y_EN: 0
; COMPUTE_PGM_RSRC2:TGID_Z_EN: 0
; COMPUTE_PGM_RSRC2:TIDIG_COMP_CNT: 1
	.section	.text._ZN4vllm3moe17topkGatingSoftmaxIfLi4ELi4ELi8ELi16ELb0ELi0ELNS0_23SharedExpertScoringFuncE0EEEvPKT_PKbPfiPiS9_iiiiii,"axG",@progbits,_ZN4vllm3moe17topkGatingSoftmaxIfLi4ELi4ELi8ELi16ELb0ELi0ELNS0_23SharedExpertScoringFuncE0EEEvPKT_PKbPfiPiS9_iiiiii,comdat
	.protected	_ZN4vllm3moe17topkGatingSoftmaxIfLi4ELi4ELi8ELi16ELb0ELi0ELNS0_23SharedExpertScoringFuncE0EEEvPKT_PKbPfiPiS9_iiiiii ; -- Begin function _ZN4vllm3moe17topkGatingSoftmaxIfLi4ELi4ELi8ELi16ELb0ELi0ELNS0_23SharedExpertScoringFuncE0EEEvPKT_PKbPfiPiS9_iiiiii
	.globl	_ZN4vllm3moe17topkGatingSoftmaxIfLi4ELi4ELi8ELi16ELb0ELi0ELNS0_23SharedExpertScoringFuncE0EEEvPKT_PKbPfiPiS9_iiiiii
	.p2align	8
	.type	_ZN4vllm3moe17topkGatingSoftmaxIfLi4ELi4ELi8ELi16ELb0ELi0ELNS0_23SharedExpertScoringFuncE0EEEvPKT_PKbPfiPiS9_iiiiii,@function
_ZN4vllm3moe17topkGatingSoftmaxIfLi4ELi4ELi8ELi16ELb0ELi0ELNS0_23SharedExpertScoringFuncE0EEEvPKT_PKbPfiPiS9_iiiiii: ; @_ZN4vllm3moe17topkGatingSoftmaxIfLi4ELi4ELi8ELi16ELb0ELi0ELNS0_23SharedExpertScoringFuncE0EEEvPKT_PKbPfiPiS9_iiiiii
; %bb.0:
	s_load_b32 s16, s[0:1], 0x18
	v_bfe_u32 v1, v0, 10, 10
	v_and_b32_e32 v14, 0x3ff, v0
	s_lshl_b32 s17, s15, 8
	s_mov_b32 s2, exec_lo
	s_delay_alu instid0(VALU_DEP_2) | instskip(NEXT) | instid1(VALU_DEP_1)
	v_lshlrev_b32_e32 v13, 5, v1
	v_add3_u32 v10, v13, v14, s17
	s_waitcnt lgkmcnt(0)
	s_delay_alu instid0(VALU_DEP_1)
	v_cmpx_gt_i32_e64 s16, v10
	s_cbranch_execz .LBB22_13
; %bb.1:
	s_clause 0x1
	s_load_b128 s[4:7], s[0:1], 0x0
	s_load_b64 s[12:13], s[0:1], 0x10
	s_waitcnt lgkmcnt(0)
	s_cmp_eq_u64 s[6:7], 0
	s_cbranch_scc1 .LBB22_3
; %bb.2:
	v_ashrrev_i32_e32 v1, 31, v10
	v_add_co_u32 v0, vcc_lo, s6, v10
	s_delay_alu instid0(VALU_DEP_2) | instskip(SKIP_3) | instid1(VALU_DEP_1)
	v_add_co_ci_u32_e32 v1, vcc_lo, s7, v1, vcc_lo
	global_load_u8 v0, v[0:1], off
	s_waitcnt vmcnt(0)
	v_and_b32_e32 v0, 1, v0
	v_cmp_eq_u32_e32 vcc_lo, 1, v0
	s_xor_b32 s2, vcc_lo, -1
	s_delay_alu instid0(SALU_CYCLE_1)
	s_or_not1_b32 s15, s2, exec_lo
	s_branch .LBB22_4
.LBB22_3:
	s_mov_b32 s15, -1
.LBB22_4:
	s_load_b64 s[8:9], s[0:1], 0x40
	s_waitcnt lgkmcnt(0)
	v_mul_lo_u32 v0, v10, s9
	s_delay_alu instid0(VALU_DEP_1) | instskip(NEXT) | instid1(VALU_DEP_1)
	v_ashrrev_i32_e32 v1, 31, v0
	v_lshlrev_b64 v[0:1], 2, v[0:1]
	s_delay_alu instid0(VALU_DEP_1) | instskip(NEXT) | instid1(VALU_DEP_2)
	v_add_co_u32 v0, vcc_lo, s4, v0
	v_add_co_ci_u32_e32 v1, vcc_lo, s5, v1, vcc_lo
	s_load_b128 s[4:7], s[0:1], 0x30
	global_load_b128 v[0:3], v[0:1], off
	s_waitcnt lgkmcnt(0)
	s_cmp_gt_i32 s4, 0
	s_cselect_b32 s14, -1, 0
	s_cmp_lt_i32 s4, 1
	s_waitcnt vmcnt(0)
	v_cmp_lt_f32_e64 s3, v0, v1
	s_delay_alu instid0(VALU_DEP_1) | instskip(NEXT) | instid1(VALU_DEP_1)
	v_cndmask_b32_e64 v4, v0, v1, s3
	v_cmp_lt_f32_e64 s2, v4, v2
	s_delay_alu instid0(VALU_DEP_1) | instskip(NEXT) | instid1(VALU_DEP_1)
	v_cndmask_b32_e64 v4, v4, v2, s2
	v_cmp_lt_f32_e32 vcc_lo, v4, v3
	v_cndmask_b32_e32 v11, v4, v3, vcc_lo
	s_cbranch_scc1 .LBB22_8
; %bb.5:
	s_delay_alu instid0(VALU_DEP_1)
	v_sub_f32_e32 v12, v11, v11
	v_cndmask_b32_e64 v7, 0, 1, s3
	v_mul_lo_u32 v6, v10, s8
	s_load_b128 s[8:11], s[0:1], 0x20
	v_mul_lo_u32 v4, v10, s7
	v_mul_f32_e32 v5, 0x3fb8aa3b, v12
	v_cndmask_b32_e64 v18, v7, 2, s2
	v_mul_lo_u32 v8, v10, s4
	v_ashrrev_i32_e32 v7, 31, v6
	s_delay_alu instid0(VALU_DEP_4) | instskip(SKIP_3) | instid1(VALU_DEP_3)
	v_rndne_f32_e32 v17, v5
	v_fma_f32 v15, 0x3fb8aa3b, v12, -v5
	v_cndmask_b32_e64 v20, v18, 3, vcc_lo
	v_ashrrev_i32_e32 v9, 31, v8
	v_dual_sub_f32 v16, v5, v17 :: v_dual_fmac_f32 v15, 0x32a5705f, v12
	v_ashrrev_i32_e32 v5, 31, v4
	s_delay_alu instid0(VALU_DEP_4)
	v_cmp_le_i32_e32 vcc_lo, s5, v20
	v_cmp_gt_i32_e64 s0, s6, v20
	v_cvt_i32_f32_e32 v17, v17
	v_add_f32_e32 v19, v16, v15
	v_lshlrev_b64 v[15:16], 2, v[4:5]
	v_lshlrev_b64 v[4:5], 2, v[6:7]
	;; [unrolled: 1-line block ×3, first 2 shown]
	s_and_b32 s0, vcc_lo, s0
	v_exp_f32_e32 v18, v19
	v_subrev_nc_u32_e32 v19, s5, v20
	v_add_co_u32 v8, s1, s12, v15
	s_waitcnt lgkmcnt(0)
	v_add_co_u32 v15, vcc_lo, s8, v4
	v_add_co_ci_u32_e64 v9, s1, s13, v16, s1
	v_add_co_ci_u32_e32 v16, vcc_lo, s9, v5, vcc_lo
	s_waitcnt_depctr 0xfff
	v_ldexp_f32 v17, v18, v17
	v_cmp_ngt_f32_e32 vcc_lo, 0xc2ce8ed0, v12
	s_delay_alu instid0(VALU_DEP_2)
	v_cndmask_b32_e32 v21, 0, v17, vcc_lo
	v_add_co_u32 v17, vcc_lo, s10, v6
	v_add_co_ci_u32_e32 v18, vcc_lo, s11, v7, vcc_lo
	s_and_b32 vcc_lo, s15, s0
	s_cmp_eq_u32 s4, 1
	v_cndmask_b32_e32 v19, 4, v19, vcc_lo
	v_cmp_nlt_f32_e32 vcc_lo, 0x42b17218, v12
	v_cndmask_b32_e32 v12, 0x7f800000, v21, vcc_lo
	v_cmp_ne_u32_e32 vcc_lo, 3, v20
	global_store_b32 v[8:9], v12, off
	v_cndmask_b32_e32 v3, 0xff800000, v3, vcc_lo
	v_cmp_ne_u32_e32 vcc_lo, 2, v20
	global_store_b32 v[15:16], v19, off
	global_store_b32 v[17:18], v10, off
	v_cndmask_b32_e32 v2, 0xff800000, v2, vcc_lo
	v_cmp_ne_u32_e32 vcc_lo, 1, v20
	v_cndmask_b32_e32 v1, 0xff800000, v1, vcc_lo
	v_cmp_ne_u32_e32 vcc_lo, 0, v20
	v_cndmask_b32_e32 v0, 0xff800000, v0, vcc_lo
	s_cbranch_scc1 .LBB22_9
; %bb.6:
	v_add_co_u32 v6, vcc_lo, v6, s10
	v_add_co_ci_u32_e32 v7, vcc_lo, s11, v7, vcc_lo
	v_add_co_u32 v15, vcc_lo, v4, s8
	v_add_co_ci_u32_e32 v16, vcc_lo, s9, v5, vcc_lo
	s_delay_alu instid0(VALU_DEP_4) | instskip(NEXT) | instid1(VALU_DEP_4)
	v_add_co_u32 v4, vcc_lo, v6, 4
	v_add_co_ci_u32_e32 v5, vcc_lo, 0, v7, vcc_lo
	s_delay_alu instid0(VALU_DEP_4) | instskip(NEXT) | instid1(VALU_DEP_4)
	v_add_co_u32 v6, vcc_lo, v15, 4
	v_add_co_ci_u32_e32 v7, vcc_lo, 0, v16, vcc_lo
	s_add_i32 s17, s17, s16
	v_add_co_u32 v8, vcc_lo, v8, 4
	v_add_co_ci_u32_e32 v9, vcc_lo, 0, v9, vcc_lo
	v_add3_u32 v13, s17, v14, v13
	s_add_i32 s2, s4, -1
.LBB22_7:                               ; =>This Inner Loop Header: Depth=1
	v_cmp_gt_f32_e32 vcc_lo, v1, v0
	s_add_i32 s2, s2, -1
	v_cndmask_b32_e32 v14, v0, v1, vcc_lo
	v_cndmask_b32_e64 v15, 0, 1, vcc_lo
	s_delay_alu instid0(VALU_DEP_2) | instskip(SKIP_1) | instid1(VALU_DEP_3)
	v_cmp_gt_f32_e32 vcc_lo, v2, v14
	v_cndmask_b32_e32 v14, v14, v2, vcc_lo
	v_cndmask_b32_e64 v15, v15, 2, vcc_lo
	s_delay_alu instid0(VALU_DEP_2) | instskip(NEXT) | instid1(VALU_DEP_2)
	v_cmp_gt_f32_e32 vcc_lo, v3, v14
	v_cndmask_b32_e64 v15, v15, 3, vcc_lo
	v_cndmask_b32_e32 v14, v14, v3, vcc_lo
	s_delay_alu instid0(VALU_DEP_2) | instskip(SKIP_3) | instid1(VALU_DEP_3)
	v_cmp_le_i32_e32 vcc_lo, s5, v15
	v_cmp_gt_i32_e64 s0, s6, v15
	v_subrev_nc_u32_e32 v17, s5, v15
	v_cmp_ne_u32_e64 s1, 3, v15
	s_and_b32 s0, vcc_lo, s0
	s_delay_alu instid0(SALU_CYCLE_1) | instskip(NEXT) | instid1(VALU_DEP_1)
	s_and_b32 vcc_lo, s15, s0
	v_cndmask_b32_e64 v3, 0xff800000, v3, s1
	v_cndmask_b32_e32 v17, 4, v17, vcc_lo
	v_cmp_ne_u32_e64 s1, 2, v15
	s_cmp_eq_u32 s2, 0
	global_store_b32 v[6:7], v17, off
	global_store_b32 v[4:5], v13, off
	v_dual_sub_f32 v14, v14, v11 :: v_dual_add_nc_u32 v13, s16, v13
	v_cndmask_b32_e64 v2, 0xff800000, v2, s1
	v_cmp_ne_u32_e64 s1, 1, v15
	v_add_co_u32 v4, vcc_lo, v4, 4
	s_delay_alu instid0(VALU_DEP_4) | instskip(SKIP_1) | instid1(VALU_DEP_4)
	v_mul_f32_e32 v16, 0x3fb8aa3b, v14
	v_add_co_ci_u32_e32 v5, vcc_lo, 0, v5, vcc_lo
	v_cndmask_b32_e64 v1, 0xff800000, v1, s1
	v_cmp_ne_u32_e64 s1, 0, v15
	s_delay_alu instid0(VALU_DEP_4) | instskip(SKIP_3) | instid1(VALU_DEP_4)
	v_fma_f32 v15, 0x3fb8aa3b, v14, -v16
	v_rndne_f32_e32 v18, v16
	v_add_co_u32 v6, vcc_lo, v6, 4
	v_add_co_ci_u32_e32 v7, vcc_lo, 0, v7, vcc_lo
	v_fmac_f32_e32 v15, 0x32a5705f, v14
	s_delay_alu instid0(VALU_DEP_4) | instskip(SKIP_3) | instid1(VALU_DEP_4)
	v_sub_f32_e32 v16, v16, v18
	v_cvt_i32_f32_e32 v18, v18
	v_cmp_ngt_f32_e32 vcc_lo, 0xc2ce8ed0, v14
	v_cndmask_b32_e64 v0, 0xff800000, v0, s1
	v_add_f32_e32 v15, v16, v15
	s_delay_alu instid0(VALU_DEP_1) | instskip(SKIP_2) | instid1(VALU_DEP_1)
	v_exp_f32_e32 v15, v15
	s_waitcnt_depctr 0xfff
	v_ldexp_f32 v15, v15, v18
	v_cndmask_b32_e32 v15, 0, v15, vcc_lo
	v_cmp_nlt_f32_e32 vcc_lo, 0x42b17218, v14
	s_delay_alu instid0(VALU_DEP_2)
	v_cndmask_b32_e32 v14, 0x7f800000, v15, vcc_lo
	global_store_b32 v[8:9], v14, off
	v_add_co_u32 v8, vcc_lo, v8, 4
	v_add_f32_e32 v12, v12, v14
	v_add_co_ci_u32_e32 v9, vcc_lo, 0, v9, vcc_lo
	s_cbranch_scc0 .LBB22_7
	s_branch .LBB22_9
.LBB22_8:
	v_mov_b32_e32 v12, 0
.LBB22_9:
	s_delay_alu instid0(VALU_DEP_2) | instskip(NEXT) | instid1(VALU_DEP_1)
	v_sub_f32_e32 v1, v1, v11
	v_dual_sub_f32 v0, v0, v11 :: v_dual_mul_f32 v5, 0x3fb8aa3b, v1
	s_delay_alu instid0(VALU_DEP_1)
	v_mul_f32_e32 v4, 0x3fb8aa3b, v0
	v_sub_f32_e32 v2, v2, v11
	v_sub_f32_e32 v3, v3, v11
	v_cmp_ngt_f32_e32 vcc_lo, 0xc2ce8ed0, v0
	v_fma_f32 v11, 0x3fb8aa3b, v1, -v5
	v_fma_f32 v8, 0x3fb8aa3b, v0, -v4
	v_rndne_f32_e32 v9, v4
	v_rndne_f32_e32 v13, v5
	s_delay_alu instid0(VALU_DEP_4) | instskip(SKIP_1) | instid1(VALU_DEP_4)
	v_fmac_f32_e32 v11, 0x32a5705f, v1
	v_dual_mul_f32 v6, 0x3fb8aa3b, v2 :: v_dual_mul_f32 v7, 0x3fb8aa3b, v3
	v_sub_f32_e32 v4, v4, v9
	s_delay_alu instid0(VALU_DEP_4) | instskip(NEXT) | instid1(VALU_DEP_3)
	v_dual_fmac_f32 v8, 0x32a5705f, v0 :: v_dual_sub_f32 v5, v5, v13
	v_fma_f32 v14, 0x3fb8aa3b, v2, -v6
	v_rndne_f32_e32 v15, v6
	v_fma_f32 v16, 0x3fb8aa3b, v3, -v7
	s_delay_alu instid0(VALU_DEP_4) | instskip(SKIP_3) | instid1(VALU_DEP_4)
	v_dual_add_f32 v4, v4, v8 :: v_dual_add_f32 v5, v5, v11
	v_cvt_i32_f32_e32 v8, v9
	v_cvt_i32_f32_e32 v9, v13
	v_rndne_f32_e32 v17, v7
	v_exp_f32_e32 v4, v4
	v_exp_f32_e32 v5, v5
	v_fmac_f32_e32 v14, 0x32a5705f, v2
	v_cvt_i32_f32_e32 v11, v15
	v_sub_f32_e32 v7, v7, v17
	s_waitcnt_depctr 0xfff
	v_ldexp_f32 v4, v4, v8
	v_ldexp_f32 v5, v5, v9
	v_cvt_i32_f32_e32 v8, v17
	s_delay_alu instid0(VALU_DEP_3) | instskip(SKIP_1) | instid1(VALU_DEP_4)
	v_cndmask_b32_e32 v4, 0, v4, vcc_lo
	v_cmp_ngt_f32_e32 vcc_lo, 0xc2ce8ed0, v1
	v_dual_fmac_f32 v16, 0x32a5705f, v3 :: v_dual_cndmask_b32 v5, 0, v5
	s_delay_alu instid0(VALU_DEP_1) | instskip(SKIP_1) | instid1(VALU_DEP_2)
	v_dual_sub_f32 v6, v6, v15 :: v_dual_add_f32 v7, v7, v16
	v_cmp_nlt_f32_e32 vcc_lo, 0x42b17218, v0
	v_exp_f32_e32 v7, v7
	v_cndmask_b32_e32 v0, 0x7f800000, v4, vcc_lo
	v_cmp_nlt_f32_e32 vcc_lo, 0x42b17218, v1
	v_dual_add_f32 v6, v6, v14 :: v_dual_cndmask_b32 v1, 0x7f800000, v5
	s_delay_alu instid0(VALU_DEP_1) | instskip(SKIP_4) | instid1(VALU_DEP_1)
	v_exp_f32_e32 v6, v6
	v_cmp_ngt_f32_e32 vcc_lo, 0xc2ce8ed0, v2
	s_waitcnt_depctr 0xfff
	v_ldexp_f32 v5, v7, v8
	v_ldexp_f32 v6, v6, v11
	v_cndmask_b32_e32 v4, 0, v6, vcc_lo
	v_cmp_nlt_f32_e32 vcc_lo, 0x42b17218, v2
	s_delay_alu instid0(VALU_DEP_2) | instskip(SKIP_3) | instid1(VALU_DEP_2)
	v_dual_add_f32 v0, v0, v1 :: v_dual_cndmask_b32 v1, 0x7f800000, v4
	v_cmp_ngt_f32_e32 vcc_lo, 0xc2ce8ed0, v3
	v_cndmask_b32_e32 v2, 0, v5, vcc_lo
	v_cmp_nlt_f32_e32 vcc_lo, 0x42b17218, v3
	v_dual_add_f32 v0, v0, v1 :: v_dual_cndmask_b32 v1, 0x7f800000, v2
	s_delay_alu instid0(VALU_DEP_1) | instskip(NEXT) | instid1(VALU_DEP_1)
	v_add_f32_e32 v0, v0, v1
	v_add_f32_e32 v0, v12, v0
	s_delay_alu instid0(VALU_DEP_1)
	v_cmp_neq_f32_e32 vcc_lo, 0, v0
	s_and_b32 exec_lo, exec_lo, vcc_lo
	s_cbranch_execz .LBB22_13
; %bb.10:
	s_and_not1_b32 vcc_lo, exec_lo, s14
	s_cbranch_vccnz .LBB22_13
; %bb.11:
	v_div_scale_f32 v2, null, v0, v0, 1.0
	v_div_scale_f32 v4, vcc_lo, 1.0, v0, 1.0
	s_delay_alu instid0(VALU_DEP_2) | instskip(SKIP_2) | instid1(VALU_DEP_1)
	v_rcp_f32_e32 v3, v2
	s_waitcnt_depctr 0xfff
	v_fma_f32 v1, -v2, v3, 1.0
	v_fmac_f32_e32 v3, v1, v3
	v_mul_lo_u32 v1, v10, s7
	s_delay_alu instid0(VALU_DEP_2) | instskip(NEXT) | instid1(VALU_DEP_1)
	v_mul_f32_e32 v5, v4, v3
	v_fma_f32 v6, -v2, v5, v4
	s_delay_alu instid0(VALU_DEP_1) | instskip(NEXT) | instid1(VALU_DEP_1)
	v_fmac_f32_e32 v5, v6, v3
	v_fma_f32 v4, -v2, v5, v4
	v_ashrrev_i32_e32 v2, 31, v1
	s_delay_alu instid0(VALU_DEP_2) | instskip(NEXT) | instid1(VALU_DEP_2)
	v_div_fmas_f32 v5, v4, v3, v5
	v_lshlrev_b64 v[3:4], 2, v[1:2]
	s_delay_alu instid0(VALU_DEP_2) | instskip(NEXT) | instid1(VALU_DEP_2)
	v_div_fixup_f32 v2, v5, v0, 1.0
	v_add_co_u32 v0, vcc_lo, s12, v3
	s_delay_alu instid0(VALU_DEP_3)
	v_add_co_ci_u32_e32 v1, vcc_lo, s13, v4, vcc_lo
.LBB22_12:                              ; =>This Inner Loop Header: Depth=1
	global_load_b32 v3, v[0:1], off
	s_add_i32 s4, s4, -1
	s_delay_alu instid0(SALU_CYCLE_1)
	s_cmp_lg_u32 s4, 0
	s_waitcnt vmcnt(0)
	v_mul_f32_e32 v3, v2, v3
	global_store_b32 v[0:1], v3, off
	v_add_co_u32 v0, vcc_lo, v0, 4
	v_add_co_ci_u32_e32 v1, vcc_lo, 0, v1, vcc_lo
	s_cbranch_scc1 .LBB22_12
.LBB22_13:
	s_nop 0
	s_sendmsg sendmsg(MSG_DEALLOC_VGPRS)
	s_endpgm
	.section	.rodata,"a",@progbits
	.p2align	6, 0x0
	.amdhsa_kernel _ZN4vllm3moe17topkGatingSoftmaxIfLi4ELi4ELi8ELi16ELb0ELi0ELNS0_23SharedExpertScoringFuncE0EEEvPKT_PKbPfiPiS9_iiiiii
		.amdhsa_group_segment_fixed_size 0
		.amdhsa_private_segment_fixed_size 0
		.amdhsa_kernarg_size 72
		.amdhsa_user_sgpr_count 15
		.amdhsa_user_sgpr_dispatch_ptr 0
		.amdhsa_user_sgpr_queue_ptr 0
		.amdhsa_user_sgpr_kernarg_segment_ptr 1
		.amdhsa_user_sgpr_dispatch_id 0
		.amdhsa_user_sgpr_private_segment_size 0
		.amdhsa_wavefront_size32 1
		.amdhsa_uses_dynamic_stack 0
		.amdhsa_enable_private_segment 0
		.amdhsa_system_sgpr_workgroup_id_x 1
		.amdhsa_system_sgpr_workgroup_id_y 0
		.amdhsa_system_sgpr_workgroup_id_z 0
		.amdhsa_system_sgpr_workgroup_info 0
		.amdhsa_system_vgpr_workitem_id 1
		.amdhsa_next_free_vgpr 22
		.amdhsa_next_free_sgpr 18
		.amdhsa_reserve_vcc 1
		.amdhsa_float_round_mode_32 0
		.amdhsa_float_round_mode_16_64 0
		.amdhsa_float_denorm_mode_32 3
		.amdhsa_float_denorm_mode_16_64 3
		.amdhsa_dx10_clamp 1
		.amdhsa_ieee_mode 1
		.amdhsa_fp16_overflow 0
		.amdhsa_workgroup_processor_mode 1
		.amdhsa_memory_ordered 1
		.amdhsa_forward_progress 0
		.amdhsa_shared_vgpr_count 0
		.amdhsa_exception_fp_ieee_invalid_op 0
		.amdhsa_exception_fp_denorm_src 0
		.amdhsa_exception_fp_ieee_div_zero 0
		.amdhsa_exception_fp_ieee_overflow 0
		.amdhsa_exception_fp_ieee_underflow 0
		.amdhsa_exception_fp_ieee_inexact 0
		.amdhsa_exception_int_div_zero 0
	.end_amdhsa_kernel
	.section	.text._ZN4vllm3moe17topkGatingSoftmaxIfLi4ELi4ELi8ELi16ELb0ELi0ELNS0_23SharedExpertScoringFuncE0EEEvPKT_PKbPfiPiS9_iiiiii,"axG",@progbits,_ZN4vllm3moe17topkGatingSoftmaxIfLi4ELi4ELi8ELi16ELb0ELi0ELNS0_23SharedExpertScoringFuncE0EEEvPKT_PKbPfiPiS9_iiiiii,comdat
.Lfunc_end22:
	.size	_ZN4vllm3moe17topkGatingSoftmaxIfLi4ELi4ELi8ELi16ELb0ELi0ELNS0_23SharedExpertScoringFuncE0EEEvPKT_PKbPfiPiS9_iiiiii, .Lfunc_end22-_ZN4vllm3moe17topkGatingSoftmaxIfLi4ELi4ELi8ELi16ELb0ELi0ELNS0_23SharedExpertScoringFuncE0EEEvPKT_PKbPfiPiS9_iiiiii
                                        ; -- End function
	.section	.AMDGPU.csdata,"",@progbits
; Kernel info:
; codeLenInByte = 1740
; NumSgprs: 20
; NumVgprs: 22
; ScratchSize: 0
; MemoryBound: 0
; FloatMode: 240
; IeeeMode: 1
; LDSByteSize: 0 bytes/workgroup (compile time only)
; SGPRBlocks: 2
; VGPRBlocks: 2
; NumSGPRsForWavesPerEU: 20
; NumVGPRsForWavesPerEU: 22
; Occupancy: 16
; WaveLimiterHint : 0
; COMPUTE_PGM_RSRC2:SCRATCH_EN: 0
; COMPUTE_PGM_RSRC2:USER_SGPR: 15
; COMPUTE_PGM_RSRC2:TRAP_HANDLER: 0
; COMPUTE_PGM_RSRC2:TGID_X_EN: 1
; COMPUTE_PGM_RSRC2:TGID_Y_EN: 0
; COMPUTE_PGM_RSRC2:TGID_Z_EN: 0
; COMPUTE_PGM_RSRC2:TIDIG_COMP_CNT: 1
	.section	.text._ZN4vllm3moe17topkGatingSoftmaxIfLi4ELi4ELi8ELi16ELb1ELi1ELNS0_23SharedExpertScoringFuncE1EEEvPKT_PKbPfiPiS9_iiiiii,"axG",@progbits,_ZN4vllm3moe17topkGatingSoftmaxIfLi4ELi4ELi8ELi16ELb1ELi1ELNS0_23SharedExpertScoringFuncE1EEEvPKT_PKbPfiPiS9_iiiiii,comdat
	.protected	_ZN4vllm3moe17topkGatingSoftmaxIfLi4ELi4ELi8ELi16ELb1ELi1ELNS0_23SharedExpertScoringFuncE1EEEvPKT_PKbPfiPiS9_iiiiii ; -- Begin function _ZN4vllm3moe17topkGatingSoftmaxIfLi4ELi4ELi8ELi16ELb1ELi1ELNS0_23SharedExpertScoringFuncE1EEEvPKT_PKbPfiPiS9_iiiiii
	.globl	_ZN4vllm3moe17topkGatingSoftmaxIfLi4ELi4ELi8ELi16ELb1ELi1ELNS0_23SharedExpertScoringFuncE1EEEvPKT_PKbPfiPiS9_iiiiii
	.p2align	8
	.type	_ZN4vllm3moe17topkGatingSoftmaxIfLi4ELi4ELi8ELi16ELb1ELi1ELNS0_23SharedExpertScoringFuncE1EEEvPKT_PKbPfiPiS9_iiiiii,@function
_ZN4vllm3moe17topkGatingSoftmaxIfLi4ELi4ELi8ELi16ELb1ELi1ELNS0_23SharedExpertScoringFuncE1EEEvPKT_PKbPfiPiS9_iiiiii: ; @_ZN4vllm3moe17topkGatingSoftmaxIfLi4ELi4ELi8ELi16ELb1ELi1ELNS0_23SharedExpertScoringFuncE1EEEvPKT_PKbPfiPiS9_iiiiii
; %bb.0:
	s_load_b32 s12, s[0:1], 0x18
	v_bfe_u32 v1, v0, 10, 10
	v_and_b32_e32 v13, 0x3ff, v0
	s_lshl_b32 s14, s15, 8
	s_mov_b32 s2, exec_lo
	s_delay_alu instid0(VALU_DEP_2) | instskip(NEXT) | instid1(VALU_DEP_1)
	v_lshlrev_b32_e32 v12, 5, v1
	v_add3_u32 v15, v12, v13, s14
	s_waitcnt lgkmcnt(0)
	s_delay_alu instid0(VALU_DEP_1)
	v_cmpx_gt_i32_e64 s12, v15
	s_cbranch_execz .LBB23_12
; %bb.1:
	s_clause 0x1
	s_load_b128 s[4:7], s[0:1], 0x0
	s_load_b64 s[2:3], s[0:1], 0x10
	s_waitcnt lgkmcnt(0)
	s_cmp_eq_u64 s[6:7], 0
	s_cbranch_scc1 .LBB23_3
; %bb.2:
	v_ashrrev_i32_e32 v1, 31, v15
	v_add_co_u32 v0, vcc_lo, s6, v15
	s_delay_alu instid0(VALU_DEP_2) | instskip(SKIP_3) | instid1(VALU_DEP_1)
	v_add_co_ci_u32_e32 v1, vcc_lo, s7, v1, vcc_lo
	global_load_u8 v0, v[0:1], off
	s_waitcnt vmcnt(0)
	v_and_b32_e32 v0, 1, v0
	v_cmp_eq_u32_e32 vcc_lo, 1, v0
	s_xor_b32 s6, vcc_lo, -1
	s_delay_alu instid0(SALU_CYCLE_1)
	s_or_not1_b32 s13, s6, exec_lo
	s_branch .LBB23_4
.LBB23_3:
	s_mov_b32 s13, -1
.LBB23_4:
	s_load_b64 s[8:9], s[0:1], 0x40
	v_mov_b32_e32 v14, 0
	s_waitcnt lgkmcnt(0)
	v_mul_lo_u32 v0, v15, s9
	s_delay_alu instid0(VALU_DEP_1) | instskip(NEXT) | instid1(VALU_DEP_1)
	v_ashrrev_i32_e32 v1, 31, v0
	v_lshlrev_b64 v[0:1], 2, v[0:1]
	s_delay_alu instid0(VALU_DEP_1) | instskip(NEXT) | instid1(VALU_DEP_2)
	v_add_co_u32 v0, vcc_lo, s4, v0
	v_add_co_ci_u32_e32 v1, vcc_lo, s5, v1, vcc_lo
	s_clause 0x1
	global_load_b32 v4, v[0:1], off offset:16
	global_load_b128 v[0:3], v[0:1], off
	s_load_b128 s[4:7], s[0:1], 0x30
	s_waitcnt lgkmcnt(0)
	s_cmp_gt_i32 s4, 0
	s_waitcnt vmcnt(1)
	v_mul_f32_e32 v5, 0xbfb8aa3b, v4
	v_cmp_nlt_f32_e32 vcc_lo, 0x42ce8ed0, v4
	s_delay_alu instid0(VALU_DEP_2) | instskip(SKIP_1) | instid1(VALU_DEP_1)
	v_fma_f32 v6, 0xbfb8aa3b, v4, -v5
	v_rndne_f32_e32 v7, v5
	v_dual_fmamk_f32 v6, v4, 0xb2a5705f, v6 :: v_dual_sub_f32 v5, v5, v7
	s_delay_alu instid0(VALU_DEP_1) | instskip(SKIP_1) | instid1(VALU_DEP_2)
	v_add_f32_e32 v5, v5, v6
	v_cvt_i32_f32_e32 v6, v7
	v_exp_f32_e32 v5, v5
	s_waitcnt_depctr 0xfff
	v_ldexp_f32 v5, v5, v6
	s_delay_alu instid0(VALU_DEP_1) | instskip(SKIP_1) | instid1(VALU_DEP_2)
	v_cndmask_b32_e32 v5, 0, v5, vcc_lo
	v_cmp_ngt_f32_e32 vcc_lo, 0xc2b17218, v4
	v_cndmask_b32_e32 v4, 0x7f800000, v5, vcc_lo
	s_delay_alu instid0(VALU_DEP_1) | instskip(NEXT) | instid1(VALU_DEP_1)
	v_add_f32_e32 v7, 1.0, v4
	v_div_scale_f32 v8, null, v7, v7, 1.0
	v_div_scale_f32 v10, vcc_lo, 1.0, v7, 1.0
	s_delay_alu instid0(VALU_DEP_2) | instskip(SKIP_2) | instid1(VALU_DEP_1)
	v_rcp_f32_e32 v9, v8
	s_waitcnt_depctr 0xfff
	v_fma_f32 v4, -v8, v9, 1.0
	v_fmac_f32_e32 v9, v4, v9
	v_mul_lo_u32 v4, v15, s7
	s_cselect_b32 s7, -1, 0
	s_cmp_lt_i32 s4, 1
	s_delay_alu instid0(VALU_DEP_2) | instskip(NEXT) | instid1(VALU_DEP_2)
	v_mul_f32_e32 v11, v10, v9
	v_add_nc_u32_e32 v5, s4, v4
	s_delay_alu instid0(VALU_DEP_2) | instskip(NEXT) | instid1(VALU_DEP_1)
	v_fma_f32 v6, -v8, v11, v10
	v_fmac_f32_e32 v11, v6, v9
	s_delay_alu instid0(VALU_DEP_3) | instskip(NEXT) | instid1(VALU_DEP_2)
	v_ashrrev_i32_e32 v6, 31, v5
	v_fma_f32 v8, -v8, v11, v10
	s_delay_alu instid0(VALU_DEP_2) | instskip(NEXT) | instid1(VALU_DEP_2)
	v_lshlrev_b64 v[5:6], 2, v[5:6]
	v_div_fmas_f32 v8, v8, v9, v11
	s_delay_alu instid0(VALU_DEP_2) | instskip(NEXT) | instid1(VALU_DEP_3)
	v_add_co_u32 v5, vcc_lo, s2, v5
	v_add_co_ci_u32_e32 v6, vcc_lo, s3, v6, vcc_lo
	s_delay_alu instid0(VALU_DEP_3)
	v_div_fixup_f32 v7, v8, v7, 1.0
	global_store_b32 v[5:6], v7, off
	s_cbranch_scc1 .LBB23_8
; %bb.5:
	s_waitcnt vmcnt(0)
	v_cmp_lt_f32_e32 vcc_lo, v0, v1
	v_mul_lo_u32 v7, v15, s8
	s_load_b128 s[8:11], s[0:1], 0x20
	v_mul_lo_u32 v9, v15, s4
	v_cndmask_b32_e32 v6, v0, v1, vcc_lo
	v_cndmask_b32_e64 v5, 0, 1, vcc_lo
	s_delay_alu instid0(VALU_DEP_2) | instskip(SKIP_1) | instid1(VALU_DEP_3)
	v_cmp_lt_f32_e32 vcc_lo, v6, v2
	v_cndmask_b32_e32 v6, v6, v2, vcc_lo
	v_cndmask_b32_e64 v5, v5, 2, vcc_lo
	s_delay_alu instid0(VALU_DEP_2) | instskip(SKIP_1) | instid1(VALU_DEP_3)
	v_cmp_lt_f32_e32 vcc_lo, v6, v3
	v_cndmask_b32_e32 v11, v6, v3, vcc_lo
	v_cndmask_b32_e64 v18, v5, 3, vcc_lo
	s_delay_alu instid0(VALU_DEP_2) | instskip(NEXT) | instid1(VALU_DEP_2)
	v_sub_f32_e32 v14, v11, v11
	v_cmp_gt_i32_e64 s0, s6, v18
	v_subrev_nc_u32_e32 v19, s5, v18
	s_delay_alu instid0(VALU_DEP_3) | instskip(NEXT) | instid1(VALU_DEP_1)
	v_mul_f32_e32 v5, 0x3fb8aa3b, v14
	v_fma_f32 v6, 0x3fb8aa3b, v14, -v5
	v_rndne_f32_e32 v16, v5
	s_delay_alu instid0(VALU_DEP_2) | instskip(NEXT) | instid1(VALU_DEP_2)
	v_fmac_f32_e32 v6, 0x32a5705f, v14
	v_sub_f32_e32 v8, v5, v16
	v_ashrrev_i32_e32 v5, 31, v4
	v_cvt_i32_f32_e32 v16, v16
	s_delay_alu instid0(VALU_DEP_3) | instskip(NEXT) | instid1(VALU_DEP_3)
	v_add_f32_e32 v10, v8, v6
	v_lshlrev_b64 v[5:6], 2, v[4:5]
	v_ashrrev_i32_e32 v8, 31, v7
	s_delay_alu instid0(VALU_DEP_3) | instskip(SKIP_1) | instid1(VALU_DEP_3)
	v_exp_f32_e32 v17, v10
	v_ashrrev_i32_e32 v10, 31, v9
	v_add_co_u32 v5, vcc_lo, s2, v5
	s_delay_alu instid0(VALU_DEP_4) | instskip(SKIP_3) | instid1(TRANS32_DEP_1)
	v_add_co_ci_u32_e32 v6, vcc_lo, s3, v6, vcc_lo
	v_cmp_le_i32_e32 vcc_lo, s5, v18
	v_lshlrev_b64 v[7:8], 2, v[7:8]
	v_lshlrev_b64 v[9:10], 2, v[9:10]
	v_ldexp_f32 v16, v17, v16
	s_and_b32 s0, vcc_lo, s0
	v_cmp_ngt_f32_e32 vcc_lo, 0xc2ce8ed0, v14
	s_delay_alu instid0(VALU_DEP_2)
	v_cndmask_b32_e32 v20, 0, v16, vcc_lo
	s_waitcnt lgkmcnt(0)
	v_add_co_u32 v16, vcc_lo, s8, v7
	v_add_co_ci_u32_e32 v17, vcc_lo, s9, v8, vcc_lo
	s_and_b32 vcc_lo, s13, s0
	s_cmp_eq_u32 s4, 1
	v_cndmask_b32_e32 v21, 4, v19, vcc_lo
	v_cmp_nlt_f32_e32 vcc_lo, 0x42b17218, v14
	v_cndmask_b32_e32 v14, 0x7f800000, v20, vcc_lo
	v_add_co_u32 v19, vcc_lo, s10, v9
	v_add_co_ci_u32_e32 v20, vcc_lo, s11, v10, vcc_lo
	global_store_b32 v[16:17], v21, off
	global_store_b32 v[5:6], v14, off
	;; [unrolled: 1-line block ×3, first 2 shown]
	s_cbranch_scc1 .LBB23_8
; %bb.6:
	v_cmp_ne_u32_e32 vcc_lo, 3, v18
	s_add_i32 s14, s14, s12
	v_cndmask_b32_e32 v15, 0xff800000, v3, vcc_lo
	v_cmp_ne_u32_e32 vcc_lo, 2, v18
	v_cndmask_b32_e32 v16, 0xff800000, v2, vcc_lo
	v_cmp_ne_u32_e32 vcc_lo, 1, v18
	;; [unrolled: 2-line block ×3, first 2 shown]
	v_cndmask_b32_e32 v18, 0xff800000, v0, vcc_lo
	v_add_co_u32 v0, vcc_lo, v9, s10
	v_add_co_ci_u32_e32 v1, vcc_lo, s11, v10, vcc_lo
	v_add_co_u32 v2, vcc_lo, v7, s8
	v_add_co_ci_u32_e32 v3, vcc_lo, s9, v8, vcc_lo
	s_delay_alu instid0(VALU_DEP_4) | instskip(NEXT) | instid1(VALU_DEP_4)
	v_add_co_u32 v0, vcc_lo, v0, 4
	v_add_co_ci_u32_e32 v1, vcc_lo, 0, v1, vcc_lo
	s_delay_alu instid0(VALU_DEP_4) | instskip(NEXT) | instid1(VALU_DEP_4)
	v_add_co_u32 v2, vcc_lo, v2, 4
	v_add_co_ci_u32_e32 v3, vcc_lo, 0, v3, vcc_lo
	v_add_co_u32 v5, vcc_lo, v5, 4
	v_add_co_ci_u32_e32 v6, vcc_lo, 0, v6, vcc_lo
	v_add3_u32 v7, s14, v13, v12
	s_add_i32 s8, s4, -1
.LBB23_7:                               ; =>This Inner Loop Header: Depth=1
	v_cmp_gt_f32_e32 vcc_lo, v17, v18
	s_add_i32 s8, s8, -1
	v_cndmask_b32_e32 v8, v18, v17, vcc_lo
	v_cndmask_b32_e64 v9, 0, 1, vcc_lo
	s_delay_alu instid0(VALU_DEP_2) | instskip(SKIP_1) | instid1(VALU_DEP_3)
	v_cmp_gt_f32_e32 vcc_lo, v16, v8
	v_cndmask_b32_e32 v8, v8, v16, vcc_lo
	v_cndmask_b32_e64 v9, v9, 2, vcc_lo
	s_delay_alu instid0(VALU_DEP_2) | instskip(NEXT) | instid1(VALU_DEP_2)
	v_cmp_gt_f32_e32 vcc_lo, v15, v8
	v_cndmask_b32_e64 v9, v9, 3, vcc_lo
	v_cndmask_b32_e32 v8, v8, v15, vcc_lo
	s_delay_alu instid0(VALU_DEP_2) | instskip(NEXT) | instid1(VALU_DEP_2)
	v_cmp_ne_u32_e64 s1, 3, v9
	v_sub_f32_e32 v8, v8, v11
	v_cmp_le_i32_e32 vcc_lo, s5, v9
	v_cmp_gt_i32_e64 s0, s6, v9
	v_subrev_nc_u32_e32 v12, s5, v9
	v_cndmask_b32_e64 v15, 0xff800000, v15, s1
	v_cmp_ne_u32_e64 s1, 2, v9
	v_mul_f32_e32 v10, 0x3fb8aa3b, v8
	s_and_b32 s0, vcc_lo, s0
	s_delay_alu instid0(SALU_CYCLE_1) | instskip(NEXT) | instid1(VALU_DEP_2)
	s_and_b32 vcc_lo, s13, s0
	v_cndmask_b32_e64 v16, 0xff800000, v16, s1
	v_cmp_ne_u32_e64 s1, 1, v9
	v_rndne_f32_e32 v13, v10
	v_cndmask_b32_e32 v12, 4, v12, vcc_lo
	global_store_b32 v[2:3], v12, off
	global_store_b32 v[0:1], v7, off
	v_cndmask_b32_e64 v17, 0xff800000, v17, s1
	v_cmp_ne_u32_e64 s1, 0, v9
	v_fma_f32 v9, 0x3fb8aa3b, v8, -v10
	v_sub_f32_e32 v10, v10, v13
	v_add_co_u32 v0, vcc_lo, v0, 4
	v_cvt_i32_f32_e32 v13, v13
	s_delay_alu instid0(VALU_DEP_4) | instskip(SKIP_2) | instid1(VALU_DEP_3)
	v_fmac_f32_e32 v9, 0x32a5705f, v8
	v_add_co_ci_u32_e32 v1, vcc_lo, 0, v1, vcc_lo
	v_add_co_u32 v2, vcc_lo, v2, 4
	v_add_f32_e32 v9, v10, v9
	v_add_co_ci_u32_e32 v3, vcc_lo, 0, v3, vcc_lo
	v_cmp_ngt_f32_e32 vcc_lo, 0xc2ce8ed0, v8
	v_cndmask_b32_e64 v18, 0xff800000, v18, s1
	s_delay_alu instid0(VALU_DEP_4) | instskip(SKIP_4) | instid1(VALU_DEP_1)
	v_exp_f32_e32 v9, v9
	v_add_nc_u32_e32 v7, s12, v7
	s_cmp_eq_u32 s8, 0
	s_waitcnt_depctr 0xfff
	v_ldexp_f32 v9, v9, v13
	v_cndmask_b32_e32 v9, 0, v9, vcc_lo
	v_cmp_nlt_f32_e32 vcc_lo, 0x42b17218, v8
	s_delay_alu instid0(VALU_DEP_2)
	v_cndmask_b32_e32 v8, 0x7f800000, v9, vcc_lo
	global_store_b32 v[5:6], v8, off
	v_add_co_u32 v5, vcc_lo, v5, 4
	v_add_f32_e32 v14, v14, v8
	v_add_co_ci_u32_e32 v6, vcc_lo, 0, v6, vcc_lo
	s_cbranch_scc0 .LBB23_7
.LBB23_8:
	s_delay_alu instid0(VALU_DEP_2)
	v_cmp_neq_f32_e32 vcc_lo, 0, v14
	s_and_b32 exec_lo, exec_lo, vcc_lo
	s_cbranch_execz .LBB23_12
; %bb.9:
	s_and_not1_b32 vcc_lo, exec_lo, s7
	s_cbranch_vccnz .LBB23_12
; %bb.10:
	s_waitcnt vmcnt(0)
	v_div_scale_f32 v0, null, v14, v14, 1.0
	v_div_scale_f32 v3, vcc_lo, 1.0, v14, 1.0
	s_delay_alu instid0(VALU_DEP_2) | instskip(SKIP_2) | instid1(VALU_DEP_1)
	v_rcp_f32_e32 v1, v0
	s_waitcnt_depctr 0xfff
	v_fma_f32 v2, -v0, v1, 1.0
	v_fmac_f32_e32 v1, v2, v1
	s_delay_alu instid0(VALU_DEP_1) | instskip(NEXT) | instid1(VALU_DEP_1)
	v_mul_f32_e32 v2, v3, v1
	v_fma_f32 v5, -v0, v2, v3
	s_delay_alu instid0(VALU_DEP_1) | instskip(SKIP_1) | instid1(VALU_DEP_2)
	v_fmac_f32_e32 v2, v5, v1
	v_ashrrev_i32_e32 v5, 31, v4
	v_fma_f32 v0, -v0, v2, v3
	s_delay_alu instid0(VALU_DEP_1) | instskip(NEXT) | instid1(VALU_DEP_3)
	v_div_fmas_f32 v2, v0, v1, v2
	v_lshlrev_b64 v[0:1], 2, v[4:5]
	s_delay_alu instid0(VALU_DEP_2) | instskip(NEXT) | instid1(VALU_DEP_2)
	v_div_fixup_f32 v2, v2, v14, 1.0
	v_add_co_u32 v0, vcc_lo, s2, v0
	s_delay_alu instid0(VALU_DEP_3)
	v_add_co_ci_u32_e32 v1, vcc_lo, s3, v1, vcc_lo
.LBB23_11:                              ; =>This Inner Loop Header: Depth=1
	global_load_b32 v3, v[0:1], off
	s_add_i32 s4, s4, -1
	s_delay_alu instid0(SALU_CYCLE_1)
	s_cmp_lg_u32 s4, 0
	s_waitcnt vmcnt(0)
	v_mul_f32_e32 v3, v2, v3
	global_store_b32 v[0:1], v3, off
	v_add_co_u32 v0, vcc_lo, v0, 4
	v_add_co_ci_u32_e32 v1, vcc_lo, 0, v1, vcc_lo
	s_cbranch_scc1 .LBB23_11
.LBB23_12:
	s_nop 0
	s_sendmsg sendmsg(MSG_DEALLOC_VGPRS)
	s_endpgm
	.section	.rodata,"a",@progbits
	.p2align	6, 0x0
	.amdhsa_kernel _ZN4vllm3moe17topkGatingSoftmaxIfLi4ELi4ELi8ELi16ELb1ELi1ELNS0_23SharedExpertScoringFuncE1EEEvPKT_PKbPfiPiS9_iiiiii
		.amdhsa_group_segment_fixed_size 0
		.amdhsa_private_segment_fixed_size 0
		.amdhsa_kernarg_size 72
		.amdhsa_user_sgpr_count 15
		.amdhsa_user_sgpr_dispatch_ptr 0
		.amdhsa_user_sgpr_queue_ptr 0
		.amdhsa_user_sgpr_kernarg_segment_ptr 1
		.amdhsa_user_sgpr_dispatch_id 0
		.amdhsa_user_sgpr_private_segment_size 0
		.amdhsa_wavefront_size32 1
		.amdhsa_uses_dynamic_stack 0
		.amdhsa_enable_private_segment 0
		.amdhsa_system_sgpr_workgroup_id_x 1
		.amdhsa_system_sgpr_workgroup_id_y 0
		.amdhsa_system_sgpr_workgroup_id_z 0
		.amdhsa_system_sgpr_workgroup_info 0
		.amdhsa_system_vgpr_workitem_id 1
		.amdhsa_next_free_vgpr 22
		.amdhsa_next_free_sgpr 16
		.amdhsa_reserve_vcc 1
		.amdhsa_float_round_mode_32 0
		.amdhsa_float_round_mode_16_64 0
		.amdhsa_float_denorm_mode_32 3
		.amdhsa_float_denorm_mode_16_64 3
		.amdhsa_dx10_clamp 1
		.amdhsa_ieee_mode 1
		.amdhsa_fp16_overflow 0
		.amdhsa_workgroup_processor_mode 1
		.amdhsa_memory_ordered 1
		.amdhsa_forward_progress 0
		.amdhsa_shared_vgpr_count 0
		.amdhsa_exception_fp_ieee_invalid_op 0
		.amdhsa_exception_fp_denorm_src 0
		.amdhsa_exception_fp_ieee_div_zero 0
		.amdhsa_exception_fp_ieee_overflow 0
		.amdhsa_exception_fp_ieee_underflow 0
		.amdhsa_exception_fp_ieee_inexact 0
		.amdhsa_exception_int_div_zero 0
	.end_amdhsa_kernel
	.section	.text._ZN4vllm3moe17topkGatingSoftmaxIfLi4ELi4ELi8ELi16ELb1ELi1ELNS0_23SharedExpertScoringFuncE1EEEvPKT_PKbPfiPiS9_iiiiii,"axG",@progbits,_ZN4vllm3moe17topkGatingSoftmaxIfLi4ELi4ELi8ELi16ELb1ELi1ELNS0_23SharedExpertScoringFuncE1EEEvPKT_PKbPfiPiS9_iiiiii,comdat
.Lfunc_end23:
	.size	_ZN4vllm3moe17topkGatingSoftmaxIfLi4ELi4ELi8ELi16ELb1ELi1ELNS0_23SharedExpertScoringFuncE1EEEvPKT_PKbPfiPiS9_iiiiii, .Lfunc_end23-_ZN4vllm3moe17topkGatingSoftmaxIfLi4ELi4ELi8ELi16ELb1ELi1ELNS0_23SharedExpertScoringFuncE1EEEvPKT_PKbPfiPiS9_iiiiii
                                        ; -- End function
	.section	.AMDGPU.csdata,"",@progbits
; Kernel info:
; codeLenInByte = 1564
; NumSgprs: 18
; NumVgprs: 22
; ScratchSize: 0
; MemoryBound: 0
; FloatMode: 240
; IeeeMode: 1
; LDSByteSize: 0 bytes/workgroup (compile time only)
; SGPRBlocks: 2
; VGPRBlocks: 2
; NumSGPRsForWavesPerEU: 18
; NumVGPRsForWavesPerEU: 22
; Occupancy: 16
; WaveLimiterHint : 0
; COMPUTE_PGM_RSRC2:SCRATCH_EN: 0
; COMPUTE_PGM_RSRC2:USER_SGPR: 15
; COMPUTE_PGM_RSRC2:TRAP_HANDLER: 0
; COMPUTE_PGM_RSRC2:TGID_X_EN: 1
; COMPUTE_PGM_RSRC2:TGID_Y_EN: 0
; COMPUTE_PGM_RSRC2:TGID_Z_EN: 0
; COMPUTE_PGM_RSRC2:TIDIG_COMP_CNT: 1
	.section	.text._ZN4vllm3moe17topkGatingSoftmaxIfLi4ELi4ELi8ELi16ELb0ELi1ELNS0_23SharedExpertScoringFuncE1EEEvPKT_PKbPfiPiS9_iiiiii,"axG",@progbits,_ZN4vllm3moe17topkGatingSoftmaxIfLi4ELi4ELi8ELi16ELb0ELi1ELNS0_23SharedExpertScoringFuncE1EEEvPKT_PKbPfiPiS9_iiiiii,comdat
	.protected	_ZN4vllm3moe17topkGatingSoftmaxIfLi4ELi4ELi8ELi16ELb0ELi1ELNS0_23SharedExpertScoringFuncE1EEEvPKT_PKbPfiPiS9_iiiiii ; -- Begin function _ZN4vllm3moe17topkGatingSoftmaxIfLi4ELi4ELi8ELi16ELb0ELi1ELNS0_23SharedExpertScoringFuncE1EEEvPKT_PKbPfiPiS9_iiiiii
	.globl	_ZN4vllm3moe17topkGatingSoftmaxIfLi4ELi4ELi8ELi16ELb0ELi1ELNS0_23SharedExpertScoringFuncE1EEEvPKT_PKbPfiPiS9_iiiiii
	.p2align	8
	.type	_ZN4vllm3moe17topkGatingSoftmaxIfLi4ELi4ELi8ELi16ELb0ELi1ELNS0_23SharedExpertScoringFuncE1EEEvPKT_PKbPfiPiS9_iiiiii,@function
_ZN4vllm3moe17topkGatingSoftmaxIfLi4ELi4ELi8ELi16ELb0ELi1ELNS0_23SharedExpertScoringFuncE1EEEvPKT_PKbPfiPiS9_iiiiii: ; @_ZN4vllm3moe17topkGatingSoftmaxIfLi4ELi4ELi8ELi16ELb0ELi1ELNS0_23SharedExpertScoringFuncE1EEEvPKT_PKbPfiPiS9_iiiiii
; %bb.0:
	s_load_b32 s14, s[0:1], 0x18
	v_bfe_u32 v1, v0, 10, 10
	v_and_b32_e32 v14, 0x3ff, v0
	s_lshl_b32 s16, s15, 8
	s_mov_b32 s2, exec_lo
	s_delay_alu instid0(VALU_DEP_2) | instskip(NEXT) | instid1(VALU_DEP_1)
	v_lshlrev_b32_e32 v13, 5, v1
	v_add3_u32 v15, v13, v14, s16
	s_waitcnt lgkmcnt(0)
	s_delay_alu instid0(VALU_DEP_1)
	v_cmpx_gt_i32_e64 s14, v15
	s_cbranch_execz .LBB24_12
; %bb.1:
	s_clause 0x1
	s_load_b128 s[4:7], s[0:1], 0x0
	s_load_b64 s[12:13], s[0:1], 0x10
	s_waitcnt lgkmcnt(0)
	s_cmp_eq_u64 s[6:7], 0
	s_cbranch_scc1 .LBB24_3
; %bb.2:
	v_ashrrev_i32_e32 v1, 31, v15
	v_add_co_u32 v0, vcc_lo, s6, v15
	s_delay_alu instid0(VALU_DEP_2) | instskip(SKIP_3) | instid1(VALU_DEP_1)
	v_add_co_ci_u32_e32 v1, vcc_lo, s7, v1, vcc_lo
	global_load_u8 v0, v[0:1], off
	s_waitcnt vmcnt(0)
	v_and_b32_e32 v0, 1, v0
	v_cmp_eq_u32_e32 vcc_lo, 1, v0
	s_xor_b32 s2, vcc_lo, -1
	s_delay_alu instid0(SALU_CYCLE_1)
	s_or_not1_b32 s15, s2, exec_lo
	s_branch .LBB24_4
.LBB24_3:
	s_mov_b32 s15, -1
.LBB24_4:
	s_load_b64 s[8:9], s[0:1], 0x40
	s_waitcnt lgkmcnt(0)
	v_mul_lo_u32 v0, v15, s9
	s_delay_alu instid0(VALU_DEP_1) | instskip(NEXT) | instid1(VALU_DEP_1)
	v_ashrrev_i32_e32 v1, 31, v0
	v_lshlrev_b64 v[0:1], 2, v[0:1]
	s_delay_alu instid0(VALU_DEP_1) | instskip(NEXT) | instid1(VALU_DEP_2)
	v_add_co_u32 v0, vcc_lo, s4, v0
	v_add_co_ci_u32_e32 v1, vcc_lo, s5, v1, vcc_lo
	s_load_b128 s[4:7], s[0:1], 0x30
	s_clause 0x1
	global_load_b32 v4, v[0:1], off offset:16
	global_load_b128 v[0:3], v[0:1], off
	s_waitcnt lgkmcnt(0)
	s_cmp_gt_i32 s4, 0
	s_waitcnt vmcnt(1)
	v_mul_f32_e32 v5, 0xbfb8aa3b, v4
	v_cmp_nlt_f32_e32 vcc_lo, 0x42ce8ed0, v4
	s_waitcnt vmcnt(0)
	v_cmp_lt_f32_e64 s3, v0, v1
	s_delay_alu instid0(VALU_DEP_3) | instskip(SKIP_1) | instid1(VALU_DEP_1)
	v_fma_f32 v6, 0xbfb8aa3b, v4, -v5
	v_rndne_f32_e32 v7, v5
	v_dual_fmamk_f32 v6, v4, 0xb2a5705f, v6 :: v_dual_sub_f32 v5, v5, v7
	s_delay_alu instid0(VALU_DEP_1) | instskip(SKIP_1) | instid1(VALU_DEP_2)
	v_add_f32_e32 v5, v5, v6
	v_cvt_i32_f32_e32 v6, v7
	v_exp_f32_e32 v5, v5
	s_waitcnt_depctr 0xfff
	v_ldexp_f32 v5, v5, v6
	s_delay_alu instid0(VALU_DEP_1) | instskip(SKIP_1) | instid1(VALU_DEP_2)
	v_cndmask_b32_e32 v5, 0, v5, vcc_lo
	v_cmp_ngt_f32_e32 vcc_lo, 0xc2b17218, v4
	v_cndmask_b32_e32 v4, 0x7f800000, v5, vcc_lo
	s_delay_alu instid0(VALU_DEP_1) | instskip(NEXT) | instid1(VALU_DEP_1)
	v_add_f32_e32 v7, 1.0, v4
	v_div_scale_f32 v8, null, v7, v7, 1.0
	v_div_scale_f32 v10, vcc_lo, 1.0, v7, 1.0
	s_delay_alu instid0(VALU_DEP_2) | instskip(SKIP_2) | instid1(VALU_DEP_1)
	v_rcp_f32_e32 v9, v8
	s_waitcnt_depctr 0xfff
	v_fma_f32 v4, -v8, v9, 1.0
	v_fmac_f32_e32 v9, v4, v9
	v_mul_lo_u32 v4, v15, s7
	s_cselect_b32 s7, -1, 0
	s_cmp_lt_i32 s4, 1
	s_delay_alu instid0(VALU_DEP_2) | instskip(NEXT) | instid1(VALU_DEP_2)
	v_mul_f32_e32 v11, v10, v9
	v_add_nc_u32_e32 v5, s4, v4
	s_delay_alu instid0(VALU_DEP_2) | instskip(NEXT) | instid1(VALU_DEP_2)
	v_fma_f32 v12, -v8, v11, v10
	v_ashrrev_i32_e32 v6, 31, v5
	s_delay_alu instid0(VALU_DEP_2) | instskip(SKIP_1) | instid1(VALU_DEP_3)
	v_fmac_f32_e32 v11, v12, v9
	v_cndmask_b32_e64 v12, v0, v1, s3
	v_lshlrev_b64 v[5:6], 2, v[5:6]
	s_delay_alu instid0(VALU_DEP_3) | instskip(NEXT) | instid1(VALU_DEP_3)
	v_fma_f32 v8, -v8, v11, v10
	v_cmp_lt_f32_e64 s2, v12, v2
	s_delay_alu instid0(VALU_DEP_2) | instskip(NEXT) | instid1(VALU_DEP_2)
	v_div_fmas_f32 v8, v8, v9, v11
	v_cndmask_b32_e64 v10, v12, v2, s2
	v_add_co_u32 v5, vcc_lo, s12, v5
	v_add_co_ci_u32_e32 v6, vcc_lo, s13, v6, vcc_lo
	s_delay_alu instid0(VALU_DEP_3)
	v_cmp_lt_f32_e32 vcc_lo, v10, v3
	v_div_fixup_f32 v7, v8, v7, 1.0
	v_dual_mov_b32 v12, 0 :: v_dual_cndmask_b32 v11, v10, v3
	global_store_b32 v[5:6], v7, off
	s_cbranch_scc1 .LBB24_8
; %bb.5:
	v_sub_f32_e32 v12, v11, v11
	v_cndmask_b32_e64 v8, 0, 1, s3
	v_mul_lo_u32 v6, v15, s8
	v_ashrrev_i32_e32 v5, 31, v4
	s_load_b128 s[8:11], s[0:1], 0x20
	v_mul_f32_e32 v7, 0x3fb8aa3b, v12
	v_mul_lo_u32 v16, v15, s4
	v_cndmask_b32_e64 v8, v8, 2, s2
	v_lshlrev_b64 v[9:10], 2, v[4:5]
	s_delay_alu instid0(VALU_DEP_4) | instskip(SKIP_1) | instid1(VALU_DEP_4)
	v_rndne_f32_e32 v18, v7
	v_fma_f32 v19, 0x3fb8aa3b, v12, -v7
	v_cndmask_b32_e64 v21, v8, 3, vcc_lo
	v_ashrrev_i32_e32 v17, 31, v16
	s_delay_alu instid0(VALU_DEP_3) | instskip(SKIP_3) | instid1(VALU_DEP_4)
	v_dual_sub_f32 v20, v7, v18 :: v_dual_fmac_f32 v19, 0x32a5705f, v12
	v_ashrrev_i32_e32 v7, 31, v6
	v_add_co_u32 v9, vcc_lo, s12, v9
	v_add_co_ci_u32_e32 v10, vcc_lo, s13, v10, vcc_lo
	v_add_f32_e32 v5, v20, v19
	v_cmp_le_i32_e32 vcc_lo, s5, v21
	v_cmp_gt_i32_e64 s0, s6, v21
	v_subrev_nc_u32_e32 v20, s5, v21
	v_cmp_ne_u32_e64 s1, 3, v21
	v_exp_f32_e32 v19, v5
	v_lshlrev_b64 v[5:6], 2, v[6:7]
	v_lshlrev_b64 v[7:8], 2, v[16:17]
	v_cvt_i32_f32_e32 v16, v18
	s_and_b32 s0, vcc_lo, s0
	v_cndmask_b32_e64 v3, 0xff800000, v3, s1
	s_waitcnt_depctr 0xfff
	v_ldexp_f32 v18, v19, v16
	s_waitcnt lgkmcnt(0)
	v_add_co_u32 v16, vcc_lo, s8, v5
	v_add_co_ci_u32_e32 v17, vcc_lo, s9, v6, vcc_lo
	v_cmp_ngt_f32_e32 vcc_lo, 0xc2ce8ed0, v12
	v_cndmask_b32_e32 v22, 0, v18, vcc_lo
	v_add_co_u32 v18, vcc_lo, s10, v7
	v_add_co_ci_u32_e32 v19, vcc_lo, s11, v8, vcc_lo
	s_and_b32 vcc_lo, s15, s0
	s_cmp_eq_u32 s4, 1
	v_cndmask_b32_e32 v20, 4, v20, vcc_lo
	v_cmp_nlt_f32_e32 vcc_lo, 0x42b17218, v12
	v_cndmask_b32_e32 v12, 0x7f800000, v22, vcc_lo
	v_cmp_ne_u32_e32 vcc_lo, 2, v21
	global_store_b32 v[9:10], v12, off
	v_cndmask_b32_e32 v2, 0xff800000, v2, vcc_lo
	v_cmp_ne_u32_e32 vcc_lo, 1, v21
	global_store_b32 v[16:17], v20, off
	global_store_b32 v[18:19], v15, off
	v_cndmask_b32_e32 v1, 0xff800000, v1, vcc_lo
	v_cmp_ne_u32_e32 vcc_lo, 0, v21
	v_cndmask_b32_e32 v0, 0xff800000, v0, vcc_lo
	s_cbranch_scc1 .LBB24_8
; %bb.6:
	v_add_co_u32 v7, vcc_lo, v7, s10
	v_add_co_ci_u32_e32 v8, vcc_lo, s11, v8, vcc_lo
	v_add_co_u32 v15, vcc_lo, v5, s8
	v_add_co_ci_u32_e32 v16, vcc_lo, s9, v6, vcc_lo
	s_delay_alu instid0(VALU_DEP_4) | instskip(NEXT) | instid1(VALU_DEP_4)
	v_add_co_u32 v5, vcc_lo, v7, 4
	v_add_co_ci_u32_e32 v6, vcc_lo, 0, v8, vcc_lo
	s_delay_alu instid0(VALU_DEP_4) | instskip(NEXT) | instid1(VALU_DEP_4)
	v_add_co_u32 v7, vcc_lo, v15, 4
	v_add_co_ci_u32_e32 v8, vcc_lo, 0, v16, vcc_lo
	s_add_i32 s16, s16, s14
	v_add_co_u32 v9, vcc_lo, v9, 4
	v_add_co_ci_u32_e32 v10, vcc_lo, 0, v10, vcc_lo
	v_add3_u32 v13, s16, v14, v13
	s_add_i32 s2, s4, -1
.LBB24_7:                               ; =>This Inner Loop Header: Depth=1
	v_cmp_gt_f32_e32 vcc_lo, v1, v0
	s_add_i32 s2, s2, -1
	v_cndmask_b32_e32 v14, v0, v1, vcc_lo
	v_cndmask_b32_e64 v15, 0, 1, vcc_lo
	s_delay_alu instid0(VALU_DEP_2) | instskip(SKIP_1) | instid1(VALU_DEP_3)
	v_cmp_gt_f32_e32 vcc_lo, v2, v14
	v_cndmask_b32_e32 v14, v14, v2, vcc_lo
	v_cndmask_b32_e64 v15, v15, 2, vcc_lo
	s_delay_alu instid0(VALU_DEP_2) | instskip(NEXT) | instid1(VALU_DEP_2)
	v_cmp_gt_f32_e32 vcc_lo, v3, v14
	v_cndmask_b32_e64 v15, v15, 3, vcc_lo
	v_cndmask_b32_e32 v14, v14, v3, vcc_lo
	s_delay_alu instid0(VALU_DEP_2) | instskip(SKIP_3) | instid1(VALU_DEP_3)
	v_cmp_le_i32_e32 vcc_lo, s5, v15
	v_cmp_gt_i32_e64 s0, s6, v15
	v_subrev_nc_u32_e32 v17, s5, v15
	v_cmp_ne_u32_e64 s1, 3, v15
	s_and_b32 s0, vcc_lo, s0
	s_delay_alu instid0(SALU_CYCLE_1) | instskip(NEXT) | instid1(VALU_DEP_1)
	s_and_b32 vcc_lo, s15, s0
	v_cndmask_b32_e64 v3, 0xff800000, v3, s1
	v_cndmask_b32_e32 v17, 4, v17, vcc_lo
	v_cmp_ne_u32_e64 s1, 2, v15
	s_cmp_eq_u32 s2, 0
	global_store_b32 v[7:8], v17, off
	global_store_b32 v[5:6], v13, off
	v_dual_sub_f32 v14, v14, v11 :: v_dual_add_nc_u32 v13, s14, v13
	v_cndmask_b32_e64 v2, 0xff800000, v2, s1
	v_cmp_ne_u32_e64 s1, 1, v15
	v_add_co_u32 v5, vcc_lo, v5, 4
	s_delay_alu instid0(VALU_DEP_4) | instskip(SKIP_1) | instid1(VALU_DEP_4)
	v_mul_f32_e32 v16, 0x3fb8aa3b, v14
	v_add_co_ci_u32_e32 v6, vcc_lo, 0, v6, vcc_lo
	v_cndmask_b32_e64 v1, 0xff800000, v1, s1
	v_cmp_ne_u32_e64 s1, 0, v15
	s_delay_alu instid0(VALU_DEP_4) | instskip(SKIP_3) | instid1(VALU_DEP_4)
	v_fma_f32 v15, 0x3fb8aa3b, v14, -v16
	v_rndne_f32_e32 v18, v16
	v_add_co_u32 v7, vcc_lo, v7, 4
	v_add_co_ci_u32_e32 v8, vcc_lo, 0, v8, vcc_lo
	v_fmac_f32_e32 v15, 0x32a5705f, v14
	s_delay_alu instid0(VALU_DEP_4) | instskip(SKIP_3) | instid1(VALU_DEP_4)
	v_sub_f32_e32 v16, v16, v18
	v_cvt_i32_f32_e32 v18, v18
	v_cmp_ngt_f32_e32 vcc_lo, 0xc2ce8ed0, v14
	v_cndmask_b32_e64 v0, 0xff800000, v0, s1
	v_add_f32_e32 v15, v16, v15
	s_delay_alu instid0(VALU_DEP_1) | instskip(SKIP_2) | instid1(VALU_DEP_1)
	v_exp_f32_e32 v15, v15
	s_waitcnt_depctr 0xfff
	v_ldexp_f32 v15, v15, v18
	v_cndmask_b32_e32 v15, 0, v15, vcc_lo
	v_cmp_nlt_f32_e32 vcc_lo, 0x42b17218, v14
	s_delay_alu instid0(VALU_DEP_2)
	v_cndmask_b32_e32 v14, 0x7f800000, v15, vcc_lo
	global_store_b32 v[9:10], v14, off
	v_add_co_u32 v9, vcc_lo, v9, 4
	v_add_f32_e32 v12, v12, v14
	v_add_co_ci_u32_e32 v10, vcc_lo, 0, v10, vcc_lo
	s_cbranch_scc0 .LBB24_7
.LBB24_8:
	v_sub_f32_e32 v2, v2, v11
	s_delay_alu instid0(VALU_DEP_2) | instskip(SKIP_2) | instid1(VALU_DEP_4)
	v_sub_f32_e32 v0, v0, v11
	v_sub_f32_e32 v1, v1, v11
	;; [unrolled: 1-line block ×3, first 2 shown]
	v_mul_f32_e32 v7, 0x3fb8aa3b, v2
	s_delay_alu instid0(VALU_DEP_3) | instskip(SKIP_1) | instid1(VALU_DEP_3)
	v_dual_mul_f32 v5, 0x3fb8aa3b, v0 :: v_dual_mul_f32 v6, 0x3fb8aa3b, v1
	v_cmp_ngt_f32_e32 vcc_lo, 0xc2ce8ed0, v0
	v_fma_f32 v14, 0x3fb8aa3b, v2, -v7
	s_delay_alu instid0(VALU_DEP_3)
	v_fma_f32 v9, 0x3fb8aa3b, v0, -v5
	v_rndne_f32_e32 v10, v5
	v_mul_f32_e32 v8, 0x3fb8aa3b, v3
	v_fma_f32 v11, 0x3fb8aa3b, v1, -v6
	v_rndne_f32_e32 v13, v6
	v_dual_fmac_f32 v9, 0x32a5705f, v0 :: v_dual_fmac_f32 v14, 0x32a5705f, v2
	v_sub_f32_e32 v5, v5, v10
	v_fma_f32 v16, 0x3fb8aa3b, v3, -v8
	s_delay_alu instid0(VALU_DEP_4) | instskip(SKIP_4) | instid1(VALU_DEP_4)
	v_sub_f32_e32 v6, v6, v13
	v_fmac_f32_e32 v11, 0x32a5705f, v1
	v_rndne_f32_e32 v15, v7
	v_rndne_f32_e32 v17, v8
	v_dual_fmac_f32 v16, 0x32a5705f, v3 :: v_dual_add_f32 v5, v5, v9
	v_add_f32_e32 v6, v6, v11
	v_cvt_i32_f32_e32 v9, v10
	s_delay_alu instid0(VALU_DEP_4) | instskip(NEXT) | instid1(VALU_DEP_4)
	v_dual_sub_f32 v7, v7, v15 :: v_dual_sub_f32 v8, v8, v17
	v_exp_f32_e32 v5, v5
	s_delay_alu instid0(VALU_DEP_3) | instskip(SKIP_1) | instid1(VALU_DEP_2)
	v_exp_f32_e32 v6, v6
	v_cvt_i32_f32_e32 v10, v13
	v_dual_add_f32 v7, v7, v14 :: v_dual_add_f32 v8, v8, v16
	v_cvt_i32_f32_e32 v11, v15
	s_delay_alu instid0(VALU_DEP_2) | instskip(NEXT) | instid1(VALU_DEP_2)
	v_exp_f32_e32 v7, v7
	v_exp_f32_e32 v8, v8
	v_ldexp_f32 v5, v5, v9
	s_delay_alu instid0(TRANS32_DEP_3) | instskip(SKIP_1) | instid1(VALU_DEP_3)
	v_ldexp_f32 v6, v6, v10
	v_cvt_i32_f32_e32 v9, v17
	v_cndmask_b32_e32 v5, 0, v5, vcc_lo
	v_cmp_ngt_f32_e32 vcc_lo, 0xc2ce8ed0, v1
	s_delay_alu instid0(TRANS32_DEP_2) | instskip(SKIP_4) | instid1(VALU_DEP_4)
	v_ldexp_f32 v7, v7, v11
	v_cndmask_b32_e32 v6, 0, v6, vcc_lo
	v_cmp_nlt_f32_e32 vcc_lo, 0x42b17218, v0
	v_cndmask_b32_e32 v0, 0x7f800000, v5, vcc_lo
	v_cmp_nlt_f32_e32 vcc_lo, 0x42b17218, v1
	v_cndmask_b32_e32 v1, 0x7f800000, v6, vcc_lo
	v_cmp_ngt_f32_e32 vcc_lo, 0xc2ce8ed0, v2
	v_ldexp_f32 v6, v8, v9
	s_delay_alu instid0(VALU_DEP_3) | instskip(SKIP_1) | instid1(VALU_DEP_2)
	v_dual_add_f32 v0, v0, v1 :: v_dual_cndmask_b32 v5, 0, v7
	v_cmp_nlt_f32_e32 vcc_lo, 0x42b17218, v2
	v_cndmask_b32_e32 v1, 0x7f800000, v5, vcc_lo
	v_cmp_ngt_f32_e32 vcc_lo, 0xc2ce8ed0, v3
	v_cndmask_b32_e32 v2, 0, v6, vcc_lo
	v_cmp_nlt_f32_e32 vcc_lo, 0x42b17218, v3
	s_delay_alu instid0(VALU_DEP_2) | instskip(NEXT) | instid1(VALU_DEP_1)
	v_dual_add_f32 v0, v0, v1 :: v_dual_cndmask_b32 v1, 0x7f800000, v2
	v_add_f32_e32 v0, v0, v1
	s_delay_alu instid0(VALU_DEP_1) | instskip(NEXT) | instid1(VALU_DEP_1)
	v_add_f32_e32 v0, v12, v0
	v_cmp_neq_f32_e32 vcc_lo, 0, v0
	s_and_b32 exec_lo, exec_lo, vcc_lo
	s_cbranch_execz .LBB24_12
; %bb.9:
	s_and_not1_b32 vcc_lo, exec_lo, s7
	s_cbranch_vccnz .LBB24_12
; %bb.10:
	v_div_scale_f32 v1, null, v0, v0, 1.0
	v_div_scale_f32 v5, vcc_lo, 1.0, v0, 1.0
	s_delay_alu instid0(VALU_DEP_2) | instskip(SKIP_2) | instid1(VALU_DEP_1)
	v_rcp_f32_e32 v2, v1
	s_waitcnt_depctr 0xfff
	v_fma_f32 v3, -v1, v2, 1.0
	v_fmac_f32_e32 v2, v3, v2
	s_delay_alu instid0(VALU_DEP_1) | instskip(NEXT) | instid1(VALU_DEP_1)
	v_mul_f32_e32 v3, v5, v2
	v_fma_f32 v6, -v1, v3, v5
	s_delay_alu instid0(VALU_DEP_1) | instskip(NEXT) | instid1(VALU_DEP_1)
	v_fmac_f32_e32 v3, v6, v2
	v_fma_f32 v1, -v1, v3, v5
	v_ashrrev_i32_e32 v5, 31, v4
	s_delay_alu instid0(VALU_DEP_2) | instskip(NEXT) | instid1(VALU_DEP_2)
	v_div_fmas_f32 v1, v1, v2, v3
	v_lshlrev_b64 v[3:4], 2, v[4:5]
	s_delay_alu instid0(VALU_DEP_2) | instskip(NEXT) | instid1(VALU_DEP_2)
	v_div_fixup_f32 v2, v1, v0, 1.0
	v_add_co_u32 v0, vcc_lo, s12, v3
	s_delay_alu instid0(VALU_DEP_3)
	v_add_co_ci_u32_e32 v1, vcc_lo, s13, v4, vcc_lo
.LBB24_11:                              ; =>This Inner Loop Header: Depth=1
	global_load_b32 v3, v[0:1], off
	s_add_i32 s4, s4, -1
	s_delay_alu instid0(SALU_CYCLE_1)
	s_cmp_lg_u32 s4, 0
	s_waitcnt vmcnt(0)
	v_mul_f32_e32 v3, v2, v3
	global_store_b32 v[0:1], v3, off
	v_add_co_u32 v0, vcc_lo, v0, 4
	v_add_co_ci_u32_e32 v1, vcc_lo, 0, v1, vcc_lo
	s_cbranch_scc1 .LBB24_11
.LBB24_12:
	s_nop 0
	s_sendmsg sendmsg(MSG_DEALLOC_VGPRS)
	s_endpgm
	.section	.rodata,"a",@progbits
	.p2align	6, 0x0
	.amdhsa_kernel _ZN4vllm3moe17topkGatingSoftmaxIfLi4ELi4ELi8ELi16ELb0ELi1ELNS0_23SharedExpertScoringFuncE1EEEvPKT_PKbPfiPiS9_iiiiii
		.amdhsa_group_segment_fixed_size 0
		.amdhsa_private_segment_fixed_size 0
		.amdhsa_kernarg_size 72
		.amdhsa_user_sgpr_count 15
		.amdhsa_user_sgpr_dispatch_ptr 0
		.amdhsa_user_sgpr_queue_ptr 0
		.amdhsa_user_sgpr_kernarg_segment_ptr 1
		.amdhsa_user_sgpr_dispatch_id 0
		.amdhsa_user_sgpr_private_segment_size 0
		.amdhsa_wavefront_size32 1
		.amdhsa_uses_dynamic_stack 0
		.amdhsa_enable_private_segment 0
		.amdhsa_system_sgpr_workgroup_id_x 1
		.amdhsa_system_sgpr_workgroup_id_y 0
		.amdhsa_system_sgpr_workgroup_id_z 0
		.amdhsa_system_sgpr_workgroup_info 0
		.amdhsa_system_vgpr_workitem_id 1
		.amdhsa_next_free_vgpr 23
		.amdhsa_next_free_sgpr 17
		.amdhsa_reserve_vcc 1
		.amdhsa_float_round_mode_32 0
		.amdhsa_float_round_mode_16_64 0
		.amdhsa_float_denorm_mode_32 3
		.amdhsa_float_denorm_mode_16_64 3
		.amdhsa_dx10_clamp 1
		.amdhsa_ieee_mode 1
		.amdhsa_fp16_overflow 0
		.amdhsa_workgroup_processor_mode 1
		.amdhsa_memory_ordered 1
		.amdhsa_forward_progress 0
		.amdhsa_shared_vgpr_count 0
		.amdhsa_exception_fp_ieee_invalid_op 0
		.amdhsa_exception_fp_denorm_src 0
		.amdhsa_exception_fp_ieee_div_zero 0
		.amdhsa_exception_fp_ieee_overflow 0
		.amdhsa_exception_fp_ieee_underflow 0
		.amdhsa_exception_fp_ieee_inexact 0
		.amdhsa_exception_int_div_zero 0
	.end_amdhsa_kernel
	.section	.text._ZN4vllm3moe17topkGatingSoftmaxIfLi4ELi4ELi8ELi16ELb0ELi1ELNS0_23SharedExpertScoringFuncE1EEEvPKT_PKbPfiPiS9_iiiiii,"axG",@progbits,_ZN4vllm3moe17topkGatingSoftmaxIfLi4ELi4ELi8ELi16ELb0ELi1ELNS0_23SharedExpertScoringFuncE1EEEvPKT_PKbPfiPiS9_iiiiii,comdat
.Lfunc_end24:
	.size	_ZN4vllm3moe17topkGatingSoftmaxIfLi4ELi4ELi8ELi16ELb0ELi1ELNS0_23SharedExpertScoringFuncE1EEEvPKT_PKbPfiPiS9_iiiiii, .Lfunc_end24-_ZN4vllm3moe17topkGatingSoftmaxIfLi4ELi4ELi8ELi16ELb0ELi1ELNS0_23SharedExpertScoringFuncE1EEEvPKT_PKbPfiPiS9_iiiiii
                                        ; -- End function
	.section	.AMDGPU.csdata,"",@progbits
; Kernel info:
; codeLenInByte = 1972
; NumSgprs: 19
; NumVgprs: 23
; ScratchSize: 0
; MemoryBound: 0
; FloatMode: 240
; IeeeMode: 1
; LDSByteSize: 0 bytes/workgroup (compile time only)
; SGPRBlocks: 2
; VGPRBlocks: 2
; NumSGPRsForWavesPerEU: 19
; NumVGPRsForWavesPerEU: 23
; Occupancy: 16
; WaveLimiterHint : 0
; COMPUTE_PGM_RSRC2:SCRATCH_EN: 0
; COMPUTE_PGM_RSRC2:USER_SGPR: 15
; COMPUTE_PGM_RSRC2:TRAP_HANDLER: 0
; COMPUTE_PGM_RSRC2:TGID_X_EN: 1
; COMPUTE_PGM_RSRC2:TGID_Y_EN: 0
; COMPUTE_PGM_RSRC2:TGID_Z_EN: 0
; COMPUTE_PGM_RSRC2:TIDIG_COMP_CNT: 1
	.section	.text._ZN4vllm3moe17topkGatingSoftmaxIfLi4ELi4ELi8ELi16ELb1ELi2ELNS0_23SharedExpertScoringFuncE1EEEvPKT_PKbPfiPiS9_iiiiii,"axG",@progbits,_ZN4vllm3moe17topkGatingSoftmaxIfLi4ELi4ELi8ELi16ELb1ELi2ELNS0_23SharedExpertScoringFuncE1EEEvPKT_PKbPfiPiS9_iiiiii,comdat
	.protected	_ZN4vllm3moe17topkGatingSoftmaxIfLi4ELi4ELi8ELi16ELb1ELi2ELNS0_23SharedExpertScoringFuncE1EEEvPKT_PKbPfiPiS9_iiiiii ; -- Begin function _ZN4vllm3moe17topkGatingSoftmaxIfLi4ELi4ELi8ELi16ELb1ELi2ELNS0_23SharedExpertScoringFuncE1EEEvPKT_PKbPfiPiS9_iiiiii
	.globl	_ZN4vllm3moe17topkGatingSoftmaxIfLi4ELi4ELi8ELi16ELb1ELi2ELNS0_23SharedExpertScoringFuncE1EEEvPKT_PKbPfiPiS9_iiiiii
	.p2align	8
	.type	_ZN4vllm3moe17topkGatingSoftmaxIfLi4ELi4ELi8ELi16ELb1ELi2ELNS0_23SharedExpertScoringFuncE1EEEvPKT_PKbPfiPiS9_iiiiii,@function
_ZN4vllm3moe17topkGatingSoftmaxIfLi4ELi4ELi8ELi16ELb1ELi2ELNS0_23SharedExpertScoringFuncE1EEEvPKT_PKbPfiPiS9_iiiiii: ; @_ZN4vllm3moe17topkGatingSoftmaxIfLi4ELi4ELi8ELi16ELb1ELi2ELNS0_23SharedExpertScoringFuncE1EEEvPKT_PKbPfiPiS9_iiiiii
; %bb.0:
	s_load_b32 s12, s[0:1], 0x18
	v_bfe_u32 v1, v0, 10, 10
	v_and_b32_e32 v12, 0x3ff, v0
	s_lshl_b32 s14, s15, 8
	s_mov_b32 s2, exec_lo
	s_delay_alu instid0(VALU_DEP_2) | instskip(NEXT) | instid1(VALU_DEP_1)
	v_lshlrev_b32_e32 v11, 5, v1
	v_add3_u32 v14, v11, v12, s14
	s_waitcnt lgkmcnt(0)
	s_delay_alu instid0(VALU_DEP_1)
	v_cmpx_gt_i32_e64 s12, v14
	s_cbranch_execz .LBB25_12
; %bb.1:
	s_clause 0x1
	s_load_b128 s[4:7], s[0:1], 0x0
	s_load_b64 s[2:3], s[0:1], 0x10
	s_waitcnt lgkmcnt(0)
	s_cmp_eq_u64 s[6:7], 0
	s_cbranch_scc1 .LBB25_3
; %bb.2:
	v_ashrrev_i32_e32 v1, 31, v14
	v_add_co_u32 v0, vcc_lo, s6, v14
	s_delay_alu instid0(VALU_DEP_2) | instskip(SKIP_3) | instid1(VALU_DEP_1)
	v_add_co_ci_u32_e32 v1, vcc_lo, s7, v1, vcc_lo
	global_load_u8 v0, v[0:1], off
	s_waitcnt vmcnt(0)
	v_and_b32_e32 v0, 1, v0
	v_cmp_eq_u32_e32 vcc_lo, 1, v0
	s_xor_b32 s6, vcc_lo, -1
	s_delay_alu instid0(SALU_CYCLE_1)
	s_or_not1_b32 s13, s6, exec_lo
	s_branch .LBB25_4
.LBB25_3:
	s_mov_b32 s13, -1
.LBB25_4:
	s_load_b64 s[8:9], s[0:1], 0x40
	s_waitcnt lgkmcnt(0)
	v_mul_lo_u32 v0, v14, s9
	s_delay_alu instid0(VALU_DEP_1) | instskip(NEXT) | instid1(VALU_DEP_1)
	v_ashrrev_i32_e32 v1, 31, v0
	v_lshlrev_b64 v[0:1], 2, v[0:1]
	s_delay_alu instid0(VALU_DEP_1) | instskip(NEXT) | instid1(VALU_DEP_2)
	v_add_co_u32 v5, vcc_lo, s4, v0
	v_add_co_ci_u32_e32 v6, vcc_lo, s5, v1, vcc_lo
	s_load_b128 s[4:7], s[0:1], 0x30
	s_clause 0x1
	global_load_b32 v4, v[5:6], off offset:16
	global_load_b128 v[0:3], v[5:6], off
	s_waitcnt lgkmcnt(0)
	s_cmp_gt_i32 s4, 0
	s_waitcnt vmcnt(1)
	v_mul_f32_e32 v7, 0xbfb8aa3b, v4
	v_cmp_nlt_f32_e32 vcc_lo, 0x42ce8ed0, v4
	s_delay_alu instid0(VALU_DEP_2) | instskip(SKIP_1) | instid1(VALU_DEP_1)
	v_fma_f32 v8, 0xbfb8aa3b, v4, -v7
	v_rndne_f32_e32 v9, v7
	v_dual_fmac_f32 v8, 0xb2a5705f, v4 :: v_dual_sub_f32 v7, v7, v9
	s_delay_alu instid0(VALU_DEP_1) | instskip(SKIP_1) | instid1(VALU_DEP_2)
	v_add_f32_e32 v7, v7, v8
	v_cvt_i32_f32_e32 v8, v9
	v_exp_f32_e32 v7, v7
	s_waitcnt_depctr 0xfff
	v_ldexp_f32 v7, v7, v8
	s_delay_alu instid0(VALU_DEP_1) | instskip(SKIP_1) | instid1(VALU_DEP_2)
	v_cndmask_b32_e32 v7, 0, v7, vcc_lo
	v_cmp_ngt_f32_e32 vcc_lo, 0xc2b17218, v4
	v_cndmask_b32_e32 v4, 0x7f800000, v7, vcc_lo
	s_delay_alu instid0(VALU_DEP_1) | instskip(NEXT) | instid1(VALU_DEP_1)
	v_add_f32_e32 v9, 1.0, v4
	v_div_scale_f32 v10, null, v9, v9, 1.0
	v_div_scale_f32 v15, vcc_lo, 1.0, v9, 1.0
	s_delay_alu instid0(VALU_DEP_2) | instskip(SKIP_2) | instid1(VALU_DEP_1)
	v_rcp_f32_e32 v13, v10
	s_waitcnt_depctr 0xfff
	v_fma_f32 v4, -v10, v13, 1.0
	v_fmac_f32_e32 v13, v4, v13
	v_mul_lo_u32 v4, v14, s7
	s_cselect_b32 s7, -1, 0
	s_cmp_lt_i32 s4, 1
	s_delay_alu instid0(VALU_DEP_1) | instskip(NEXT) | instid1(VALU_DEP_1)
	v_dual_mul_f32 v16, v15, v13 :: v_dual_add_nc_u32 v7, s4, v4
	v_fma_f32 v8, -v10, v16, v15
	s_delay_alu instid0(VALU_DEP_1) | instskip(NEXT) | instid1(VALU_DEP_3)
	v_fmac_f32_e32 v16, v8, v13
	v_ashrrev_i32_e32 v8, 31, v7
	s_delay_alu instid0(VALU_DEP_2) | instskip(NEXT) | instid1(VALU_DEP_2)
	v_fma_f32 v10, -v10, v16, v15
	v_lshlrev_b64 v[7:8], 2, v[7:8]
	s_delay_alu instid0(VALU_DEP_2) | instskip(NEXT) | instid1(VALU_DEP_2)
	v_div_fmas_f32 v10, v10, v13, v16
	v_add_co_u32 v7, vcc_lo, s2, v7
	s_delay_alu instid0(VALU_DEP_3) | instskip(NEXT) | instid1(VALU_DEP_3)
	v_add_co_ci_u32_e32 v8, vcc_lo, s3, v8, vcc_lo
	v_div_fixup_f32 v9, v10, v9, 1.0
	global_store_b32 v[7:8], v9, off
	global_load_b32 v5, v[5:6], off offset:20
	s_waitcnt vmcnt(0)
	v_mul_f32_e32 v6, 0xbfb8aa3b, v5
	v_cmp_nlt_f32_e32 vcc_lo, 0x42ce8ed0, v5
	s_delay_alu instid0(VALU_DEP_2) | instskip(SKIP_1) | instid1(VALU_DEP_1)
	v_fma_f32 v9, 0xbfb8aa3b, v5, -v6
	v_rndne_f32_e32 v10, v6
	v_dual_fmac_f32 v9, 0xb2a5705f, v5 :: v_dual_sub_f32 v6, v6, v10
	s_delay_alu instid0(VALU_DEP_1) | instskip(SKIP_1) | instid1(VALU_DEP_2)
	v_add_f32_e32 v6, v6, v9
	v_cvt_i32_f32_e32 v9, v10
	v_exp_f32_e32 v6, v6
	s_waitcnt_depctr 0xfff
	v_ldexp_f32 v6, v6, v9
	s_delay_alu instid0(VALU_DEP_1) | instskip(SKIP_1) | instid1(VALU_DEP_2)
	v_cndmask_b32_e32 v6, 0, v6, vcc_lo
	v_cmp_ngt_f32_e32 vcc_lo, 0xc2b17218, v5
	v_cndmask_b32_e32 v5, 0x7f800000, v6, vcc_lo
	s_delay_alu instid0(VALU_DEP_1) | instskip(NEXT) | instid1(VALU_DEP_1)
	v_add_f32_e32 v5, 1.0, v5
	v_div_scale_f32 v6, null, v5, v5, 1.0
	v_div_scale_f32 v13, vcc_lo, 1.0, v5, 1.0
	s_delay_alu instid0(VALU_DEP_2) | instskip(SKIP_2) | instid1(VALU_DEP_1)
	v_rcp_f32_e32 v9, v6
	s_waitcnt_depctr 0xfff
	v_fma_f32 v10, -v6, v9, 1.0
	v_fmac_f32_e32 v9, v10, v9
	s_delay_alu instid0(VALU_DEP_1) | instskip(NEXT) | instid1(VALU_DEP_1)
	v_mul_f32_e32 v10, v13, v9
	v_fma_f32 v15, -v6, v10, v13
	s_delay_alu instid0(VALU_DEP_1) | instskip(NEXT) | instid1(VALU_DEP_1)
	v_dual_fmac_f32 v10, v15, v9 :: v_dual_mov_b32 v15, 0
	v_fma_f32 v6, -v6, v10, v13
	s_delay_alu instid0(VALU_DEP_1) | instskip(NEXT) | instid1(VALU_DEP_1)
	v_div_fmas_f32 v6, v6, v9, v10
	v_div_fixup_f32 v5, v6, v5, 1.0
	global_store_b32 v[7:8], v5, off offset:4
	s_cbranch_scc1 .LBB25_8
; %bb.5:
	v_cmp_lt_f32_e32 vcc_lo, v0, v1
	v_mul_lo_u32 v7, v14, s8
	s_load_b128 s[8:11], s[0:1], 0x20
	v_mul_lo_u32 v9, v14, s4
	v_cndmask_b32_e32 v6, v0, v1, vcc_lo
	v_cndmask_b32_e64 v5, 0, 1, vcc_lo
	s_delay_alu instid0(VALU_DEP_2) | instskip(SKIP_1) | instid1(VALU_DEP_3)
	v_cmp_lt_f32_e32 vcc_lo, v6, v2
	v_cndmask_b32_e32 v6, v6, v2, vcc_lo
	v_cndmask_b32_e64 v5, v5, 2, vcc_lo
	s_delay_alu instid0(VALU_DEP_2) | instskip(SKIP_1) | instid1(VALU_DEP_3)
	v_cmp_lt_f32_e32 vcc_lo, v6, v3
	v_cndmask_b32_e32 v13, v6, v3, vcc_lo
	v_cndmask_b32_e64 v18, v5, 3, vcc_lo
	s_delay_alu instid0(VALU_DEP_2) | instskip(NEXT) | instid1(VALU_DEP_2)
	v_sub_f32_e32 v15, v13, v13
	v_subrev_nc_u32_e32 v19, s5, v18
	v_cmp_gt_i32_e64 s0, s6, v18
	s_delay_alu instid0(VALU_DEP_3) | instskip(NEXT) | instid1(VALU_DEP_1)
	v_mul_f32_e32 v5, 0x3fb8aa3b, v15
	v_fma_f32 v6, 0x3fb8aa3b, v15, -v5
	v_rndne_f32_e32 v16, v5
	s_delay_alu instid0(VALU_DEP_2) | instskip(NEXT) | instid1(VALU_DEP_2)
	v_fmac_f32_e32 v6, 0x32a5705f, v15
	v_sub_f32_e32 v8, v5, v16
	v_ashrrev_i32_e32 v5, 31, v4
	v_cvt_i32_f32_e32 v16, v16
	s_delay_alu instid0(VALU_DEP_3) | instskip(NEXT) | instid1(VALU_DEP_3)
	v_add_f32_e32 v10, v8, v6
	v_lshlrev_b64 v[5:6], 2, v[4:5]
	v_ashrrev_i32_e32 v8, 31, v7
	s_delay_alu instid0(VALU_DEP_3) | instskip(SKIP_1) | instid1(VALU_DEP_3)
	v_exp_f32_e32 v17, v10
	v_ashrrev_i32_e32 v10, 31, v9
	v_add_co_u32 v5, vcc_lo, s2, v5
	s_delay_alu instid0(VALU_DEP_4) | instskip(SKIP_3) | instid1(TRANS32_DEP_1)
	v_add_co_ci_u32_e32 v6, vcc_lo, s3, v6, vcc_lo
	v_cmp_le_i32_e32 vcc_lo, s5, v18
	v_lshlrev_b64 v[7:8], 2, v[7:8]
	v_lshlrev_b64 v[9:10], 2, v[9:10]
	v_ldexp_f32 v16, v17, v16
	s_and_b32 s0, vcc_lo, s0
	v_cmp_ngt_f32_e32 vcc_lo, 0xc2ce8ed0, v15
	s_delay_alu instid0(VALU_DEP_2)
	v_cndmask_b32_e32 v20, 0, v16, vcc_lo
	s_waitcnt lgkmcnt(0)
	v_add_co_u32 v16, vcc_lo, s8, v7
	v_add_co_ci_u32_e32 v17, vcc_lo, s9, v8, vcc_lo
	s_and_b32 vcc_lo, s13, s0
	s_cmp_eq_u32 s4, 1
	v_cndmask_b32_e32 v21, 4, v19, vcc_lo
	v_cmp_nlt_f32_e32 vcc_lo, 0x42b17218, v15
	v_cndmask_b32_e32 v15, 0x7f800000, v20, vcc_lo
	v_add_co_u32 v19, vcc_lo, s10, v9
	v_add_co_ci_u32_e32 v20, vcc_lo, s11, v10, vcc_lo
	global_store_b32 v[16:17], v21, off
	global_store_b32 v[5:6], v15, off
	global_store_b32 v[19:20], v14, off
	s_cbranch_scc1 .LBB25_8
; %bb.6:
	v_cmp_ne_u32_e32 vcc_lo, 3, v18
	s_add_i32 s14, s14, s12
	v_cndmask_b32_e32 v14, 0xff800000, v3, vcc_lo
	v_cmp_ne_u32_e32 vcc_lo, 2, v18
	v_cndmask_b32_e32 v16, 0xff800000, v2, vcc_lo
	v_cmp_ne_u32_e32 vcc_lo, 1, v18
	;; [unrolled: 2-line block ×3, first 2 shown]
	v_cndmask_b32_e32 v18, 0xff800000, v0, vcc_lo
	v_add_co_u32 v0, vcc_lo, v9, s10
	v_add_co_ci_u32_e32 v1, vcc_lo, s11, v10, vcc_lo
	v_add_co_u32 v2, vcc_lo, v7, s8
	v_add_co_ci_u32_e32 v3, vcc_lo, s9, v8, vcc_lo
	s_delay_alu instid0(VALU_DEP_4) | instskip(NEXT) | instid1(VALU_DEP_4)
	v_add_co_u32 v0, vcc_lo, v0, 4
	v_add_co_ci_u32_e32 v1, vcc_lo, 0, v1, vcc_lo
	s_delay_alu instid0(VALU_DEP_4) | instskip(NEXT) | instid1(VALU_DEP_4)
	v_add_co_u32 v2, vcc_lo, v2, 4
	v_add_co_ci_u32_e32 v3, vcc_lo, 0, v3, vcc_lo
	v_add_co_u32 v5, vcc_lo, v5, 4
	v_add_co_ci_u32_e32 v6, vcc_lo, 0, v6, vcc_lo
	v_add3_u32 v7, s14, v12, v11
	s_add_i32 s8, s4, -1
.LBB25_7:                               ; =>This Inner Loop Header: Depth=1
	v_cmp_gt_f32_e32 vcc_lo, v17, v18
	s_add_i32 s8, s8, -1
	v_cndmask_b32_e32 v8, v18, v17, vcc_lo
	v_cndmask_b32_e64 v9, 0, 1, vcc_lo
	s_delay_alu instid0(VALU_DEP_2) | instskip(SKIP_1) | instid1(VALU_DEP_3)
	v_cmp_gt_f32_e32 vcc_lo, v16, v8
	v_cndmask_b32_e32 v8, v8, v16, vcc_lo
	v_cndmask_b32_e64 v9, v9, 2, vcc_lo
	s_delay_alu instid0(VALU_DEP_2) | instskip(NEXT) | instid1(VALU_DEP_2)
	v_cmp_gt_f32_e32 vcc_lo, v14, v8
	v_cndmask_b32_e64 v9, v9, 3, vcc_lo
	v_cndmask_b32_e32 v8, v8, v14, vcc_lo
	s_delay_alu instid0(VALU_DEP_2) | instskip(SKIP_3) | instid1(VALU_DEP_3)
	v_cmp_le_i32_e32 vcc_lo, s5, v9
	v_cmp_gt_i32_e64 s0, s6, v9
	v_subrev_nc_u32_e32 v11, s5, v9
	v_cmp_ne_u32_e64 s1, 3, v9
	s_and_b32 s0, vcc_lo, s0
	s_delay_alu instid0(SALU_CYCLE_1) | instskip(NEXT) | instid1(VALU_DEP_1)
	s_and_b32 vcc_lo, s13, s0
	v_cndmask_b32_e64 v14, 0xff800000, v14, s1
	v_cndmask_b32_e32 v11, 4, v11, vcc_lo
	v_cmp_ne_u32_e64 s1, 2, v9
	s_cmp_eq_u32 s8, 0
	global_store_b32 v[2:3], v11, off
	global_store_b32 v[0:1], v7, off
	v_add_nc_u32_e32 v7, s12, v7
	v_add_co_u32 v0, vcc_lo, v0, 4
	v_sub_f32_e32 v8, v8, v13
	v_add_co_ci_u32_e32 v1, vcc_lo, 0, v1, vcc_lo
	v_add_co_u32 v2, vcc_lo, v2, 4
	v_add_co_ci_u32_e32 v3, vcc_lo, 0, v3, vcc_lo
	v_cndmask_b32_e64 v16, 0xff800000, v16, s1
	v_cmp_ne_u32_e64 s1, 1, v9
	v_cmp_ngt_f32_e32 vcc_lo, 0xc2ce8ed0, v8
	v_mul_f32_e32 v10, 0x3fb8aa3b, v8
	s_delay_alu instid0(VALU_DEP_3) | instskip(SKIP_1) | instid1(VALU_DEP_3)
	v_cndmask_b32_e64 v17, 0xff800000, v17, s1
	v_cmp_ne_u32_e64 s1, 0, v9
	v_fma_f32 v9, 0x3fb8aa3b, v8, -v10
	v_rndne_f32_e32 v12, v10
	s_delay_alu instid0(VALU_DEP_3) | instskip(NEXT) | instid1(VALU_DEP_3)
	v_cndmask_b32_e64 v18, 0xff800000, v18, s1
	v_fmac_f32_e32 v9, 0x32a5705f, v8
	s_delay_alu instid0(VALU_DEP_3) | instskip(SKIP_1) | instid1(VALU_DEP_2)
	v_sub_f32_e32 v10, v10, v12
	v_cvt_i32_f32_e32 v12, v12
	v_add_f32_e32 v9, v10, v9
	s_delay_alu instid0(VALU_DEP_1) | instskip(SKIP_2) | instid1(VALU_DEP_1)
	v_exp_f32_e32 v9, v9
	s_waitcnt_depctr 0xfff
	v_ldexp_f32 v9, v9, v12
	v_cndmask_b32_e32 v9, 0, v9, vcc_lo
	v_cmp_nlt_f32_e32 vcc_lo, 0x42b17218, v8
	s_delay_alu instid0(VALU_DEP_2)
	v_cndmask_b32_e32 v8, 0x7f800000, v9, vcc_lo
	global_store_b32 v[5:6], v8, off
	v_add_co_u32 v5, vcc_lo, v5, 4
	v_add_f32_e32 v15, v15, v8
	v_add_co_ci_u32_e32 v6, vcc_lo, 0, v6, vcc_lo
	s_cbranch_scc0 .LBB25_7
.LBB25_8:
	s_delay_alu instid0(VALU_DEP_2)
	v_cmp_neq_f32_e32 vcc_lo, 0, v15
	s_and_b32 exec_lo, exec_lo, vcc_lo
	s_cbranch_execz .LBB25_12
; %bb.9:
	s_and_not1_b32 vcc_lo, exec_lo, s7
	s_cbranch_vccnz .LBB25_12
; %bb.10:
	v_div_scale_f32 v0, null, v15, v15, 1.0
	v_div_scale_f32 v3, vcc_lo, 1.0, v15, 1.0
	s_delay_alu instid0(VALU_DEP_2) | instskip(SKIP_2) | instid1(VALU_DEP_1)
	v_rcp_f32_e32 v1, v0
	s_waitcnt_depctr 0xfff
	v_fma_f32 v2, -v0, v1, 1.0
	v_fmac_f32_e32 v1, v2, v1
	s_delay_alu instid0(VALU_DEP_1) | instskip(NEXT) | instid1(VALU_DEP_1)
	v_mul_f32_e32 v2, v3, v1
	v_fma_f32 v5, -v0, v2, v3
	s_delay_alu instid0(VALU_DEP_1) | instskip(SKIP_1) | instid1(VALU_DEP_2)
	v_fmac_f32_e32 v2, v5, v1
	v_ashrrev_i32_e32 v5, 31, v4
	v_fma_f32 v0, -v0, v2, v3
	s_delay_alu instid0(VALU_DEP_1) | instskip(NEXT) | instid1(VALU_DEP_3)
	v_div_fmas_f32 v2, v0, v1, v2
	v_lshlrev_b64 v[0:1], 2, v[4:5]
	s_delay_alu instid0(VALU_DEP_2) | instskip(NEXT) | instid1(VALU_DEP_2)
	v_div_fixup_f32 v2, v2, v15, 1.0
	v_add_co_u32 v0, vcc_lo, s2, v0
	s_delay_alu instid0(VALU_DEP_3)
	v_add_co_ci_u32_e32 v1, vcc_lo, s3, v1, vcc_lo
.LBB25_11:                              ; =>This Inner Loop Header: Depth=1
	global_load_b32 v3, v[0:1], off
	s_add_i32 s4, s4, -1
	s_delay_alu instid0(SALU_CYCLE_1)
	s_cmp_lg_u32 s4, 0
	s_waitcnt vmcnt(0)
	v_mul_f32_e32 v3, v2, v3
	global_store_b32 v[0:1], v3, off
	v_add_co_u32 v0, vcc_lo, v0, 4
	v_add_co_ci_u32_e32 v1, vcc_lo, 0, v1, vcc_lo
	s_cbranch_scc1 .LBB25_11
.LBB25_12:
	s_nop 0
	s_sendmsg sendmsg(MSG_DEALLOC_VGPRS)
	s_endpgm
	.section	.rodata,"a",@progbits
	.p2align	6, 0x0
	.amdhsa_kernel _ZN4vllm3moe17topkGatingSoftmaxIfLi4ELi4ELi8ELi16ELb1ELi2ELNS0_23SharedExpertScoringFuncE1EEEvPKT_PKbPfiPiS9_iiiiii
		.amdhsa_group_segment_fixed_size 0
		.amdhsa_private_segment_fixed_size 0
		.amdhsa_kernarg_size 72
		.amdhsa_user_sgpr_count 15
		.amdhsa_user_sgpr_dispatch_ptr 0
		.amdhsa_user_sgpr_queue_ptr 0
		.amdhsa_user_sgpr_kernarg_segment_ptr 1
		.amdhsa_user_sgpr_dispatch_id 0
		.amdhsa_user_sgpr_private_segment_size 0
		.amdhsa_wavefront_size32 1
		.amdhsa_uses_dynamic_stack 0
		.amdhsa_enable_private_segment 0
		.amdhsa_system_sgpr_workgroup_id_x 1
		.amdhsa_system_sgpr_workgroup_id_y 0
		.amdhsa_system_sgpr_workgroup_id_z 0
		.amdhsa_system_sgpr_workgroup_info 0
		.amdhsa_system_vgpr_workitem_id 1
		.amdhsa_next_free_vgpr 22
		.amdhsa_next_free_sgpr 16
		.amdhsa_reserve_vcc 1
		.amdhsa_float_round_mode_32 0
		.amdhsa_float_round_mode_16_64 0
		.amdhsa_float_denorm_mode_32 3
		.amdhsa_float_denorm_mode_16_64 3
		.amdhsa_dx10_clamp 1
		.amdhsa_ieee_mode 1
		.amdhsa_fp16_overflow 0
		.amdhsa_workgroup_processor_mode 1
		.amdhsa_memory_ordered 1
		.amdhsa_forward_progress 0
		.amdhsa_shared_vgpr_count 0
		.amdhsa_exception_fp_ieee_invalid_op 0
		.amdhsa_exception_fp_denorm_src 0
		.amdhsa_exception_fp_ieee_div_zero 0
		.amdhsa_exception_fp_ieee_overflow 0
		.amdhsa_exception_fp_ieee_underflow 0
		.amdhsa_exception_fp_ieee_inexact 0
		.amdhsa_exception_int_div_zero 0
	.end_amdhsa_kernel
	.section	.text._ZN4vllm3moe17topkGatingSoftmaxIfLi4ELi4ELi8ELi16ELb1ELi2ELNS0_23SharedExpertScoringFuncE1EEEvPKT_PKbPfiPiS9_iiiiii,"axG",@progbits,_ZN4vllm3moe17topkGatingSoftmaxIfLi4ELi4ELi8ELi16ELb1ELi2ELNS0_23SharedExpertScoringFuncE1EEEvPKT_PKbPfiPiS9_iiiiii,comdat
.Lfunc_end25:
	.size	_ZN4vllm3moe17topkGatingSoftmaxIfLi4ELi4ELi8ELi16ELb1ELi2ELNS0_23SharedExpertScoringFuncE1EEEvPKT_PKbPfiPiS9_iiiiii, .Lfunc_end25-_ZN4vllm3moe17topkGatingSoftmaxIfLi4ELi4ELi8ELi16ELb1ELi2ELNS0_23SharedExpertScoringFuncE1EEEvPKT_PKbPfiPiS9_iiiiii
                                        ; -- End function
	.section	.AMDGPU.csdata,"",@progbits
; Kernel info:
; codeLenInByte = 1780
; NumSgprs: 18
; NumVgprs: 22
; ScratchSize: 0
; MemoryBound: 0
; FloatMode: 240
; IeeeMode: 1
; LDSByteSize: 0 bytes/workgroup (compile time only)
; SGPRBlocks: 2
; VGPRBlocks: 2
; NumSGPRsForWavesPerEU: 18
; NumVGPRsForWavesPerEU: 22
; Occupancy: 16
; WaveLimiterHint : 0
; COMPUTE_PGM_RSRC2:SCRATCH_EN: 0
; COMPUTE_PGM_RSRC2:USER_SGPR: 15
; COMPUTE_PGM_RSRC2:TRAP_HANDLER: 0
; COMPUTE_PGM_RSRC2:TGID_X_EN: 1
; COMPUTE_PGM_RSRC2:TGID_Y_EN: 0
; COMPUTE_PGM_RSRC2:TGID_Z_EN: 0
; COMPUTE_PGM_RSRC2:TIDIG_COMP_CNT: 1
	.section	.text._ZN4vllm3moe17topkGatingSoftmaxIfLi4ELi4ELi8ELi16ELb0ELi2ELNS0_23SharedExpertScoringFuncE1EEEvPKT_PKbPfiPiS9_iiiiii,"axG",@progbits,_ZN4vllm3moe17topkGatingSoftmaxIfLi4ELi4ELi8ELi16ELb0ELi2ELNS0_23SharedExpertScoringFuncE1EEEvPKT_PKbPfiPiS9_iiiiii,comdat
	.protected	_ZN4vllm3moe17topkGatingSoftmaxIfLi4ELi4ELi8ELi16ELb0ELi2ELNS0_23SharedExpertScoringFuncE1EEEvPKT_PKbPfiPiS9_iiiiii ; -- Begin function _ZN4vllm3moe17topkGatingSoftmaxIfLi4ELi4ELi8ELi16ELb0ELi2ELNS0_23SharedExpertScoringFuncE1EEEvPKT_PKbPfiPiS9_iiiiii
	.globl	_ZN4vllm3moe17topkGatingSoftmaxIfLi4ELi4ELi8ELi16ELb0ELi2ELNS0_23SharedExpertScoringFuncE1EEEvPKT_PKbPfiPiS9_iiiiii
	.p2align	8
	.type	_ZN4vllm3moe17topkGatingSoftmaxIfLi4ELi4ELi8ELi16ELb0ELi2ELNS0_23SharedExpertScoringFuncE1EEEvPKT_PKbPfiPiS9_iiiiii,@function
_ZN4vllm3moe17topkGatingSoftmaxIfLi4ELi4ELi8ELi16ELb0ELi2ELNS0_23SharedExpertScoringFuncE1EEEvPKT_PKbPfiPiS9_iiiiii: ; @_ZN4vllm3moe17topkGatingSoftmaxIfLi4ELi4ELi8ELi16ELb0ELi2ELNS0_23SharedExpertScoringFuncE1EEEvPKT_PKbPfiPiS9_iiiiii
; %bb.0:
	s_load_b32 s14, s[0:1], 0x18
	v_bfe_u32 v1, v0, 10, 10
	v_and_b32_e32 v14, 0x3ff, v0
	s_lshl_b32 s16, s15, 8
	s_mov_b32 s2, exec_lo
	s_delay_alu instid0(VALU_DEP_2) | instskip(NEXT) | instid1(VALU_DEP_1)
	v_lshlrev_b32_e32 v13, 5, v1
	v_add3_u32 v15, v13, v14, s16
	s_waitcnt lgkmcnt(0)
	s_delay_alu instid0(VALU_DEP_1)
	v_cmpx_gt_i32_e64 s14, v15
	s_cbranch_execz .LBB26_12
; %bb.1:
	s_clause 0x1
	s_load_b128 s[4:7], s[0:1], 0x0
	s_load_b64 s[12:13], s[0:1], 0x10
	s_waitcnt lgkmcnt(0)
	s_cmp_eq_u64 s[6:7], 0
	s_cbranch_scc1 .LBB26_3
; %bb.2:
	v_ashrrev_i32_e32 v1, 31, v15
	v_add_co_u32 v0, vcc_lo, s6, v15
	s_delay_alu instid0(VALU_DEP_2) | instskip(SKIP_3) | instid1(VALU_DEP_1)
	v_add_co_ci_u32_e32 v1, vcc_lo, s7, v1, vcc_lo
	global_load_u8 v0, v[0:1], off
	s_waitcnt vmcnt(0)
	v_and_b32_e32 v0, 1, v0
	v_cmp_eq_u32_e32 vcc_lo, 1, v0
	s_xor_b32 s2, vcc_lo, -1
	s_delay_alu instid0(SALU_CYCLE_1)
	s_or_not1_b32 s15, s2, exec_lo
	s_branch .LBB26_4
.LBB26_3:
	s_mov_b32 s15, -1
.LBB26_4:
	s_load_b64 s[8:9], s[0:1], 0x40
	s_waitcnt lgkmcnt(0)
	v_mul_lo_u32 v0, v15, s9
	s_delay_alu instid0(VALU_DEP_1) | instskip(NEXT) | instid1(VALU_DEP_1)
	v_ashrrev_i32_e32 v1, 31, v0
	v_lshlrev_b64 v[0:1], 2, v[0:1]
	s_delay_alu instid0(VALU_DEP_1) | instskip(NEXT) | instid1(VALU_DEP_2)
	v_add_co_u32 v5, vcc_lo, s4, v0
	v_add_co_ci_u32_e32 v6, vcc_lo, s5, v1, vcc_lo
	s_load_b128 s[4:7], s[0:1], 0x30
	s_clause 0x1
	global_load_b32 v4, v[5:6], off offset:16
	global_load_b128 v[0:3], v[5:6], off
	s_waitcnt lgkmcnt(0)
	s_cmp_gt_i32 s4, 0
	s_waitcnt vmcnt(1)
	v_mul_f32_e32 v7, 0xbfb8aa3b, v4
	v_cmp_nlt_f32_e32 vcc_lo, 0x42ce8ed0, v4
	s_waitcnt vmcnt(0)
	v_cmp_lt_f32_e64 s3, v0, v1
	s_delay_alu instid0(VALU_DEP_3) | instskip(SKIP_1) | instid1(VALU_DEP_1)
	v_fma_f32 v8, 0xbfb8aa3b, v4, -v7
	v_rndne_f32_e32 v9, v7
	v_dual_fmac_f32 v8, 0xb2a5705f, v4 :: v_dual_sub_f32 v7, v7, v9
	s_delay_alu instid0(VALU_DEP_1) | instskip(SKIP_1) | instid1(VALU_DEP_2)
	v_add_f32_e32 v7, v7, v8
	v_cvt_i32_f32_e32 v8, v9
	v_exp_f32_e32 v7, v7
	s_waitcnt_depctr 0xfff
	v_ldexp_f32 v7, v7, v8
	s_delay_alu instid0(VALU_DEP_1) | instskip(SKIP_1) | instid1(VALU_DEP_2)
	v_cndmask_b32_e32 v7, 0, v7, vcc_lo
	v_cmp_ngt_f32_e32 vcc_lo, 0xc2b17218, v4
	v_cndmask_b32_e32 v4, 0x7f800000, v7, vcc_lo
	s_delay_alu instid0(VALU_DEP_1) | instskip(NEXT) | instid1(VALU_DEP_1)
	v_add_f32_e32 v9, 1.0, v4
	v_div_scale_f32 v10, null, v9, v9, 1.0
	v_div_scale_f32 v12, vcc_lo, 1.0, v9, 1.0
	s_delay_alu instid0(VALU_DEP_2) | instskip(SKIP_2) | instid1(VALU_DEP_1)
	v_rcp_f32_e32 v11, v10
	s_waitcnt_depctr 0xfff
	v_fma_f32 v4, -v10, v11, 1.0
	v_fmac_f32_e32 v11, v4, v11
	v_mul_lo_u32 v4, v15, s7
	s_cselect_b32 s7, -1, 0
	s_cmp_lt_i32 s4, 1
	s_delay_alu instid0(VALU_DEP_1) | instskip(NEXT) | instid1(VALU_DEP_1)
	v_dual_mul_f32 v16, v12, v11 :: v_dual_add_nc_u32 v7, s4, v4
	v_fma_f32 v8, -v10, v16, v12
	s_delay_alu instid0(VALU_DEP_1) | instskip(NEXT) | instid1(VALU_DEP_3)
	v_fmac_f32_e32 v16, v8, v11
	v_ashrrev_i32_e32 v8, 31, v7
	s_delay_alu instid0(VALU_DEP_2) | instskip(NEXT) | instid1(VALU_DEP_2)
	v_fma_f32 v10, -v10, v16, v12
	v_lshlrev_b64 v[7:8], 2, v[7:8]
	s_delay_alu instid0(VALU_DEP_2) | instskip(NEXT) | instid1(VALU_DEP_2)
	v_div_fmas_f32 v10, v10, v11, v16
	v_add_co_u32 v7, vcc_lo, s12, v7
	s_delay_alu instid0(VALU_DEP_3) | instskip(NEXT) | instid1(VALU_DEP_3)
	v_add_co_ci_u32_e32 v8, vcc_lo, s13, v8, vcc_lo
	v_div_fixup_f32 v9, v10, v9, 1.0
	global_store_b32 v[7:8], v9, off
	global_load_b32 v5, v[5:6], off offset:20
	s_waitcnt vmcnt(0)
	v_mul_f32_e32 v6, 0xbfb8aa3b, v5
	v_cmp_nlt_f32_e32 vcc_lo, 0x42ce8ed0, v5
	s_delay_alu instid0(VALU_DEP_2) | instskip(SKIP_1) | instid1(VALU_DEP_1)
	v_fma_f32 v9, 0xbfb8aa3b, v5, -v6
	v_rndne_f32_e32 v10, v6
	v_dual_fmac_f32 v9, 0xb2a5705f, v5 :: v_dual_sub_f32 v6, v6, v10
	s_delay_alu instid0(VALU_DEP_1) | instskip(SKIP_1) | instid1(VALU_DEP_2)
	v_add_f32_e32 v6, v6, v9
	v_cvt_i32_f32_e32 v9, v10
	v_exp_f32_e32 v6, v6
	s_waitcnt_depctr 0xfff
	v_ldexp_f32 v6, v6, v9
	s_delay_alu instid0(VALU_DEP_1) | instskip(SKIP_1) | instid1(VALU_DEP_2)
	v_cndmask_b32_e32 v6, 0, v6, vcc_lo
	v_cmp_ngt_f32_e32 vcc_lo, 0xc2b17218, v5
	v_cndmask_b32_e32 v5, 0x7f800000, v6, vcc_lo
	s_delay_alu instid0(VALU_DEP_1) | instskip(NEXT) | instid1(VALU_DEP_1)
	v_add_f32_e32 v5, 1.0, v5
	v_div_scale_f32 v6, null, v5, v5, 1.0
	v_div_scale_f32 v11, vcc_lo, 1.0, v5, 1.0
	s_delay_alu instid0(VALU_DEP_2) | instskip(SKIP_2) | instid1(VALU_DEP_1)
	v_rcp_f32_e32 v9, v6
	s_waitcnt_depctr 0xfff
	v_fma_f32 v10, -v6, v9, 1.0
	v_fmac_f32_e32 v9, v10, v9
	s_delay_alu instid0(VALU_DEP_1) | instskip(NEXT) | instid1(VALU_DEP_1)
	v_mul_f32_e32 v10, v11, v9
	v_fma_f32 v12, -v6, v10, v11
	s_delay_alu instid0(VALU_DEP_1) | instskip(SKIP_1) | instid1(VALU_DEP_2)
	v_fmac_f32_e32 v10, v12, v9
	v_cndmask_b32_e64 v12, v0, v1, s3
	v_fma_f32 v6, -v6, v10, v11
	s_delay_alu instid0(VALU_DEP_2) | instskip(NEXT) | instid1(VALU_DEP_2)
	v_cmp_lt_f32_e64 s2, v12, v2
	v_div_fmas_f32 v6, v6, v9, v10
	s_delay_alu instid0(VALU_DEP_2) | instskip(SKIP_1) | instid1(VALU_DEP_3)
	v_cndmask_b32_e64 v11, v12, v2, s2
	v_mov_b32_e32 v12, 0
	v_div_fixup_f32 v5, v6, v5, 1.0
	s_delay_alu instid0(VALU_DEP_3)
	v_cmp_lt_f32_e32 vcc_lo, v11, v3
	global_store_b32 v[7:8], v5, off offset:4
	v_cndmask_b32_e32 v11, v11, v3, vcc_lo
	s_cbranch_scc1 .LBB26_8
; %bb.5:
	s_delay_alu instid0(VALU_DEP_1)
	v_sub_f32_e32 v12, v11, v11
	v_cndmask_b32_e64 v8, 0, 1, s3
	v_mul_lo_u32 v6, v15, s8
	v_ashrrev_i32_e32 v5, 31, v4
	s_load_b128 s[8:11], s[0:1], 0x20
	v_mul_f32_e32 v7, 0x3fb8aa3b, v12
	v_mul_lo_u32 v16, v15, s4
	v_cndmask_b32_e64 v8, v8, 2, s2
	v_lshlrev_b64 v[9:10], 2, v[4:5]
	s_delay_alu instid0(VALU_DEP_4) | instskip(SKIP_1) | instid1(VALU_DEP_4)
	v_rndne_f32_e32 v18, v7
	v_fma_f32 v19, 0x3fb8aa3b, v12, -v7
	v_cndmask_b32_e64 v21, v8, 3, vcc_lo
	v_ashrrev_i32_e32 v17, 31, v16
	s_delay_alu instid0(VALU_DEP_3) | instskip(SKIP_3) | instid1(VALU_DEP_4)
	v_dual_sub_f32 v20, v7, v18 :: v_dual_fmac_f32 v19, 0x32a5705f, v12
	v_ashrrev_i32_e32 v7, 31, v6
	v_add_co_u32 v9, vcc_lo, s12, v9
	v_add_co_ci_u32_e32 v10, vcc_lo, s13, v10, vcc_lo
	v_add_f32_e32 v5, v20, v19
	v_cmp_le_i32_e32 vcc_lo, s5, v21
	v_cmp_gt_i32_e64 s0, s6, v21
	v_subrev_nc_u32_e32 v20, s5, v21
	v_cmp_ne_u32_e64 s1, 3, v21
	v_exp_f32_e32 v19, v5
	v_lshlrev_b64 v[5:6], 2, v[6:7]
	v_lshlrev_b64 v[7:8], 2, v[16:17]
	v_cvt_i32_f32_e32 v16, v18
	s_and_b32 s0, vcc_lo, s0
	v_cndmask_b32_e64 v3, 0xff800000, v3, s1
	s_waitcnt_depctr 0xfff
	v_ldexp_f32 v18, v19, v16
	s_waitcnt lgkmcnt(0)
	v_add_co_u32 v16, vcc_lo, s8, v5
	v_add_co_ci_u32_e32 v17, vcc_lo, s9, v6, vcc_lo
	v_cmp_ngt_f32_e32 vcc_lo, 0xc2ce8ed0, v12
	v_cndmask_b32_e32 v22, 0, v18, vcc_lo
	v_add_co_u32 v18, vcc_lo, s10, v7
	v_add_co_ci_u32_e32 v19, vcc_lo, s11, v8, vcc_lo
	s_and_b32 vcc_lo, s15, s0
	s_cmp_eq_u32 s4, 1
	v_cndmask_b32_e32 v20, 4, v20, vcc_lo
	v_cmp_nlt_f32_e32 vcc_lo, 0x42b17218, v12
	v_cndmask_b32_e32 v12, 0x7f800000, v22, vcc_lo
	v_cmp_ne_u32_e32 vcc_lo, 2, v21
	global_store_b32 v[9:10], v12, off
	v_cndmask_b32_e32 v2, 0xff800000, v2, vcc_lo
	v_cmp_ne_u32_e32 vcc_lo, 1, v21
	global_store_b32 v[16:17], v20, off
	global_store_b32 v[18:19], v15, off
	v_cndmask_b32_e32 v1, 0xff800000, v1, vcc_lo
	v_cmp_ne_u32_e32 vcc_lo, 0, v21
	v_cndmask_b32_e32 v0, 0xff800000, v0, vcc_lo
	s_cbranch_scc1 .LBB26_8
; %bb.6:
	v_add_co_u32 v7, vcc_lo, v7, s10
	v_add_co_ci_u32_e32 v8, vcc_lo, s11, v8, vcc_lo
	v_add_co_u32 v15, vcc_lo, v5, s8
	v_add_co_ci_u32_e32 v16, vcc_lo, s9, v6, vcc_lo
	s_delay_alu instid0(VALU_DEP_4) | instskip(NEXT) | instid1(VALU_DEP_4)
	v_add_co_u32 v5, vcc_lo, v7, 4
	v_add_co_ci_u32_e32 v6, vcc_lo, 0, v8, vcc_lo
	s_delay_alu instid0(VALU_DEP_4) | instskip(NEXT) | instid1(VALU_DEP_4)
	v_add_co_u32 v7, vcc_lo, v15, 4
	v_add_co_ci_u32_e32 v8, vcc_lo, 0, v16, vcc_lo
	s_add_i32 s16, s16, s14
	v_add_co_u32 v9, vcc_lo, v9, 4
	v_add_co_ci_u32_e32 v10, vcc_lo, 0, v10, vcc_lo
	v_add3_u32 v13, s16, v14, v13
	s_add_i32 s2, s4, -1
.LBB26_7:                               ; =>This Inner Loop Header: Depth=1
	v_cmp_gt_f32_e32 vcc_lo, v1, v0
	s_add_i32 s2, s2, -1
	v_cndmask_b32_e32 v14, v0, v1, vcc_lo
	v_cndmask_b32_e64 v15, 0, 1, vcc_lo
	s_delay_alu instid0(VALU_DEP_2) | instskip(SKIP_1) | instid1(VALU_DEP_3)
	v_cmp_gt_f32_e32 vcc_lo, v2, v14
	v_cndmask_b32_e32 v14, v14, v2, vcc_lo
	v_cndmask_b32_e64 v15, v15, 2, vcc_lo
	s_delay_alu instid0(VALU_DEP_2) | instskip(NEXT) | instid1(VALU_DEP_2)
	v_cmp_gt_f32_e32 vcc_lo, v3, v14
	v_cndmask_b32_e64 v15, v15, 3, vcc_lo
	v_cndmask_b32_e32 v14, v14, v3, vcc_lo
	s_delay_alu instid0(VALU_DEP_2) | instskip(SKIP_3) | instid1(VALU_DEP_3)
	v_cmp_le_i32_e32 vcc_lo, s5, v15
	v_cmp_gt_i32_e64 s0, s6, v15
	v_subrev_nc_u32_e32 v17, s5, v15
	v_cmp_ne_u32_e64 s1, 3, v15
	s_and_b32 s0, vcc_lo, s0
	s_delay_alu instid0(SALU_CYCLE_1) | instskip(NEXT) | instid1(VALU_DEP_1)
	s_and_b32 vcc_lo, s15, s0
	v_cndmask_b32_e64 v3, 0xff800000, v3, s1
	v_cndmask_b32_e32 v17, 4, v17, vcc_lo
	v_cmp_ne_u32_e64 s1, 2, v15
	s_cmp_eq_u32 s2, 0
	global_store_b32 v[7:8], v17, off
	global_store_b32 v[5:6], v13, off
	v_dual_sub_f32 v14, v14, v11 :: v_dual_add_nc_u32 v13, s14, v13
	v_cndmask_b32_e64 v2, 0xff800000, v2, s1
	v_cmp_ne_u32_e64 s1, 1, v15
	v_add_co_u32 v5, vcc_lo, v5, 4
	s_delay_alu instid0(VALU_DEP_4) | instskip(SKIP_1) | instid1(VALU_DEP_4)
	v_mul_f32_e32 v16, 0x3fb8aa3b, v14
	v_add_co_ci_u32_e32 v6, vcc_lo, 0, v6, vcc_lo
	v_cndmask_b32_e64 v1, 0xff800000, v1, s1
	v_cmp_ne_u32_e64 s1, 0, v15
	s_delay_alu instid0(VALU_DEP_4) | instskip(SKIP_3) | instid1(VALU_DEP_4)
	v_fma_f32 v15, 0x3fb8aa3b, v14, -v16
	v_rndne_f32_e32 v18, v16
	v_add_co_u32 v7, vcc_lo, v7, 4
	v_add_co_ci_u32_e32 v8, vcc_lo, 0, v8, vcc_lo
	v_fmac_f32_e32 v15, 0x32a5705f, v14
	s_delay_alu instid0(VALU_DEP_4) | instskip(SKIP_3) | instid1(VALU_DEP_4)
	v_sub_f32_e32 v16, v16, v18
	v_cvt_i32_f32_e32 v18, v18
	v_cmp_ngt_f32_e32 vcc_lo, 0xc2ce8ed0, v14
	v_cndmask_b32_e64 v0, 0xff800000, v0, s1
	v_add_f32_e32 v15, v16, v15
	s_delay_alu instid0(VALU_DEP_1) | instskip(SKIP_2) | instid1(VALU_DEP_1)
	v_exp_f32_e32 v15, v15
	s_waitcnt_depctr 0xfff
	v_ldexp_f32 v15, v15, v18
	v_cndmask_b32_e32 v15, 0, v15, vcc_lo
	v_cmp_nlt_f32_e32 vcc_lo, 0x42b17218, v14
	s_delay_alu instid0(VALU_DEP_2)
	v_cndmask_b32_e32 v14, 0x7f800000, v15, vcc_lo
	global_store_b32 v[9:10], v14, off
	v_add_co_u32 v9, vcc_lo, v9, 4
	v_add_f32_e32 v12, v12, v14
	v_add_co_ci_u32_e32 v10, vcc_lo, 0, v10, vcc_lo
	s_cbranch_scc0 .LBB26_7
.LBB26_8:
	s_delay_alu instid0(VALU_DEP_1) | instskip(NEXT) | instid1(VALU_DEP_2)
	v_sub_f32_e32 v2, v2, v11
	v_sub_f32_e32 v0, v0, v11
	;; [unrolled: 1-line block ×4, first 2 shown]
	s_delay_alu instid0(VALU_DEP_4) | instskip(NEXT) | instid1(VALU_DEP_3)
	v_mul_f32_e32 v7, 0x3fb8aa3b, v2
	v_dual_mul_f32 v5, 0x3fb8aa3b, v0 :: v_dual_mul_f32 v6, 0x3fb8aa3b, v1
	v_cmp_ngt_f32_e32 vcc_lo, 0xc2ce8ed0, v0
	s_delay_alu instid0(VALU_DEP_3) | instskip(NEXT) | instid1(VALU_DEP_3)
	v_fma_f32 v14, 0x3fb8aa3b, v2, -v7
	v_fma_f32 v9, 0x3fb8aa3b, v0, -v5
	v_rndne_f32_e32 v10, v5
	v_mul_f32_e32 v8, 0x3fb8aa3b, v3
	v_fma_f32 v11, 0x3fb8aa3b, v1, -v6
	v_rndne_f32_e32 v13, v6
	v_dual_fmac_f32 v9, 0x32a5705f, v0 :: v_dual_fmac_f32 v14, 0x32a5705f, v2
	v_sub_f32_e32 v5, v5, v10
	v_fma_f32 v16, 0x3fb8aa3b, v3, -v8
	s_delay_alu instid0(VALU_DEP_4) | instskip(SKIP_4) | instid1(VALU_DEP_4)
	v_sub_f32_e32 v6, v6, v13
	v_fmac_f32_e32 v11, 0x32a5705f, v1
	v_rndne_f32_e32 v15, v7
	v_rndne_f32_e32 v17, v8
	v_dual_fmac_f32 v16, 0x32a5705f, v3 :: v_dual_add_f32 v5, v5, v9
	v_add_f32_e32 v6, v6, v11
	v_cvt_i32_f32_e32 v9, v10
	s_delay_alu instid0(VALU_DEP_4) | instskip(NEXT) | instid1(VALU_DEP_4)
	v_dual_sub_f32 v7, v7, v15 :: v_dual_sub_f32 v8, v8, v17
	v_exp_f32_e32 v5, v5
	s_delay_alu instid0(VALU_DEP_3) | instskip(SKIP_1) | instid1(VALU_DEP_2)
	v_exp_f32_e32 v6, v6
	v_cvt_i32_f32_e32 v10, v13
	v_dual_add_f32 v7, v7, v14 :: v_dual_add_f32 v8, v8, v16
	v_cvt_i32_f32_e32 v11, v15
	s_delay_alu instid0(VALU_DEP_2) | instskip(NEXT) | instid1(VALU_DEP_2)
	v_exp_f32_e32 v7, v7
	v_exp_f32_e32 v8, v8
	v_ldexp_f32 v5, v5, v9
	s_delay_alu instid0(TRANS32_DEP_3) | instskip(SKIP_1) | instid1(VALU_DEP_3)
	v_ldexp_f32 v6, v6, v10
	v_cvt_i32_f32_e32 v9, v17
	v_cndmask_b32_e32 v5, 0, v5, vcc_lo
	v_cmp_ngt_f32_e32 vcc_lo, 0xc2ce8ed0, v1
	s_delay_alu instid0(TRANS32_DEP_2) | instskip(SKIP_4) | instid1(VALU_DEP_4)
	v_ldexp_f32 v7, v7, v11
	v_cndmask_b32_e32 v6, 0, v6, vcc_lo
	v_cmp_nlt_f32_e32 vcc_lo, 0x42b17218, v0
	v_cndmask_b32_e32 v0, 0x7f800000, v5, vcc_lo
	v_cmp_nlt_f32_e32 vcc_lo, 0x42b17218, v1
	v_cndmask_b32_e32 v1, 0x7f800000, v6, vcc_lo
	v_cmp_ngt_f32_e32 vcc_lo, 0xc2ce8ed0, v2
	v_ldexp_f32 v6, v8, v9
	s_delay_alu instid0(VALU_DEP_3) | instskip(SKIP_1) | instid1(VALU_DEP_2)
	v_dual_add_f32 v0, v0, v1 :: v_dual_cndmask_b32 v5, 0, v7
	v_cmp_nlt_f32_e32 vcc_lo, 0x42b17218, v2
	v_cndmask_b32_e32 v1, 0x7f800000, v5, vcc_lo
	v_cmp_ngt_f32_e32 vcc_lo, 0xc2ce8ed0, v3
	v_cndmask_b32_e32 v2, 0, v6, vcc_lo
	v_cmp_nlt_f32_e32 vcc_lo, 0x42b17218, v3
	s_delay_alu instid0(VALU_DEP_2) | instskip(NEXT) | instid1(VALU_DEP_1)
	v_dual_add_f32 v0, v0, v1 :: v_dual_cndmask_b32 v1, 0x7f800000, v2
	v_add_f32_e32 v0, v0, v1
	s_delay_alu instid0(VALU_DEP_1) | instskip(NEXT) | instid1(VALU_DEP_1)
	v_add_f32_e32 v0, v12, v0
	v_cmp_neq_f32_e32 vcc_lo, 0, v0
	s_and_b32 exec_lo, exec_lo, vcc_lo
	s_cbranch_execz .LBB26_12
; %bb.9:
	s_and_not1_b32 vcc_lo, exec_lo, s7
	s_cbranch_vccnz .LBB26_12
; %bb.10:
	v_div_scale_f32 v1, null, v0, v0, 1.0
	v_div_scale_f32 v5, vcc_lo, 1.0, v0, 1.0
	s_delay_alu instid0(VALU_DEP_2) | instskip(SKIP_2) | instid1(VALU_DEP_1)
	v_rcp_f32_e32 v2, v1
	s_waitcnt_depctr 0xfff
	v_fma_f32 v3, -v1, v2, 1.0
	v_fmac_f32_e32 v2, v3, v2
	s_delay_alu instid0(VALU_DEP_1) | instskip(NEXT) | instid1(VALU_DEP_1)
	v_mul_f32_e32 v3, v5, v2
	v_fma_f32 v6, -v1, v3, v5
	s_delay_alu instid0(VALU_DEP_1) | instskip(NEXT) | instid1(VALU_DEP_1)
	v_fmac_f32_e32 v3, v6, v2
	v_fma_f32 v1, -v1, v3, v5
	v_ashrrev_i32_e32 v5, 31, v4
	s_delay_alu instid0(VALU_DEP_2) | instskip(NEXT) | instid1(VALU_DEP_2)
	v_div_fmas_f32 v1, v1, v2, v3
	v_lshlrev_b64 v[3:4], 2, v[4:5]
	s_delay_alu instid0(VALU_DEP_2) | instskip(NEXT) | instid1(VALU_DEP_2)
	v_div_fixup_f32 v2, v1, v0, 1.0
	v_add_co_u32 v0, vcc_lo, s12, v3
	s_delay_alu instid0(VALU_DEP_3)
	v_add_co_ci_u32_e32 v1, vcc_lo, s13, v4, vcc_lo
.LBB26_11:                              ; =>This Inner Loop Header: Depth=1
	global_load_b32 v3, v[0:1], off
	s_add_i32 s4, s4, -1
	s_delay_alu instid0(SALU_CYCLE_1)
	s_cmp_lg_u32 s4, 0
	s_waitcnt vmcnt(0)
	v_mul_f32_e32 v3, v2, v3
	global_store_b32 v[0:1], v3, off
	v_add_co_u32 v0, vcc_lo, v0, 4
	v_add_co_ci_u32_e32 v1, vcc_lo, 0, v1, vcc_lo
	s_cbranch_scc1 .LBB26_11
.LBB26_12:
	s_nop 0
	s_sendmsg sendmsg(MSG_DEALLOC_VGPRS)
	s_endpgm
	.section	.rodata,"a",@progbits
	.p2align	6, 0x0
	.amdhsa_kernel _ZN4vllm3moe17topkGatingSoftmaxIfLi4ELi4ELi8ELi16ELb0ELi2ELNS0_23SharedExpertScoringFuncE1EEEvPKT_PKbPfiPiS9_iiiiii
		.amdhsa_group_segment_fixed_size 0
		.amdhsa_private_segment_fixed_size 0
		.amdhsa_kernarg_size 72
		.amdhsa_user_sgpr_count 15
		.amdhsa_user_sgpr_dispatch_ptr 0
		.amdhsa_user_sgpr_queue_ptr 0
		.amdhsa_user_sgpr_kernarg_segment_ptr 1
		.amdhsa_user_sgpr_dispatch_id 0
		.amdhsa_user_sgpr_private_segment_size 0
		.amdhsa_wavefront_size32 1
		.amdhsa_uses_dynamic_stack 0
		.amdhsa_enable_private_segment 0
		.amdhsa_system_sgpr_workgroup_id_x 1
		.amdhsa_system_sgpr_workgroup_id_y 0
		.amdhsa_system_sgpr_workgroup_id_z 0
		.amdhsa_system_sgpr_workgroup_info 0
		.amdhsa_system_vgpr_workitem_id 1
		.amdhsa_next_free_vgpr 23
		.amdhsa_next_free_sgpr 17
		.amdhsa_reserve_vcc 1
		.amdhsa_float_round_mode_32 0
		.amdhsa_float_round_mode_16_64 0
		.amdhsa_float_denorm_mode_32 3
		.amdhsa_float_denorm_mode_16_64 3
		.amdhsa_dx10_clamp 1
		.amdhsa_ieee_mode 1
		.amdhsa_fp16_overflow 0
		.amdhsa_workgroup_processor_mode 1
		.amdhsa_memory_ordered 1
		.amdhsa_forward_progress 0
		.amdhsa_shared_vgpr_count 0
		.amdhsa_exception_fp_ieee_invalid_op 0
		.amdhsa_exception_fp_denorm_src 0
		.amdhsa_exception_fp_ieee_div_zero 0
		.amdhsa_exception_fp_ieee_overflow 0
		.amdhsa_exception_fp_ieee_underflow 0
		.amdhsa_exception_fp_ieee_inexact 0
		.amdhsa_exception_int_div_zero 0
	.end_amdhsa_kernel
	.section	.text._ZN4vllm3moe17topkGatingSoftmaxIfLi4ELi4ELi8ELi16ELb0ELi2ELNS0_23SharedExpertScoringFuncE1EEEvPKT_PKbPfiPiS9_iiiiii,"axG",@progbits,_ZN4vllm3moe17topkGatingSoftmaxIfLi4ELi4ELi8ELi16ELb0ELi2ELNS0_23SharedExpertScoringFuncE1EEEvPKT_PKbPfiPiS9_iiiiii,comdat
.Lfunc_end26:
	.size	_ZN4vllm3moe17topkGatingSoftmaxIfLi4ELi4ELi8ELi16ELb0ELi2ELNS0_23SharedExpertScoringFuncE1EEEvPKT_PKbPfiPiS9_iiiiii, .Lfunc_end26-_ZN4vllm3moe17topkGatingSoftmaxIfLi4ELi4ELi8ELi16ELb0ELi2ELNS0_23SharedExpertScoringFuncE1EEEvPKT_PKbPfiPiS9_iiiiii
                                        ; -- End function
	.section	.AMDGPU.csdata,"",@progbits
; Kernel info:
; codeLenInByte = 2200
; NumSgprs: 19
; NumVgprs: 23
; ScratchSize: 0
; MemoryBound: 0
; FloatMode: 240
; IeeeMode: 1
; LDSByteSize: 0 bytes/workgroup (compile time only)
; SGPRBlocks: 2
; VGPRBlocks: 2
; NumSGPRsForWavesPerEU: 19
; NumVGPRsForWavesPerEU: 23
; Occupancy: 16
; WaveLimiterHint : 0
; COMPUTE_PGM_RSRC2:SCRATCH_EN: 0
; COMPUTE_PGM_RSRC2:USER_SGPR: 15
; COMPUTE_PGM_RSRC2:TRAP_HANDLER: 0
; COMPUTE_PGM_RSRC2:TGID_X_EN: 1
; COMPUTE_PGM_RSRC2:TGID_Y_EN: 0
; COMPUTE_PGM_RSRC2:TGID_Z_EN: 0
; COMPUTE_PGM_RSRC2:TIDIG_COMP_CNT: 1
	.section	.text._ZN4vllm3moe17topkGatingSoftmaxIfLi4ELi4ELi8ELi16ELb1ELi4ELNS0_23SharedExpertScoringFuncE1EEEvPKT_PKbPfiPiS9_iiiiii,"axG",@progbits,_ZN4vllm3moe17topkGatingSoftmaxIfLi4ELi4ELi8ELi16ELb1ELi4ELNS0_23SharedExpertScoringFuncE1EEEvPKT_PKbPfiPiS9_iiiiii,comdat
	.protected	_ZN4vllm3moe17topkGatingSoftmaxIfLi4ELi4ELi8ELi16ELb1ELi4ELNS0_23SharedExpertScoringFuncE1EEEvPKT_PKbPfiPiS9_iiiiii ; -- Begin function _ZN4vllm3moe17topkGatingSoftmaxIfLi4ELi4ELi8ELi16ELb1ELi4ELNS0_23SharedExpertScoringFuncE1EEEvPKT_PKbPfiPiS9_iiiiii
	.globl	_ZN4vllm3moe17topkGatingSoftmaxIfLi4ELi4ELi8ELi16ELb1ELi4ELNS0_23SharedExpertScoringFuncE1EEEvPKT_PKbPfiPiS9_iiiiii
	.p2align	8
	.type	_ZN4vllm3moe17topkGatingSoftmaxIfLi4ELi4ELi8ELi16ELb1ELi4ELNS0_23SharedExpertScoringFuncE1EEEvPKT_PKbPfiPiS9_iiiiii,@function
_ZN4vllm3moe17topkGatingSoftmaxIfLi4ELi4ELi8ELi16ELb1ELi4ELNS0_23SharedExpertScoringFuncE1EEEvPKT_PKbPfiPiS9_iiiiii: ; @_ZN4vllm3moe17topkGatingSoftmaxIfLi4ELi4ELi8ELi16ELb1ELi4ELNS0_23SharedExpertScoringFuncE1EEEvPKT_PKbPfiPiS9_iiiiii
; %bb.0:
	s_load_b32 s12, s[0:1], 0x18
	v_bfe_u32 v1, v0, 10, 10
	v_and_b32_e32 v12, 0x3ff, v0
	s_lshl_b32 s14, s15, 8
	s_mov_b32 s2, exec_lo
	s_delay_alu instid0(VALU_DEP_2) | instskip(NEXT) | instid1(VALU_DEP_1)
	v_lshlrev_b32_e32 v11, 5, v1
	v_add3_u32 v13, v11, v12, s14
	s_waitcnt lgkmcnt(0)
	s_delay_alu instid0(VALU_DEP_1)
	v_cmpx_gt_i32_e64 s12, v13
	s_cbranch_execz .LBB27_12
; %bb.1:
	s_clause 0x1
	s_load_b128 s[4:7], s[0:1], 0x0
	s_load_b64 s[2:3], s[0:1], 0x10
	s_waitcnt lgkmcnt(0)
	s_cmp_eq_u64 s[6:7], 0
	s_cbranch_scc1 .LBB27_3
; %bb.2:
	v_ashrrev_i32_e32 v1, 31, v13
	v_add_co_u32 v0, vcc_lo, s6, v13
	s_delay_alu instid0(VALU_DEP_2) | instskip(SKIP_3) | instid1(VALU_DEP_1)
	v_add_co_ci_u32_e32 v1, vcc_lo, s7, v1, vcc_lo
	global_load_u8 v0, v[0:1], off
	s_waitcnt vmcnt(0)
	v_and_b32_e32 v0, 1, v0
	v_cmp_eq_u32_e32 vcc_lo, 1, v0
	s_xor_b32 s6, vcc_lo, -1
	s_delay_alu instid0(SALU_CYCLE_1)
	s_or_not1_b32 s13, s6, exec_lo
	s_branch .LBB27_4
.LBB27_3:
	s_mov_b32 s13, -1
.LBB27_4:
	s_load_b64 s[8:9], s[0:1], 0x40
	s_waitcnt lgkmcnt(0)
	v_mul_lo_u32 v0, v13, s9
	s_delay_alu instid0(VALU_DEP_1) | instskip(NEXT) | instid1(VALU_DEP_1)
	v_ashrrev_i32_e32 v1, 31, v0
	v_lshlrev_b64 v[0:1], 2, v[0:1]
	s_delay_alu instid0(VALU_DEP_1) | instskip(NEXT) | instid1(VALU_DEP_2)
	v_add_co_u32 v5, vcc_lo, s4, v0
	v_add_co_ci_u32_e32 v6, vcc_lo, s5, v1, vcc_lo
	s_load_b128 s[4:7], s[0:1], 0x30
	s_clause 0x1
	global_load_b32 v4, v[5:6], off offset:16
	global_load_b128 v[0:3], v[5:6], off
	s_waitcnt lgkmcnt(0)
	s_cmp_gt_i32 s4, 0
	s_waitcnt vmcnt(1)
	v_mul_f32_e32 v7, 0xbfb8aa3b, v4
	v_cmp_nlt_f32_e32 vcc_lo, 0x42ce8ed0, v4
	s_delay_alu instid0(VALU_DEP_2) | instskip(SKIP_1) | instid1(VALU_DEP_1)
	v_fma_f32 v8, 0xbfb8aa3b, v4, -v7
	v_rndne_f32_e32 v9, v7
	v_dual_fmac_f32 v8, 0xb2a5705f, v4 :: v_dual_sub_f32 v7, v7, v9
	s_delay_alu instid0(VALU_DEP_1) | instskip(SKIP_1) | instid1(VALU_DEP_2)
	v_add_f32_e32 v7, v7, v8
	v_cvt_i32_f32_e32 v8, v9
	v_exp_f32_e32 v7, v7
	s_waitcnt_depctr 0xfff
	v_ldexp_f32 v7, v7, v8
	s_delay_alu instid0(VALU_DEP_1) | instskip(SKIP_1) | instid1(VALU_DEP_2)
	v_cndmask_b32_e32 v7, 0, v7, vcc_lo
	v_cmp_ngt_f32_e32 vcc_lo, 0xc2b17218, v4
	v_cndmask_b32_e32 v4, 0x7f800000, v7, vcc_lo
	s_delay_alu instid0(VALU_DEP_1) | instskip(NEXT) | instid1(VALU_DEP_1)
	v_add_f32_e32 v9, 1.0, v4
	v_div_scale_f32 v10, null, v9, v9, 1.0
	v_div_scale_f32 v15, vcc_lo, 1.0, v9, 1.0
	s_delay_alu instid0(VALU_DEP_2) | instskip(SKIP_2) | instid1(VALU_DEP_1)
	v_rcp_f32_e32 v14, v10
	s_waitcnt_depctr 0xfff
	v_fma_f32 v4, -v10, v14, 1.0
	v_fmac_f32_e32 v14, v4, v14
	v_mul_lo_u32 v4, v13, s7
	s_cselect_b32 s7, -1, 0
	s_cmp_lt_i32 s4, 1
	s_delay_alu instid0(VALU_DEP_1) | instskip(NEXT) | instid1(VALU_DEP_1)
	v_dual_mul_f32 v16, v15, v14 :: v_dual_add_nc_u32 v7, s4, v4
	v_fma_f32 v8, -v10, v16, v15
	s_delay_alu instid0(VALU_DEP_1) | instskip(NEXT) | instid1(VALU_DEP_3)
	v_fmac_f32_e32 v16, v8, v14
	v_ashrrev_i32_e32 v8, 31, v7
	s_delay_alu instid0(VALU_DEP_2) | instskip(NEXT) | instid1(VALU_DEP_2)
	v_fma_f32 v10, -v10, v16, v15
	v_lshlrev_b64 v[7:8], 2, v[7:8]
	s_delay_alu instid0(VALU_DEP_2) | instskip(NEXT) | instid1(VALU_DEP_2)
	v_div_fmas_f32 v10, v10, v14, v16
	v_add_co_u32 v7, vcc_lo, s2, v7
	s_delay_alu instid0(VALU_DEP_3) | instskip(NEXT) | instid1(VALU_DEP_3)
	v_add_co_ci_u32_e32 v8, vcc_lo, s3, v8, vcc_lo
	v_div_fixup_f32 v9, v10, v9, 1.0
	global_store_b32 v[7:8], v9, off
	global_load_b32 v9, v[5:6], off offset:20
	s_waitcnt vmcnt(0)
	v_mul_f32_e32 v10, 0xbfb8aa3b, v9
	v_cmp_nlt_f32_e32 vcc_lo, 0x42ce8ed0, v9
	s_delay_alu instid0(VALU_DEP_2) | instskip(SKIP_1) | instid1(VALU_DEP_2)
	v_fma_f32 v14, 0xbfb8aa3b, v9, -v10
	v_rndne_f32_e32 v15, v10
	v_fmac_f32_e32 v14, 0xb2a5705f, v9
	s_delay_alu instid0(VALU_DEP_2) | instskip(NEXT) | instid1(VALU_DEP_1)
	v_sub_f32_e32 v10, v10, v15
	v_add_f32_e32 v10, v10, v14
	v_cvt_i32_f32_e32 v14, v15
	s_delay_alu instid0(VALU_DEP_2) | instskip(SKIP_2) | instid1(VALU_DEP_1)
	v_exp_f32_e32 v10, v10
	s_waitcnt_depctr 0xfff
	v_ldexp_f32 v10, v10, v14
	v_cndmask_b32_e32 v10, 0, v10, vcc_lo
	v_cmp_ngt_f32_e32 vcc_lo, 0xc2b17218, v9
	s_delay_alu instid0(VALU_DEP_2) | instskip(NEXT) | instid1(VALU_DEP_1)
	v_cndmask_b32_e32 v9, 0x7f800000, v10, vcc_lo
	v_add_f32_e32 v9, 1.0, v9
	s_delay_alu instid0(VALU_DEP_1) | instskip(SKIP_1) | instid1(VALU_DEP_2)
	v_div_scale_f32 v10, null, v9, v9, 1.0
	v_div_scale_f32 v16, vcc_lo, 1.0, v9, 1.0
	v_rcp_f32_e32 v14, v10
	s_waitcnt_depctr 0xfff
	v_fma_f32 v15, -v10, v14, 1.0
	s_delay_alu instid0(VALU_DEP_1) | instskip(NEXT) | instid1(VALU_DEP_1)
	v_fmac_f32_e32 v14, v15, v14
	v_mul_f32_e32 v15, v16, v14
	s_delay_alu instid0(VALU_DEP_1) | instskip(NEXT) | instid1(VALU_DEP_1)
	v_fma_f32 v17, -v10, v15, v16
	v_fmac_f32_e32 v15, v17, v14
	s_delay_alu instid0(VALU_DEP_1) | instskip(NEXT) | instid1(VALU_DEP_1)
	v_fma_f32 v10, -v10, v15, v16
	v_div_fmas_f32 v10, v10, v14, v15
	s_delay_alu instid0(VALU_DEP_1)
	v_div_fixup_f32 v9, v10, v9, 1.0
	global_store_b32 v[7:8], v9, off offset:4
	global_load_b32 v9, v[5:6], off offset:24
	s_waitcnt vmcnt(0)
	v_mul_f32_e32 v10, 0xbfb8aa3b, v9
	v_cmp_nlt_f32_e32 vcc_lo, 0x42ce8ed0, v9
	s_delay_alu instid0(VALU_DEP_2) | instskip(SKIP_1) | instid1(VALU_DEP_2)
	v_fma_f32 v14, 0xbfb8aa3b, v9, -v10
	v_rndne_f32_e32 v15, v10
	v_fmac_f32_e32 v14, 0xb2a5705f, v9
	s_delay_alu instid0(VALU_DEP_2) | instskip(NEXT) | instid1(VALU_DEP_1)
	v_sub_f32_e32 v10, v10, v15
	v_add_f32_e32 v10, v10, v14
	v_cvt_i32_f32_e32 v14, v15
	s_delay_alu instid0(VALU_DEP_2) | instskip(SKIP_2) | instid1(VALU_DEP_1)
	v_exp_f32_e32 v10, v10
	s_waitcnt_depctr 0xfff
	v_ldexp_f32 v10, v10, v14
	v_cndmask_b32_e32 v10, 0, v10, vcc_lo
	v_cmp_ngt_f32_e32 vcc_lo, 0xc2b17218, v9
	s_delay_alu instid0(VALU_DEP_2) | instskip(NEXT) | instid1(VALU_DEP_1)
	v_cndmask_b32_e32 v9, 0x7f800000, v10, vcc_lo
	v_add_f32_e32 v9, 1.0, v9
	s_delay_alu instid0(VALU_DEP_1) | instskip(SKIP_1) | instid1(VALU_DEP_2)
	v_div_scale_f32 v10, null, v9, v9, 1.0
	v_div_scale_f32 v16, vcc_lo, 1.0, v9, 1.0
	v_rcp_f32_e32 v14, v10
	s_waitcnt_depctr 0xfff
	v_fma_f32 v15, -v10, v14, 1.0
	s_delay_alu instid0(VALU_DEP_1) | instskip(NEXT) | instid1(VALU_DEP_1)
	v_fmac_f32_e32 v14, v15, v14
	v_mul_f32_e32 v15, v16, v14
	s_delay_alu instid0(VALU_DEP_1) | instskip(NEXT) | instid1(VALU_DEP_1)
	v_fma_f32 v17, -v10, v15, v16
	v_fmac_f32_e32 v15, v17, v14
	s_delay_alu instid0(VALU_DEP_1) | instskip(NEXT) | instid1(VALU_DEP_1)
	v_fma_f32 v10, -v10, v15, v16
	v_div_fmas_f32 v10, v10, v14, v15
	s_delay_alu instid0(VALU_DEP_1)
	v_div_fixup_f32 v9, v10, v9, 1.0
	global_store_b32 v[7:8], v9, off offset:8
	global_load_b32 v5, v[5:6], off offset:28
	s_waitcnt vmcnt(0)
	v_mul_f32_e32 v6, 0xbfb8aa3b, v5
	v_cmp_nlt_f32_e32 vcc_lo, 0x42ce8ed0, v5
	s_delay_alu instid0(VALU_DEP_2) | instskip(SKIP_1) | instid1(VALU_DEP_1)
	v_fma_f32 v9, 0xbfb8aa3b, v5, -v6
	v_rndne_f32_e32 v10, v6
	v_dual_fmac_f32 v9, 0xb2a5705f, v5 :: v_dual_sub_f32 v6, v6, v10
	s_delay_alu instid0(VALU_DEP_1) | instskip(SKIP_1) | instid1(VALU_DEP_2)
	v_add_f32_e32 v6, v6, v9
	v_cvt_i32_f32_e32 v9, v10
	v_exp_f32_e32 v6, v6
	s_waitcnt_depctr 0xfff
	v_ldexp_f32 v6, v6, v9
	s_delay_alu instid0(VALU_DEP_1) | instskip(SKIP_1) | instid1(VALU_DEP_2)
	v_cndmask_b32_e32 v6, 0, v6, vcc_lo
	v_cmp_ngt_f32_e32 vcc_lo, 0xc2b17218, v5
	v_cndmask_b32_e32 v5, 0x7f800000, v6, vcc_lo
	s_delay_alu instid0(VALU_DEP_1) | instskip(NEXT) | instid1(VALU_DEP_1)
	v_add_f32_e32 v5, 1.0, v5
	v_div_scale_f32 v6, null, v5, v5, 1.0
	v_div_scale_f32 v14, vcc_lo, 1.0, v5, 1.0
	s_delay_alu instid0(VALU_DEP_2) | instskip(SKIP_2) | instid1(VALU_DEP_1)
	v_rcp_f32_e32 v9, v6
	s_waitcnt_depctr 0xfff
	v_fma_f32 v10, -v6, v9, 1.0
	v_fmac_f32_e32 v9, v10, v9
	s_delay_alu instid0(VALU_DEP_1) | instskip(NEXT) | instid1(VALU_DEP_1)
	v_mul_f32_e32 v10, v14, v9
	v_fma_f32 v15, -v6, v10, v14
	s_delay_alu instid0(VALU_DEP_1) | instskip(NEXT) | instid1(VALU_DEP_1)
	v_dual_fmac_f32 v10, v15, v9 :: v_dual_mov_b32 v15, 0
	v_fma_f32 v6, -v6, v10, v14
	s_delay_alu instid0(VALU_DEP_1) | instskip(NEXT) | instid1(VALU_DEP_1)
	v_div_fmas_f32 v6, v6, v9, v10
	v_div_fixup_f32 v5, v6, v5, 1.0
	global_store_b32 v[7:8], v5, off offset:12
	s_cbranch_scc1 .LBB27_8
; %bb.5:
	v_cmp_lt_f32_e32 vcc_lo, v0, v1
	v_mul_lo_u32 v7, v13, s8
	s_load_b128 s[8:11], s[0:1], 0x20
	v_mul_lo_u32 v9, v13, s4
	v_cndmask_b32_e32 v6, v0, v1, vcc_lo
	v_cndmask_b32_e64 v5, 0, 1, vcc_lo
	s_delay_alu instid0(VALU_DEP_2) | instskip(SKIP_1) | instid1(VALU_DEP_3)
	v_cmp_lt_f32_e32 vcc_lo, v6, v2
	v_cndmask_b32_e32 v6, v6, v2, vcc_lo
	v_cndmask_b32_e64 v5, v5, 2, vcc_lo
	s_delay_alu instid0(VALU_DEP_2) | instskip(SKIP_1) | instid1(VALU_DEP_3)
	v_cmp_lt_f32_e32 vcc_lo, v6, v3
	v_cndmask_b32_e32 v14, v6, v3, vcc_lo
	v_cndmask_b32_e64 v18, v5, 3, vcc_lo
	s_delay_alu instid0(VALU_DEP_2) | instskip(NEXT) | instid1(VALU_DEP_2)
	v_sub_f32_e32 v15, v14, v14
	v_subrev_nc_u32_e32 v19, s5, v18
	v_cmp_gt_i32_e64 s0, s6, v18
	s_delay_alu instid0(VALU_DEP_3) | instskip(NEXT) | instid1(VALU_DEP_1)
	v_mul_f32_e32 v5, 0x3fb8aa3b, v15
	v_fma_f32 v6, 0x3fb8aa3b, v15, -v5
	v_rndne_f32_e32 v16, v5
	s_delay_alu instid0(VALU_DEP_2) | instskip(NEXT) | instid1(VALU_DEP_2)
	v_fmac_f32_e32 v6, 0x32a5705f, v15
	v_sub_f32_e32 v8, v5, v16
	v_ashrrev_i32_e32 v5, 31, v4
	v_cvt_i32_f32_e32 v16, v16
	s_delay_alu instid0(VALU_DEP_3) | instskip(NEXT) | instid1(VALU_DEP_3)
	v_add_f32_e32 v10, v8, v6
	v_lshlrev_b64 v[5:6], 2, v[4:5]
	v_ashrrev_i32_e32 v8, 31, v7
	s_delay_alu instid0(VALU_DEP_3) | instskip(SKIP_1) | instid1(VALU_DEP_3)
	v_exp_f32_e32 v17, v10
	v_ashrrev_i32_e32 v10, 31, v9
	v_add_co_u32 v5, vcc_lo, s2, v5
	s_delay_alu instid0(VALU_DEP_4) | instskip(SKIP_3) | instid1(TRANS32_DEP_1)
	v_add_co_ci_u32_e32 v6, vcc_lo, s3, v6, vcc_lo
	v_cmp_le_i32_e32 vcc_lo, s5, v18
	v_lshlrev_b64 v[7:8], 2, v[7:8]
	v_lshlrev_b64 v[9:10], 2, v[9:10]
	v_ldexp_f32 v16, v17, v16
	s_and_b32 s0, vcc_lo, s0
	v_cmp_ngt_f32_e32 vcc_lo, 0xc2ce8ed0, v15
	s_delay_alu instid0(VALU_DEP_2)
	v_cndmask_b32_e32 v20, 0, v16, vcc_lo
	s_waitcnt lgkmcnt(0)
	v_add_co_u32 v16, vcc_lo, s8, v7
	v_add_co_ci_u32_e32 v17, vcc_lo, s9, v8, vcc_lo
	s_and_b32 vcc_lo, s13, s0
	s_cmp_eq_u32 s4, 1
	v_cndmask_b32_e32 v21, 4, v19, vcc_lo
	v_cmp_nlt_f32_e32 vcc_lo, 0x42b17218, v15
	v_cndmask_b32_e32 v15, 0x7f800000, v20, vcc_lo
	v_add_co_u32 v19, vcc_lo, s10, v9
	v_add_co_ci_u32_e32 v20, vcc_lo, s11, v10, vcc_lo
	global_store_b32 v[16:17], v21, off
	global_store_b32 v[5:6], v15, off
	;; [unrolled: 1-line block ×3, first 2 shown]
	s_cbranch_scc1 .LBB27_8
; %bb.6:
	v_cmp_ne_u32_e32 vcc_lo, 3, v18
	s_add_i32 s14, s14, s12
	v_cndmask_b32_e32 v13, 0xff800000, v3, vcc_lo
	v_cmp_ne_u32_e32 vcc_lo, 2, v18
	v_cndmask_b32_e32 v16, 0xff800000, v2, vcc_lo
	v_cmp_ne_u32_e32 vcc_lo, 1, v18
	;; [unrolled: 2-line block ×3, first 2 shown]
	v_cndmask_b32_e32 v18, 0xff800000, v0, vcc_lo
	v_add_co_u32 v0, vcc_lo, v9, s10
	v_add_co_ci_u32_e32 v1, vcc_lo, s11, v10, vcc_lo
	v_add_co_u32 v2, vcc_lo, v7, s8
	v_add_co_ci_u32_e32 v3, vcc_lo, s9, v8, vcc_lo
	s_delay_alu instid0(VALU_DEP_4) | instskip(NEXT) | instid1(VALU_DEP_4)
	v_add_co_u32 v0, vcc_lo, v0, 4
	v_add_co_ci_u32_e32 v1, vcc_lo, 0, v1, vcc_lo
	s_delay_alu instid0(VALU_DEP_4) | instskip(NEXT) | instid1(VALU_DEP_4)
	v_add_co_u32 v2, vcc_lo, v2, 4
	v_add_co_ci_u32_e32 v3, vcc_lo, 0, v3, vcc_lo
	v_add_co_u32 v5, vcc_lo, v5, 4
	v_add_co_ci_u32_e32 v6, vcc_lo, 0, v6, vcc_lo
	v_add3_u32 v7, s14, v12, v11
	s_add_i32 s8, s4, -1
.LBB27_7:                               ; =>This Inner Loop Header: Depth=1
	v_cmp_gt_f32_e32 vcc_lo, v17, v18
	s_add_i32 s8, s8, -1
	v_cndmask_b32_e32 v8, v18, v17, vcc_lo
	v_cndmask_b32_e64 v9, 0, 1, vcc_lo
	s_delay_alu instid0(VALU_DEP_2) | instskip(SKIP_1) | instid1(VALU_DEP_3)
	v_cmp_gt_f32_e32 vcc_lo, v16, v8
	v_cndmask_b32_e32 v8, v8, v16, vcc_lo
	v_cndmask_b32_e64 v9, v9, 2, vcc_lo
	s_delay_alu instid0(VALU_DEP_2) | instskip(NEXT) | instid1(VALU_DEP_2)
	v_cmp_gt_f32_e32 vcc_lo, v13, v8
	v_cndmask_b32_e64 v9, v9, 3, vcc_lo
	v_cndmask_b32_e32 v8, v8, v13, vcc_lo
	s_delay_alu instid0(VALU_DEP_2) | instskip(SKIP_3) | instid1(VALU_DEP_3)
	v_cmp_le_i32_e32 vcc_lo, s5, v9
	v_cmp_gt_i32_e64 s0, s6, v9
	v_subrev_nc_u32_e32 v11, s5, v9
	v_cmp_ne_u32_e64 s1, 3, v9
	s_and_b32 s0, vcc_lo, s0
	s_delay_alu instid0(SALU_CYCLE_1) | instskip(NEXT) | instid1(VALU_DEP_1)
	s_and_b32 vcc_lo, s13, s0
	v_cndmask_b32_e64 v13, 0xff800000, v13, s1
	v_cndmask_b32_e32 v11, 4, v11, vcc_lo
	v_cmp_ne_u32_e64 s1, 2, v9
	s_cmp_eq_u32 s8, 0
	global_store_b32 v[2:3], v11, off
	global_store_b32 v[0:1], v7, off
	v_dual_sub_f32 v8, v8, v14 :: v_dual_add_nc_u32 v7, s12, v7
	v_cndmask_b32_e64 v16, 0xff800000, v16, s1
	v_cmp_ne_u32_e64 s1, 1, v9
	v_add_co_u32 v0, vcc_lo, v0, 4
	s_delay_alu instid0(VALU_DEP_4) | instskip(SKIP_1) | instid1(VALU_DEP_4)
	v_mul_f32_e32 v10, 0x3fb8aa3b, v8
	v_add_co_ci_u32_e32 v1, vcc_lo, 0, v1, vcc_lo
	v_cndmask_b32_e64 v17, 0xff800000, v17, s1
	v_cmp_ne_u32_e64 s1, 0, v9
	s_delay_alu instid0(VALU_DEP_4) | instskip(SKIP_3) | instid1(VALU_DEP_4)
	v_fma_f32 v9, 0x3fb8aa3b, v8, -v10
	v_rndne_f32_e32 v12, v10
	v_add_co_u32 v2, vcc_lo, v2, 4
	v_add_co_ci_u32_e32 v3, vcc_lo, 0, v3, vcc_lo
	v_fmac_f32_e32 v9, 0x32a5705f, v8
	s_delay_alu instid0(VALU_DEP_4) | instskip(SKIP_3) | instid1(VALU_DEP_4)
	v_sub_f32_e32 v10, v10, v12
	v_cvt_i32_f32_e32 v12, v12
	v_cmp_ngt_f32_e32 vcc_lo, 0xc2ce8ed0, v8
	v_cndmask_b32_e64 v18, 0xff800000, v18, s1
	v_add_f32_e32 v9, v10, v9
	s_delay_alu instid0(VALU_DEP_1) | instskip(SKIP_2) | instid1(VALU_DEP_1)
	v_exp_f32_e32 v9, v9
	s_waitcnt_depctr 0xfff
	v_ldexp_f32 v9, v9, v12
	v_cndmask_b32_e32 v9, 0, v9, vcc_lo
	v_cmp_nlt_f32_e32 vcc_lo, 0x42b17218, v8
	s_delay_alu instid0(VALU_DEP_2)
	v_cndmask_b32_e32 v8, 0x7f800000, v9, vcc_lo
	global_store_b32 v[5:6], v8, off
	v_add_co_u32 v5, vcc_lo, v5, 4
	v_add_f32_e32 v15, v15, v8
	v_add_co_ci_u32_e32 v6, vcc_lo, 0, v6, vcc_lo
	s_cbranch_scc0 .LBB27_7
.LBB27_8:
	s_delay_alu instid0(VALU_DEP_2)
	v_cmp_neq_f32_e32 vcc_lo, 0, v15
	s_and_b32 exec_lo, exec_lo, vcc_lo
	s_cbranch_execz .LBB27_12
; %bb.9:
	s_and_not1_b32 vcc_lo, exec_lo, s7
	s_cbranch_vccnz .LBB27_12
; %bb.10:
	v_div_scale_f32 v0, null, v15, v15, 1.0
	v_div_scale_f32 v3, vcc_lo, 1.0, v15, 1.0
	s_delay_alu instid0(VALU_DEP_2) | instskip(SKIP_2) | instid1(VALU_DEP_1)
	v_rcp_f32_e32 v1, v0
	s_waitcnt_depctr 0xfff
	v_fma_f32 v2, -v0, v1, 1.0
	v_fmac_f32_e32 v1, v2, v1
	s_delay_alu instid0(VALU_DEP_1) | instskip(NEXT) | instid1(VALU_DEP_1)
	v_mul_f32_e32 v2, v3, v1
	v_fma_f32 v5, -v0, v2, v3
	s_delay_alu instid0(VALU_DEP_1) | instskip(SKIP_1) | instid1(VALU_DEP_2)
	v_fmac_f32_e32 v2, v5, v1
	v_ashrrev_i32_e32 v5, 31, v4
	v_fma_f32 v0, -v0, v2, v3
	s_delay_alu instid0(VALU_DEP_1) | instskip(NEXT) | instid1(VALU_DEP_3)
	v_div_fmas_f32 v2, v0, v1, v2
	v_lshlrev_b64 v[0:1], 2, v[4:5]
	s_delay_alu instid0(VALU_DEP_2) | instskip(NEXT) | instid1(VALU_DEP_2)
	v_div_fixup_f32 v2, v2, v15, 1.0
	v_add_co_u32 v0, vcc_lo, s2, v0
	s_delay_alu instid0(VALU_DEP_3)
	v_add_co_ci_u32_e32 v1, vcc_lo, s3, v1, vcc_lo
.LBB27_11:                              ; =>This Inner Loop Header: Depth=1
	global_load_b32 v3, v[0:1], off
	s_add_i32 s4, s4, -1
	s_delay_alu instid0(SALU_CYCLE_1)
	s_cmp_lg_u32 s4, 0
	s_waitcnt vmcnt(0)
	v_mul_f32_e32 v3, v2, v3
	global_store_b32 v[0:1], v3, off
	v_add_co_u32 v0, vcc_lo, v0, 4
	v_add_co_ci_u32_e32 v1, vcc_lo, 0, v1, vcc_lo
	s_cbranch_scc1 .LBB27_11
.LBB27_12:
	s_nop 0
	s_sendmsg sendmsg(MSG_DEALLOC_VGPRS)
	s_endpgm
	.section	.rodata,"a",@progbits
	.p2align	6, 0x0
	.amdhsa_kernel _ZN4vllm3moe17topkGatingSoftmaxIfLi4ELi4ELi8ELi16ELb1ELi4ELNS0_23SharedExpertScoringFuncE1EEEvPKT_PKbPfiPiS9_iiiiii
		.amdhsa_group_segment_fixed_size 0
		.amdhsa_private_segment_fixed_size 0
		.amdhsa_kernarg_size 72
		.amdhsa_user_sgpr_count 15
		.amdhsa_user_sgpr_dispatch_ptr 0
		.amdhsa_user_sgpr_queue_ptr 0
		.amdhsa_user_sgpr_kernarg_segment_ptr 1
		.amdhsa_user_sgpr_dispatch_id 0
		.amdhsa_user_sgpr_private_segment_size 0
		.amdhsa_wavefront_size32 1
		.amdhsa_uses_dynamic_stack 0
		.amdhsa_enable_private_segment 0
		.amdhsa_system_sgpr_workgroup_id_x 1
		.amdhsa_system_sgpr_workgroup_id_y 0
		.amdhsa_system_sgpr_workgroup_id_z 0
		.amdhsa_system_sgpr_workgroup_info 0
		.amdhsa_system_vgpr_workitem_id 1
		.amdhsa_next_free_vgpr 22
		.amdhsa_next_free_sgpr 16
		.amdhsa_reserve_vcc 1
		.amdhsa_float_round_mode_32 0
		.amdhsa_float_round_mode_16_64 0
		.amdhsa_float_denorm_mode_32 3
		.amdhsa_float_denorm_mode_16_64 3
		.amdhsa_dx10_clamp 1
		.amdhsa_ieee_mode 1
		.amdhsa_fp16_overflow 0
		.amdhsa_workgroup_processor_mode 1
		.amdhsa_memory_ordered 1
		.amdhsa_forward_progress 0
		.amdhsa_shared_vgpr_count 0
		.amdhsa_exception_fp_ieee_invalid_op 0
		.amdhsa_exception_fp_denorm_src 0
		.amdhsa_exception_fp_ieee_div_zero 0
		.amdhsa_exception_fp_ieee_overflow 0
		.amdhsa_exception_fp_ieee_underflow 0
		.amdhsa_exception_fp_ieee_inexact 0
		.amdhsa_exception_int_div_zero 0
	.end_amdhsa_kernel
	.section	.text._ZN4vllm3moe17topkGatingSoftmaxIfLi4ELi4ELi8ELi16ELb1ELi4ELNS0_23SharedExpertScoringFuncE1EEEvPKT_PKbPfiPiS9_iiiiii,"axG",@progbits,_ZN4vllm3moe17topkGatingSoftmaxIfLi4ELi4ELi8ELi16ELb1ELi4ELNS0_23SharedExpertScoringFuncE1EEEvPKT_PKbPfiPiS9_iiiiii,comdat
.Lfunc_end27:
	.size	_ZN4vllm3moe17topkGatingSoftmaxIfLi4ELi4ELi8ELi16ELb1ELi4ELNS0_23SharedExpertScoringFuncE1EEEvPKT_PKbPfiPiS9_iiiiii, .Lfunc_end27-_ZN4vllm3moe17topkGatingSoftmaxIfLi4ELi4ELi8ELi16ELb1ELi4ELNS0_23SharedExpertScoringFuncE1EEEvPKT_PKbPfiPiS9_iiiiii
                                        ; -- End function
	.section	.AMDGPU.csdata,"",@progbits
; Kernel info:
; codeLenInByte = 2228
; NumSgprs: 18
; NumVgprs: 22
; ScratchSize: 0
; MemoryBound: 0
; FloatMode: 240
; IeeeMode: 1
; LDSByteSize: 0 bytes/workgroup (compile time only)
; SGPRBlocks: 2
; VGPRBlocks: 2
; NumSGPRsForWavesPerEU: 18
; NumVGPRsForWavesPerEU: 22
; Occupancy: 16
; WaveLimiterHint : 0
; COMPUTE_PGM_RSRC2:SCRATCH_EN: 0
; COMPUTE_PGM_RSRC2:USER_SGPR: 15
; COMPUTE_PGM_RSRC2:TRAP_HANDLER: 0
; COMPUTE_PGM_RSRC2:TGID_X_EN: 1
; COMPUTE_PGM_RSRC2:TGID_Y_EN: 0
; COMPUTE_PGM_RSRC2:TGID_Z_EN: 0
; COMPUTE_PGM_RSRC2:TIDIG_COMP_CNT: 1
	.section	.text._ZN4vllm3moe17topkGatingSoftmaxIfLi4ELi4ELi8ELi16ELb0ELi4ELNS0_23SharedExpertScoringFuncE1EEEvPKT_PKbPfiPiS9_iiiiii,"axG",@progbits,_ZN4vllm3moe17topkGatingSoftmaxIfLi4ELi4ELi8ELi16ELb0ELi4ELNS0_23SharedExpertScoringFuncE1EEEvPKT_PKbPfiPiS9_iiiiii,comdat
	.protected	_ZN4vllm3moe17topkGatingSoftmaxIfLi4ELi4ELi8ELi16ELb0ELi4ELNS0_23SharedExpertScoringFuncE1EEEvPKT_PKbPfiPiS9_iiiiii ; -- Begin function _ZN4vllm3moe17topkGatingSoftmaxIfLi4ELi4ELi8ELi16ELb0ELi4ELNS0_23SharedExpertScoringFuncE1EEEvPKT_PKbPfiPiS9_iiiiii
	.globl	_ZN4vllm3moe17topkGatingSoftmaxIfLi4ELi4ELi8ELi16ELb0ELi4ELNS0_23SharedExpertScoringFuncE1EEEvPKT_PKbPfiPiS9_iiiiii
	.p2align	8
	.type	_ZN4vllm3moe17topkGatingSoftmaxIfLi4ELi4ELi8ELi16ELb0ELi4ELNS0_23SharedExpertScoringFuncE1EEEvPKT_PKbPfiPiS9_iiiiii,@function
_ZN4vllm3moe17topkGatingSoftmaxIfLi4ELi4ELi8ELi16ELb0ELi4ELNS0_23SharedExpertScoringFuncE1EEEvPKT_PKbPfiPiS9_iiiiii: ; @_ZN4vllm3moe17topkGatingSoftmaxIfLi4ELi4ELi8ELi16ELb0ELi4ELNS0_23SharedExpertScoringFuncE1EEEvPKT_PKbPfiPiS9_iiiiii
; %bb.0:
	s_load_b32 s14, s[0:1], 0x18
	v_bfe_u32 v1, v0, 10, 10
	v_and_b32_e32 v12, 0x3ff, v0
	s_lshl_b32 s16, s15, 8
	s_mov_b32 s2, exec_lo
	s_delay_alu instid0(VALU_DEP_2) | instskip(NEXT) | instid1(VALU_DEP_1)
	v_lshlrev_b32_e32 v11, 5, v1
	v_add3_u32 v14, v11, v12, s16
	s_waitcnt lgkmcnt(0)
	s_delay_alu instid0(VALU_DEP_1)
	v_cmpx_gt_i32_e64 s14, v14
	s_cbranch_execz .LBB28_12
; %bb.1:
	s_clause 0x1
	s_load_b128 s[4:7], s[0:1], 0x0
	s_load_b64 s[12:13], s[0:1], 0x10
	s_waitcnt lgkmcnt(0)
	s_cmp_eq_u64 s[6:7], 0
	s_cbranch_scc1 .LBB28_3
; %bb.2:
	v_ashrrev_i32_e32 v1, 31, v14
	v_add_co_u32 v0, vcc_lo, s6, v14
	s_delay_alu instid0(VALU_DEP_2) | instskip(SKIP_3) | instid1(VALU_DEP_1)
	v_add_co_ci_u32_e32 v1, vcc_lo, s7, v1, vcc_lo
	global_load_u8 v0, v[0:1], off
	s_waitcnt vmcnt(0)
	v_and_b32_e32 v0, 1, v0
	v_cmp_eq_u32_e32 vcc_lo, 1, v0
	s_xor_b32 s2, vcc_lo, -1
	s_delay_alu instid0(SALU_CYCLE_1)
	s_or_not1_b32 s15, s2, exec_lo
	s_branch .LBB28_4
.LBB28_3:
	s_mov_b32 s15, -1
.LBB28_4:
	s_load_b64 s[8:9], s[0:1], 0x40
	s_waitcnt lgkmcnt(0)
	v_mul_lo_u32 v0, v14, s9
	s_delay_alu instid0(VALU_DEP_1) | instskip(NEXT) | instid1(VALU_DEP_1)
	v_ashrrev_i32_e32 v1, 31, v0
	v_lshlrev_b64 v[0:1], 2, v[0:1]
	s_delay_alu instid0(VALU_DEP_1) | instskip(NEXT) | instid1(VALU_DEP_2)
	v_add_co_u32 v5, vcc_lo, s4, v0
	v_add_co_ci_u32_e32 v6, vcc_lo, s5, v1, vcc_lo
	s_load_b128 s[4:7], s[0:1], 0x30
	s_clause 0x1
	global_load_b32 v4, v[5:6], off offset:16
	global_load_b128 v[0:3], v[5:6], off
	s_waitcnt lgkmcnt(0)
	s_cmp_gt_i32 s4, 0
	s_waitcnt vmcnt(1)
	v_mul_f32_e32 v7, 0xbfb8aa3b, v4
	v_cmp_nlt_f32_e32 vcc_lo, 0x42ce8ed0, v4
	s_waitcnt vmcnt(0)
	v_cmp_lt_f32_e64 s3, v0, v1
	s_delay_alu instid0(VALU_DEP_3) | instskip(SKIP_1) | instid1(VALU_DEP_1)
	v_fma_f32 v8, 0xbfb8aa3b, v4, -v7
	v_rndne_f32_e32 v9, v7
	v_dual_fmac_f32 v8, 0xb2a5705f, v4 :: v_dual_sub_f32 v7, v7, v9
	s_delay_alu instid0(VALU_DEP_1) | instskip(SKIP_1) | instid1(VALU_DEP_2)
	v_add_f32_e32 v7, v7, v8
	v_cvt_i32_f32_e32 v8, v9
	v_exp_f32_e32 v7, v7
	s_waitcnt_depctr 0xfff
	v_ldexp_f32 v7, v7, v8
	s_delay_alu instid0(VALU_DEP_1) | instskip(SKIP_1) | instid1(VALU_DEP_2)
	v_cndmask_b32_e32 v7, 0, v7, vcc_lo
	v_cmp_ngt_f32_e32 vcc_lo, 0xc2b17218, v4
	v_cndmask_b32_e32 v4, 0x7f800000, v7, vcc_lo
	s_delay_alu instid0(VALU_DEP_1) | instskip(NEXT) | instid1(VALU_DEP_1)
	v_add_f32_e32 v9, 1.0, v4
	v_div_scale_f32 v10, null, v9, v9, 1.0
	v_div_scale_f32 v15, vcc_lo, 1.0, v9, 1.0
	s_delay_alu instid0(VALU_DEP_2) | instskip(SKIP_2) | instid1(VALU_DEP_1)
	v_rcp_f32_e32 v13, v10
	s_waitcnt_depctr 0xfff
	v_fma_f32 v4, -v10, v13, 1.0
	v_fmac_f32_e32 v13, v4, v13
	v_mul_lo_u32 v4, v14, s7
	s_cselect_b32 s7, -1, 0
	s_cmp_lt_i32 s4, 1
	s_delay_alu instid0(VALU_DEP_1) | instskip(NEXT) | instid1(VALU_DEP_1)
	v_dual_mul_f32 v16, v15, v13 :: v_dual_add_nc_u32 v7, s4, v4
	v_fma_f32 v8, -v10, v16, v15
	s_delay_alu instid0(VALU_DEP_1) | instskip(NEXT) | instid1(VALU_DEP_3)
	v_fmac_f32_e32 v16, v8, v13
	v_ashrrev_i32_e32 v8, 31, v7
	s_delay_alu instid0(VALU_DEP_2) | instskip(NEXT) | instid1(VALU_DEP_2)
	v_fma_f32 v10, -v10, v16, v15
	v_lshlrev_b64 v[7:8], 2, v[7:8]
	s_delay_alu instid0(VALU_DEP_2) | instskip(NEXT) | instid1(VALU_DEP_2)
	v_div_fmas_f32 v10, v10, v13, v16
	v_add_co_u32 v7, vcc_lo, s12, v7
	s_delay_alu instid0(VALU_DEP_3) | instskip(NEXT) | instid1(VALU_DEP_3)
	v_add_co_ci_u32_e32 v8, vcc_lo, s13, v8, vcc_lo
	v_div_fixup_f32 v9, v10, v9, 1.0
	global_store_b32 v[7:8], v9, off
	global_load_b32 v9, v[5:6], off offset:20
	s_waitcnt vmcnt(0)
	v_mul_f32_e32 v10, 0xbfb8aa3b, v9
	v_cmp_nlt_f32_e32 vcc_lo, 0x42ce8ed0, v9
	s_delay_alu instid0(VALU_DEP_2) | instskip(SKIP_1) | instid1(VALU_DEP_1)
	v_fma_f32 v13, 0xbfb8aa3b, v9, -v10
	v_rndne_f32_e32 v15, v10
	v_dual_fmac_f32 v13, 0xb2a5705f, v9 :: v_dual_sub_f32 v10, v10, v15
	s_delay_alu instid0(VALU_DEP_1) | instskip(SKIP_1) | instid1(VALU_DEP_2)
	v_add_f32_e32 v10, v10, v13
	v_cvt_i32_f32_e32 v13, v15
	v_exp_f32_e32 v10, v10
	s_waitcnt_depctr 0xfff
	v_ldexp_f32 v10, v10, v13
	s_delay_alu instid0(VALU_DEP_1) | instskip(SKIP_1) | instid1(VALU_DEP_2)
	v_cndmask_b32_e32 v10, 0, v10, vcc_lo
	v_cmp_ngt_f32_e32 vcc_lo, 0xc2b17218, v9
	v_cndmask_b32_e32 v9, 0x7f800000, v10, vcc_lo
	s_delay_alu instid0(VALU_DEP_1) | instskip(NEXT) | instid1(VALU_DEP_1)
	v_add_f32_e32 v9, 1.0, v9
	v_div_scale_f32 v10, null, v9, v9, 1.0
	v_div_scale_f32 v16, vcc_lo, 1.0, v9, 1.0
	s_delay_alu instid0(VALU_DEP_2) | instskip(SKIP_2) | instid1(VALU_DEP_1)
	v_rcp_f32_e32 v13, v10
	s_waitcnt_depctr 0xfff
	v_fma_f32 v15, -v10, v13, 1.0
	v_fmac_f32_e32 v13, v15, v13
	s_delay_alu instid0(VALU_DEP_1) | instskip(NEXT) | instid1(VALU_DEP_1)
	v_mul_f32_e32 v15, v16, v13
	v_fma_f32 v17, -v10, v15, v16
	s_delay_alu instid0(VALU_DEP_1) | instskip(NEXT) | instid1(VALU_DEP_1)
	v_fmac_f32_e32 v15, v17, v13
	v_fma_f32 v10, -v10, v15, v16
	s_delay_alu instid0(VALU_DEP_1) | instskip(NEXT) | instid1(VALU_DEP_1)
	v_div_fmas_f32 v10, v10, v13, v15
	v_div_fixup_f32 v9, v10, v9, 1.0
	global_store_b32 v[7:8], v9, off offset:4
	global_load_b32 v9, v[5:6], off offset:24
	s_waitcnt vmcnt(0)
	v_mul_f32_e32 v10, 0xbfb8aa3b, v9
	v_cmp_nlt_f32_e32 vcc_lo, 0x42ce8ed0, v9
	s_delay_alu instid0(VALU_DEP_2) | instskip(SKIP_1) | instid1(VALU_DEP_1)
	v_fma_f32 v13, 0xbfb8aa3b, v9, -v10
	v_rndne_f32_e32 v15, v10
	v_dual_fmac_f32 v13, 0xb2a5705f, v9 :: v_dual_sub_f32 v10, v10, v15
	s_delay_alu instid0(VALU_DEP_1) | instskip(SKIP_1) | instid1(VALU_DEP_2)
	v_add_f32_e32 v10, v10, v13
	v_cvt_i32_f32_e32 v13, v15
	v_exp_f32_e32 v10, v10
	s_waitcnt_depctr 0xfff
	v_ldexp_f32 v10, v10, v13
	s_delay_alu instid0(VALU_DEP_1) | instskip(SKIP_1) | instid1(VALU_DEP_2)
	v_cndmask_b32_e32 v10, 0, v10, vcc_lo
	v_cmp_ngt_f32_e32 vcc_lo, 0xc2b17218, v9
	v_cndmask_b32_e32 v9, 0x7f800000, v10, vcc_lo
	s_delay_alu instid0(VALU_DEP_1) | instskip(NEXT) | instid1(VALU_DEP_1)
	v_add_f32_e32 v9, 1.0, v9
	v_div_scale_f32 v10, null, v9, v9, 1.0
	v_div_scale_f32 v16, vcc_lo, 1.0, v9, 1.0
	s_delay_alu instid0(VALU_DEP_2) | instskip(SKIP_2) | instid1(VALU_DEP_1)
	v_rcp_f32_e32 v13, v10
	s_waitcnt_depctr 0xfff
	v_fma_f32 v15, -v10, v13, 1.0
	v_fmac_f32_e32 v13, v15, v13
	s_delay_alu instid0(VALU_DEP_1) | instskip(NEXT) | instid1(VALU_DEP_1)
	v_mul_f32_e32 v15, v16, v13
	v_fma_f32 v17, -v10, v15, v16
	s_delay_alu instid0(VALU_DEP_1) | instskip(NEXT) | instid1(VALU_DEP_1)
	v_fmac_f32_e32 v15, v17, v13
	v_fma_f32 v10, -v10, v15, v16
	s_delay_alu instid0(VALU_DEP_1) | instskip(NEXT) | instid1(VALU_DEP_1)
	v_div_fmas_f32 v10, v10, v13, v15
	v_div_fixup_f32 v9, v10, v9, 1.0
	global_store_b32 v[7:8], v9, off offset:8
	global_load_b32 v5, v[5:6], off offset:28
	s_waitcnt vmcnt(0)
	v_mul_f32_e32 v6, 0xbfb8aa3b, v5
	v_cmp_nlt_f32_e32 vcc_lo, 0x42ce8ed0, v5
	s_delay_alu instid0(VALU_DEP_2) | instskip(SKIP_1) | instid1(VALU_DEP_1)
	v_fma_f32 v9, 0xbfb8aa3b, v5, -v6
	v_rndne_f32_e32 v10, v6
	v_dual_fmac_f32 v9, 0xb2a5705f, v5 :: v_dual_sub_f32 v6, v6, v10
	s_delay_alu instid0(VALU_DEP_1) | instskip(SKIP_1) | instid1(VALU_DEP_2)
	v_add_f32_e32 v6, v6, v9
	v_cvt_i32_f32_e32 v9, v10
	v_exp_f32_e32 v6, v6
	s_waitcnt_depctr 0xfff
	v_ldexp_f32 v6, v6, v9
	s_delay_alu instid0(VALU_DEP_1) | instskip(SKIP_1) | instid1(VALU_DEP_2)
	v_cndmask_b32_e32 v6, 0, v6, vcc_lo
	v_cmp_ngt_f32_e32 vcc_lo, 0xc2b17218, v5
	v_cndmask_b32_e32 v5, 0x7f800000, v6, vcc_lo
	s_delay_alu instid0(VALU_DEP_1) | instskip(NEXT) | instid1(VALU_DEP_1)
	v_add_f32_e32 v5, 1.0, v5
	v_div_scale_f32 v6, null, v5, v5, 1.0
	v_div_scale_f32 v13, vcc_lo, 1.0, v5, 1.0
	s_delay_alu instid0(VALU_DEP_2) | instskip(SKIP_2) | instid1(VALU_DEP_1)
	v_rcp_f32_e32 v9, v6
	s_waitcnt_depctr 0xfff
	v_fma_f32 v10, -v6, v9, 1.0
	v_fmac_f32_e32 v9, v10, v9
	s_delay_alu instid0(VALU_DEP_1) | instskip(NEXT) | instid1(VALU_DEP_1)
	v_mul_f32_e32 v10, v13, v9
	v_fma_f32 v15, -v6, v10, v13
	s_delay_alu instid0(VALU_DEP_1) | instskip(SKIP_1) | instid1(VALU_DEP_2)
	v_fmac_f32_e32 v10, v15, v9
	v_cndmask_b32_e64 v15, v0, v1, s3
	v_fma_f32 v6, -v6, v10, v13
	s_delay_alu instid0(VALU_DEP_2) | instskip(NEXT) | instid1(VALU_DEP_2)
	v_cmp_lt_f32_e64 s2, v15, v2
	v_div_fmas_f32 v6, v6, v9, v10
	s_delay_alu instid0(VALU_DEP_2) | instskip(SKIP_1) | instid1(VALU_DEP_3)
	v_cndmask_b32_e64 v13, v15, v2, s2
	v_mov_b32_e32 v15, 0
	v_div_fixup_f32 v5, v6, v5, 1.0
	s_delay_alu instid0(VALU_DEP_3)
	v_cmp_lt_f32_e32 vcc_lo, v13, v3
	global_store_b32 v[7:8], v5, off offset:12
	v_cndmask_b32_e32 v13, v13, v3, vcc_lo
	s_cbranch_scc1 .LBB28_8
; %bb.5:
	v_cndmask_b32_e64 v8, 0, 1, s3
	s_delay_alu instid0(VALU_DEP_2)
	v_sub_f32_e32 v20, v13, v13
	v_mul_lo_u32 v6, v14, s8
	s_load_b128 s[8:11], s[0:1], 0x20
	v_ashrrev_i32_e32 v5, 31, v4
	v_cndmask_b32_e64 v8, v8, 2, s2
	v_mul_lo_u32 v15, v14, s4
	s_delay_alu instid0(VALU_DEP_3) | instskip(NEXT) | instid1(VALU_DEP_3)
	v_lshlrev_b64 v[9:10], 2, v[4:5]
	v_cndmask_b32_e64 v21, v8, 3, vcc_lo
	s_delay_alu instid0(VALU_DEP_3) | instskip(NEXT) | instid1(VALU_DEP_2)
	v_ashrrev_i32_e32 v16, 31, v15
	v_subrev_nc_u32_e32 v22, s5, v21
	v_mul_f32_e32 v7, 0x3fb8aa3b, v20
	v_add_co_u32 v9, vcc_lo, s12, v9
	v_add_co_ci_u32_e32 v10, vcc_lo, s13, v10, vcc_lo
	s_delay_alu instid0(VALU_DEP_3) | instskip(SKIP_4) | instid1(VALU_DEP_4)
	v_rndne_f32_e32 v17, v7
	v_fma_f32 v18, 0x3fb8aa3b, v20, -v7
	v_cmp_le_i32_e32 vcc_lo, s5, v21
	v_cmp_gt_i32_e64 s0, s6, v21
	v_cmp_ne_u32_e64 s1, 3, v21
	v_dual_sub_f32 v19, v7, v17 :: v_dual_fmac_f32 v18, 0x32a5705f, v20
	v_ashrrev_i32_e32 v7, 31, v6
	s_delay_alu instid0(VALU_DEP_4) | instskip(NEXT) | instid1(VALU_DEP_3)
	s_and_b32 s0, vcc_lo, s0
	v_cndmask_b32_e64 v3, 0xff800000, v3, s1
	s_delay_alu instid0(VALU_DEP_3) | instskip(NEXT) | instid1(VALU_DEP_1)
	v_add_f32_e32 v5, v19, v18
	v_exp_f32_e32 v18, v5
	v_lshlrev_b64 v[5:6], 2, v[6:7]
	v_lshlrev_b64 v[7:8], 2, v[15:16]
	v_cvt_i32_f32_e32 v15, v17
	s_waitcnt lgkmcnt(0)
	s_delay_alu instid0(VALU_DEP_3) | instskip(NEXT) | instid1(VALU_DEP_4)
	v_add_co_u32 v16, vcc_lo, s8, v5
	v_add_co_ci_u32_e32 v17, vcc_lo, s9, v6, vcc_lo
	s_waitcnt_depctr 0xfff
	v_ldexp_f32 v15, v18, v15
	v_cmp_ngt_f32_e32 vcc_lo, 0xc2ce8ed0, v20
	s_delay_alu instid0(VALU_DEP_2)
	v_cndmask_b32_e32 v15, 0, v15, vcc_lo
	v_add_co_u32 v18, vcc_lo, s10, v7
	v_add_co_ci_u32_e32 v19, vcc_lo, s11, v8, vcc_lo
	s_and_b32 vcc_lo, s15, s0
	s_cmp_eq_u32 s4, 1
	v_cndmask_b32_e32 v22, 4, v22, vcc_lo
	v_cmp_nlt_f32_e32 vcc_lo, 0x42b17218, v20
	v_cndmask_b32_e32 v15, 0x7f800000, v15, vcc_lo
	v_cmp_ne_u32_e32 vcc_lo, 2, v21
	global_store_b32 v[9:10], v15, off
	v_cndmask_b32_e32 v2, 0xff800000, v2, vcc_lo
	v_cmp_ne_u32_e32 vcc_lo, 1, v21
	global_store_b32 v[16:17], v22, off
	global_store_b32 v[18:19], v14, off
	v_cndmask_b32_e32 v1, 0xff800000, v1, vcc_lo
	v_cmp_ne_u32_e32 vcc_lo, 0, v21
	v_cndmask_b32_e32 v0, 0xff800000, v0, vcc_lo
	s_cbranch_scc1 .LBB28_8
; %bb.6:
	v_add_co_u32 v7, vcc_lo, v7, s10
	v_add_co_ci_u32_e32 v8, vcc_lo, s11, v8, vcc_lo
	v_add_co_u32 v14, vcc_lo, v5, s8
	v_add_co_ci_u32_e32 v16, vcc_lo, s9, v6, vcc_lo
	s_delay_alu instid0(VALU_DEP_4) | instskip(NEXT) | instid1(VALU_DEP_4)
	v_add_co_u32 v5, vcc_lo, v7, 4
	v_add_co_ci_u32_e32 v6, vcc_lo, 0, v8, vcc_lo
	s_delay_alu instid0(VALU_DEP_4) | instskip(NEXT) | instid1(VALU_DEP_4)
	v_add_co_u32 v7, vcc_lo, v14, 4
	v_add_co_ci_u32_e32 v8, vcc_lo, 0, v16, vcc_lo
	s_add_i32 s16, s16, s14
	v_add_co_u32 v9, vcc_lo, v9, 4
	v_add_co_ci_u32_e32 v10, vcc_lo, 0, v10, vcc_lo
	v_add3_u32 v11, s16, v12, v11
	s_add_i32 s2, s4, -1
.LBB28_7:                               ; =>This Inner Loop Header: Depth=1
	v_cmp_gt_f32_e32 vcc_lo, v1, v0
	s_add_i32 s2, s2, -1
	v_cndmask_b32_e32 v12, v0, v1, vcc_lo
	v_cndmask_b32_e64 v14, 0, 1, vcc_lo
	s_delay_alu instid0(VALU_DEP_2) | instskip(SKIP_1) | instid1(VALU_DEP_3)
	v_cmp_gt_f32_e32 vcc_lo, v2, v12
	v_cndmask_b32_e32 v12, v12, v2, vcc_lo
	v_cndmask_b32_e64 v14, v14, 2, vcc_lo
	s_delay_alu instid0(VALU_DEP_2) | instskip(NEXT) | instid1(VALU_DEP_2)
	v_cmp_gt_f32_e32 vcc_lo, v3, v12
	v_cndmask_b32_e64 v14, v14, 3, vcc_lo
	v_cndmask_b32_e32 v12, v12, v3, vcc_lo
	s_delay_alu instid0(VALU_DEP_2) | instskip(NEXT) | instid1(VALU_DEP_2)
	v_cmp_ne_u32_e64 s1, 3, v14
	v_sub_f32_e32 v12, v12, v13
	v_cmp_le_i32_e32 vcc_lo, s5, v14
	v_cmp_gt_i32_e64 s0, s6, v14
	v_subrev_nc_u32_e32 v17, s5, v14
	v_cndmask_b32_e64 v3, 0xff800000, v3, s1
	v_cmp_ne_u32_e64 s1, 2, v14
	v_mul_f32_e32 v16, 0x3fb8aa3b, v12
	s_and_b32 s0, vcc_lo, s0
	s_delay_alu instid0(SALU_CYCLE_1) | instskip(NEXT) | instid1(VALU_DEP_2)
	s_and_b32 vcc_lo, s15, s0
	v_cndmask_b32_e64 v2, 0xff800000, v2, s1
	v_cndmask_b32_e32 v17, 4, v17, vcc_lo
	v_cmp_ne_u32_e64 s1, 1, v14
	v_rndne_f32_e32 v18, v16
	global_store_b32 v[7:8], v17, off
	global_store_b32 v[5:6], v11, off
	v_cndmask_b32_e64 v1, 0xff800000, v1, s1
	v_cmp_ne_u32_e64 s1, 0, v14
	v_fma_f32 v14, 0x3fb8aa3b, v12, -v16
	v_sub_f32_e32 v16, v16, v18
	v_add_co_u32 v5, vcc_lo, v5, 4
	v_cvt_i32_f32_e32 v18, v18
	s_delay_alu instid0(VALU_DEP_4) | instskip(SKIP_2) | instid1(VALU_DEP_3)
	v_fmac_f32_e32 v14, 0x32a5705f, v12
	v_add_co_ci_u32_e32 v6, vcc_lo, 0, v6, vcc_lo
	v_add_co_u32 v7, vcc_lo, v7, 4
	v_add_f32_e32 v14, v16, v14
	v_add_co_ci_u32_e32 v8, vcc_lo, 0, v8, vcc_lo
	v_cmp_ngt_f32_e32 vcc_lo, 0xc2ce8ed0, v12
	v_cndmask_b32_e64 v0, 0xff800000, v0, s1
	s_delay_alu instid0(VALU_DEP_4) | instskip(SKIP_4) | instid1(VALU_DEP_1)
	v_exp_f32_e32 v14, v14
	v_add_nc_u32_e32 v11, s14, v11
	s_cmp_eq_u32 s2, 0
	s_waitcnt_depctr 0xfff
	v_ldexp_f32 v14, v14, v18
	v_cndmask_b32_e32 v14, 0, v14, vcc_lo
	v_cmp_nlt_f32_e32 vcc_lo, 0x42b17218, v12
	s_delay_alu instid0(VALU_DEP_2) | instskip(NEXT) | instid1(VALU_DEP_1)
	v_cndmask_b32_e32 v12, 0x7f800000, v14, vcc_lo
	v_add_f32_e32 v15, v15, v12
	global_store_b32 v[9:10], v12, off
	v_add_co_u32 v9, vcc_lo, v9, 4
	v_add_co_ci_u32_e32 v10, vcc_lo, 0, v10, vcc_lo
	s_cbranch_scc0 .LBB28_7
.LBB28_8:
	s_delay_alu instid0(VALU_DEP_1) | instskip(NEXT) | instid1(VALU_DEP_2)
	v_sub_f32_e32 v2, v2, v13
	v_sub_f32_e32 v0, v0, v13
	;; [unrolled: 1-line block ×4, first 2 shown]
	s_delay_alu instid0(VALU_DEP_4) | instskip(NEXT) | instid1(VALU_DEP_3)
	v_mul_f32_e32 v7, 0x3fb8aa3b, v2
	v_dual_mul_f32 v5, 0x3fb8aa3b, v0 :: v_dual_mul_f32 v8, 0x3fb8aa3b, v3
	v_cmp_ngt_f32_e32 vcc_lo, 0xc2ce8ed0, v0
	s_delay_alu instid0(VALU_DEP_3) | instskip(NEXT) | instid1(VALU_DEP_3)
	v_fma_f32 v13, 0x3fb8aa3b, v2, -v7
	v_rndne_f32_e32 v10, v5
	v_mul_f32_e32 v6, 0x3fb8aa3b, v1
	v_fma_f32 v9, 0x3fb8aa3b, v0, -v5
	v_rndne_f32_e32 v17, v8
	v_fmac_f32_e32 v13, 0x32a5705f, v2
	v_sub_f32_e32 v5, v5, v10
	v_rndne_f32_e32 v12, v6
	v_fma_f32 v11, 0x3fb8aa3b, v1, -v6
	v_rndne_f32_e32 v14, v7
	s_delay_alu instid0(VALU_DEP_3) | instskip(SKIP_2) | instid1(VALU_DEP_2)
	v_sub_f32_e32 v6, v6, v12
	v_fma_f32 v16, 0x3fb8aa3b, v3, -v8
	v_sub_f32_e32 v8, v8, v17
	v_dual_fmac_f32 v11, 0x32a5705f, v1 :: v_dual_fmac_f32 v16, 0x32a5705f, v3
	s_delay_alu instid0(VALU_DEP_1) | instskip(SKIP_1) | instid1(VALU_DEP_2)
	v_dual_fmac_f32 v9, 0x32a5705f, v0 :: v_dual_add_f32 v6, v6, v11
	v_cvt_i32_f32_e32 v11, v14
	v_dual_add_f32 v8, v8, v16 :: v_dual_add_f32 v5, v5, v9
	s_delay_alu instid0(VALU_DEP_3) | instskip(SKIP_2) | instid1(VALU_DEP_3)
	v_exp_f32_e32 v6, v6
	v_cvt_i32_f32_e32 v9, v10
	v_cvt_i32_f32_e32 v10, v12
	v_exp_f32_e32 v8, v8
	v_exp_f32_e32 v5, v5
	s_delay_alu instid0(TRANS32_DEP_3) | instid1(VALU_DEP_1)
	v_ldexp_f32 v6, v6, v10
	s_waitcnt_depctr 0xfff
	v_ldexp_f32 v5, v5, v9
	v_cvt_i32_f32_e32 v9, v17
	s_delay_alu instid0(VALU_DEP_2) | instskip(SKIP_3) | instid1(VALU_DEP_4)
	v_cndmask_b32_e32 v5, 0, v5, vcc_lo
	v_cmp_ngt_f32_e32 vcc_lo, 0xc2ce8ed0, v1
	v_cndmask_b32_e32 v6, 0, v6, vcc_lo
	v_cmp_nlt_f32_e32 vcc_lo, 0x42b17218, v0
	v_dual_sub_f32 v7, v7, v14 :: v_dual_cndmask_b32 v0, 0x7f800000, v5
	v_cmp_nlt_f32_e32 vcc_lo, 0x42b17218, v1
	s_delay_alu instid0(VALU_DEP_4) | instskip(SKIP_1) | instid1(VALU_DEP_4)
	v_cndmask_b32_e32 v1, 0x7f800000, v6, vcc_lo
	v_ldexp_f32 v6, v8, v9
	v_add_f32_e32 v7, v7, v13
	v_cmp_ngt_f32_e32 vcc_lo, 0xc2ce8ed0, v2
	s_delay_alu instid0(VALU_DEP_4) | instskip(NEXT) | instid1(VALU_DEP_3)
	v_add_f32_e32 v0, v0, v1
	v_exp_f32_e32 v7, v7
	s_waitcnt_depctr 0xfff
	v_ldexp_f32 v7, v7, v11
	s_delay_alu instid0(VALU_DEP_1) | instskip(SKIP_1) | instid1(VALU_DEP_2)
	v_cndmask_b32_e32 v5, 0, v7, vcc_lo
	v_cmp_nlt_f32_e32 vcc_lo, 0x42b17218, v2
	v_cndmask_b32_e32 v1, 0x7f800000, v5, vcc_lo
	v_cmp_ngt_f32_e32 vcc_lo, 0xc2ce8ed0, v3
	v_cndmask_b32_e32 v2, 0, v6, vcc_lo
	v_cmp_nlt_f32_e32 vcc_lo, 0x42b17218, v3
	s_delay_alu instid0(VALU_DEP_2) | instskip(NEXT) | instid1(VALU_DEP_1)
	v_dual_add_f32 v0, v0, v1 :: v_dual_cndmask_b32 v1, 0x7f800000, v2
	v_add_f32_e32 v0, v0, v1
	s_delay_alu instid0(VALU_DEP_1) | instskip(NEXT) | instid1(VALU_DEP_1)
	v_add_f32_e32 v0, v15, v0
	v_cmp_neq_f32_e32 vcc_lo, 0, v0
	s_and_b32 exec_lo, exec_lo, vcc_lo
	s_cbranch_execz .LBB28_12
; %bb.9:
	s_and_not1_b32 vcc_lo, exec_lo, s7
	s_cbranch_vccnz .LBB28_12
; %bb.10:
	v_div_scale_f32 v1, null, v0, v0, 1.0
	v_div_scale_f32 v5, vcc_lo, 1.0, v0, 1.0
	s_delay_alu instid0(VALU_DEP_2) | instskip(SKIP_2) | instid1(VALU_DEP_1)
	v_rcp_f32_e32 v2, v1
	s_waitcnt_depctr 0xfff
	v_fma_f32 v3, -v1, v2, 1.0
	v_fmac_f32_e32 v2, v3, v2
	s_delay_alu instid0(VALU_DEP_1) | instskip(NEXT) | instid1(VALU_DEP_1)
	v_mul_f32_e32 v3, v5, v2
	v_fma_f32 v6, -v1, v3, v5
	s_delay_alu instid0(VALU_DEP_1) | instskip(NEXT) | instid1(VALU_DEP_1)
	v_fmac_f32_e32 v3, v6, v2
	v_fma_f32 v1, -v1, v3, v5
	v_ashrrev_i32_e32 v5, 31, v4
	s_delay_alu instid0(VALU_DEP_2) | instskip(NEXT) | instid1(VALU_DEP_2)
	v_div_fmas_f32 v1, v1, v2, v3
	v_lshlrev_b64 v[3:4], 2, v[4:5]
	s_delay_alu instid0(VALU_DEP_2) | instskip(NEXT) | instid1(VALU_DEP_2)
	v_div_fixup_f32 v2, v1, v0, 1.0
	v_add_co_u32 v0, vcc_lo, s12, v3
	s_delay_alu instid0(VALU_DEP_3)
	v_add_co_ci_u32_e32 v1, vcc_lo, s13, v4, vcc_lo
.LBB28_11:                              ; =>This Inner Loop Header: Depth=1
	global_load_b32 v3, v[0:1], off
	s_add_i32 s4, s4, -1
	s_delay_alu instid0(SALU_CYCLE_1)
	s_cmp_lg_u32 s4, 0
	s_waitcnt vmcnt(0)
	v_mul_f32_e32 v3, v2, v3
	global_store_b32 v[0:1], v3, off
	v_add_co_u32 v0, vcc_lo, v0, 4
	v_add_co_ci_u32_e32 v1, vcc_lo, 0, v1, vcc_lo
	s_cbranch_scc1 .LBB28_11
.LBB28_12:
	s_nop 0
	s_sendmsg sendmsg(MSG_DEALLOC_VGPRS)
	s_endpgm
	.section	.rodata,"a",@progbits
	.p2align	6, 0x0
	.amdhsa_kernel _ZN4vllm3moe17topkGatingSoftmaxIfLi4ELi4ELi8ELi16ELb0ELi4ELNS0_23SharedExpertScoringFuncE1EEEvPKT_PKbPfiPiS9_iiiiii
		.amdhsa_group_segment_fixed_size 0
		.amdhsa_private_segment_fixed_size 0
		.amdhsa_kernarg_size 72
		.amdhsa_user_sgpr_count 15
		.amdhsa_user_sgpr_dispatch_ptr 0
		.amdhsa_user_sgpr_queue_ptr 0
		.amdhsa_user_sgpr_kernarg_segment_ptr 1
		.amdhsa_user_sgpr_dispatch_id 0
		.amdhsa_user_sgpr_private_segment_size 0
		.amdhsa_wavefront_size32 1
		.amdhsa_uses_dynamic_stack 0
		.amdhsa_enable_private_segment 0
		.amdhsa_system_sgpr_workgroup_id_x 1
		.amdhsa_system_sgpr_workgroup_id_y 0
		.amdhsa_system_sgpr_workgroup_id_z 0
		.amdhsa_system_sgpr_workgroup_info 0
		.amdhsa_system_vgpr_workitem_id 1
		.amdhsa_next_free_vgpr 23
		.amdhsa_next_free_sgpr 17
		.amdhsa_reserve_vcc 1
		.amdhsa_float_round_mode_32 0
		.amdhsa_float_round_mode_16_64 0
		.amdhsa_float_denorm_mode_32 3
		.amdhsa_float_denorm_mode_16_64 3
		.amdhsa_dx10_clamp 1
		.amdhsa_ieee_mode 1
		.amdhsa_fp16_overflow 0
		.amdhsa_workgroup_processor_mode 1
		.amdhsa_memory_ordered 1
		.amdhsa_forward_progress 0
		.amdhsa_shared_vgpr_count 0
		.amdhsa_exception_fp_ieee_invalid_op 0
		.amdhsa_exception_fp_denorm_src 0
		.amdhsa_exception_fp_ieee_div_zero 0
		.amdhsa_exception_fp_ieee_overflow 0
		.amdhsa_exception_fp_ieee_underflow 0
		.amdhsa_exception_fp_ieee_inexact 0
		.amdhsa_exception_int_div_zero 0
	.end_amdhsa_kernel
	.section	.text._ZN4vllm3moe17topkGatingSoftmaxIfLi4ELi4ELi8ELi16ELb0ELi4ELNS0_23SharedExpertScoringFuncE1EEEvPKT_PKbPfiPiS9_iiiiii,"axG",@progbits,_ZN4vllm3moe17topkGatingSoftmaxIfLi4ELi4ELi8ELi16ELb0ELi4ELNS0_23SharedExpertScoringFuncE1EEEvPKT_PKbPfiPiS9_iiiiii,comdat
.Lfunc_end28:
	.size	_ZN4vllm3moe17topkGatingSoftmaxIfLi4ELi4ELi8ELi16ELb0ELi4ELNS0_23SharedExpertScoringFuncE1EEEvPKT_PKbPfiPiS9_iiiiii, .Lfunc_end28-_ZN4vllm3moe17topkGatingSoftmaxIfLi4ELi4ELi8ELi16ELb0ELi4ELNS0_23SharedExpertScoringFuncE1EEEvPKT_PKbPfiPiS9_iiiiii
                                        ; -- End function
	.section	.AMDGPU.csdata,"",@progbits
; Kernel info:
; codeLenInByte = 2664
; NumSgprs: 19
; NumVgprs: 23
; ScratchSize: 0
; MemoryBound: 0
; FloatMode: 240
; IeeeMode: 1
; LDSByteSize: 0 bytes/workgroup (compile time only)
; SGPRBlocks: 2
; VGPRBlocks: 2
; NumSGPRsForWavesPerEU: 19
; NumVGPRsForWavesPerEU: 23
; Occupancy: 16
; WaveLimiterHint : 0
; COMPUTE_PGM_RSRC2:SCRATCH_EN: 0
; COMPUTE_PGM_RSRC2:USER_SGPR: 15
; COMPUTE_PGM_RSRC2:TRAP_HANDLER: 0
; COMPUTE_PGM_RSRC2:TGID_X_EN: 1
; COMPUTE_PGM_RSRC2:TGID_Y_EN: 0
; COMPUTE_PGM_RSRC2:TGID_Z_EN: 0
; COMPUTE_PGM_RSRC2:TIDIG_COMP_CNT: 1
	.section	.text._ZN4vllm3moe17topkGatingSoftmaxIfLi4ELi4ELi8ELi16ELb1ELi8ELNS0_23SharedExpertScoringFuncE1EEEvPKT_PKbPfiPiS9_iiiiii,"axG",@progbits,_ZN4vllm3moe17topkGatingSoftmaxIfLi4ELi4ELi8ELi16ELb1ELi8ELNS0_23SharedExpertScoringFuncE1EEEvPKT_PKbPfiPiS9_iiiiii,comdat
	.protected	_ZN4vllm3moe17topkGatingSoftmaxIfLi4ELi4ELi8ELi16ELb1ELi8ELNS0_23SharedExpertScoringFuncE1EEEvPKT_PKbPfiPiS9_iiiiii ; -- Begin function _ZN4vllm3moe17topkGatingSoftmaxIfLi4ELi4ELi8ELi16ELb1ELi8ELNS0_23SharedExpertScoringFuncE1EEEvPKT_PKbPfiPiS9_iiiiii
	.globl	_ZN4vllm3moe17topkGatingSoftmaxIfLi4ELi4ELi8ELi16ELb1ELi8ELNS0_23SharedExpertScoringFuncE1EEEvPKT_PKbPfiPiS9_iiiiii
	.p2align	8
	.type	_ZN4vllm3moe17topkGatingSoftmaxIfLi4ELi4ELi8ELi16ELb1ELi8ELNS0_23SharedExpertScoringFuncE1EEEvPKT_PKbPfiPiS9_iiiiii,@function
_ZN4vllm3moe17topkGatingSoftmaxIfLi4ELi4ELi8ELi16ELb1ELi8ELNS0_23SharedExpertScoringFuncE1EEEvPKT_PKbPfiPiS9_iiiiii: ; @_ZN4vllm3moe17topkGatingSoftmaxIfLi4ELi4ELi8ELi16ELb1ELi8ELNS0_23SharedExpertScoringFuncE1EEEvPKT_PKbPfiPiS9_iiiiii
; %bb.0:
	s_load_b32 s12, s[0:1], 0x18
	v_bfe_u32 v1, v0, 10, 10
	v_and_b32_e32 v12, 0x3ff, v0
	s_lshl_b32 s14, s15, 8
	s_mov_b32 s2, exec_lo
	s_delay_alu instid0(VALU_DEP_2) | instskip(NEXT) | instid1(VALU_DEP_1)
	v_lshlrev_b32_e32 v11, 5, v1
	v_add3_u32 v13, v11, v12, s14
	s_waitcnt lgkmcnt(0)
	s_delay_alu instid0(VALU_DEP_1)
	v_cmpx_gt_i32_e64 s12, v13
	s_cbranch_execz .LBB29_12
; %bb.1:
	s_clause 0x1
	s_load_b128 s[4:7], s[0:1], 0x0
	s_load_b64 s[2:3], s[0:1], 0x10
	s_waitcnt lgkmcnt(0)
	s_cmp_eq_u64 s[6:7], 0
	s_cbranch_scc1 .LBB29_3
; %bb.2:
	v_ashrrev_i32_e32 v1, 31, v13
	v_add_co_u32 v0, vcc_lo, s6, v13
	s_delay_alu instid0(VALU_DEP_2) | instskip(SKIP_3) | instid1(VALU_DEP_1)
	v_add_co_ci_u32_e32 v1, vcc_lo, s7, v1, vcc_lo
	global_load_u8 v0, v[0:1], off
	s_waitcnt vmcnt(0)
	v_and_b32_e32 v0, 1, v0
	v_cmp_eq_u32_e32 vcc_lo, 1, v0
	s_xor_b32 s6, vcc_lo, -1
	s_delay_alu instid0(SALU_CYCLE_1)
	s_or_not1_b32 s13, s6, exec_lo
	s_branch .LBB29_4
.LBB29_3:
	s_mov_b32 s13, -1
.LBB29_4:
	s_load_b64 s[8:9], s[0:1], 0x40
	s_waitcnt lgkmcnt(0)
	v_mul_lo_u32 v0, v13, s9
	s_delay_alu instid0(VALU_DEP_1) | instskip(NEXT) | instid1(VALU_DEP_1)
	v_ashrrev_i32_e32 v1, 31, v0
	v_lshlrev_b64 v[0:1], 2, v[0:1]
	s_delay_alu instid0(VALU_DEP_1) | instskip(NEXT) | instid1(VALU_DEP_2)
	v_add_co_u32 v5, vcc_lo, s4, v0
	v_add_co_ci_u32_e32 v6, vcc_lo, s5, v1, vcc_lo
	s_load_b128 s[4:7], s[0:1], 0x30
	s_clause 0x1
	global_load_b32 v4, v[5:6], off offset:16
	global_load_b128 v[0:3], v[5:6], off
	s_waitcnt lgkmcnt(0)
	s_cmp_gt_i32 s4, 0
	s_waitcnt vmcnt(1)
	v_mul_f32_e32 v7, 0xbfb8aa3b, v4
	v_cmp_nlt_f32_e32 vcc_lo, 0x42ce8ed0, v4
	s_delay_alu instid0(VALU_DEP_2) | instskip(SKIP_1) | instid1(VALU_DEP_1)
	v_fma_f32 v8, 0xbfb8aa3b, v4, -v7
	v_rndne_f32_e32 v9, v7
	v_dual_fmac_f32 v8, 0xb2a5705f, v4 :: v_dual_sub_f32 v7, v7, v9
	s_delay_alu instid0(VALU_DEP_1) | instskip(SKIP_1) | instid1(VALU_DEP_2)
	v_add_f32_e32 v7, v7, v8
	v_cvt_i32_f32_e32 v8, v9
	v_exp_f32_e32 v7, v7
	s_waitcnt_depctr 0xfff
	v_ldexp_f32 v7, v7, v8
	s_delay_alu instid0(VALU_DEP_1) | instskip(SKIP_1) | instid1(VALU_DEP_2)
	v_cndmask_b32_e32 v7, 0, v7, vcc_lo
	v_cmp_ngt_f32_e32 vcc_lo, 0xc2b17218, v4
	v_cndmask_b32_e32 v4, 0x7f800000, v7, vcc_lo
	s_delay_alu instid0(VALU_DEP_1) | instskip(NEXT) | instid1(VALU_DEP_1)
	v_add_f32_e32 v9, 1.0, v4
	v_div_scale_f32 v10, null, v9, v9, 1.0
	v_div_scale_f32 v15, vcc_lo, 1.0, v9, 1.0
	s_delay_alu instid0(VALU_DEP_2) | instskip(SKIP_2) | instid1(VALU_DEP_1)
	v_rcp_f32_e32 v14, v10
	s_waitcnt_depctr 0xfff
	v_fma_f32 v4, -v10, v14, 1.0
	v_fmac_f32_e32 v14, v4, v14
	v_mul_lo_u32 v4, v13, s7
	s_cselect_b32 s7, -1, 0
	s_cmp_lt_i32 s4, 1
	s_delay_alu instid0(VALU_DEP_1) | instskip(NEXT) | instid1(VALU_DEP_1)
	v_dual_mul_f32 v16, v15, v14 :: v_dual_add_nc_u32 v7, s4, v4
	v_fma_f32 v8, -v10, v16, v15
	s_delay_alu instid0(VALU_DEP_1) | instskip(NEXT) | instid1(VALU_DEP_3)
	v_fmac_f32_e32 v16, v8, v14
	v_ashrrev_i32_e32 v8, 31, v7
	s_delay_alu instid0(VALU_DEP_2) | instskip(NEXT) | instid1(VALU_DEP_2)
	v_fma_f32 v10, -v10, v16, v15
	v_lshlrev_b64 v[7:8], 2, v[7:8]
	s_delay_alu instid0(VALU_DEP_2) | instskip(NEXT) | instid1(VALU_DEP_2)
	v_div_fmas_f32 v10, v10, v14, v16
	v_add_co_u32 v7, vcc_lo, s2, v7
	s_delay_alu instid0(VALU_DEP_3) | instskip(NEXT) | instid1(VALU_DEP_3)
	v_add_co_ci_u32_e32 v8, vcc_lo, s3, v8, vcc_lo
	v_div_fixup_f32 v9, v10, v9, 1.0
	global_store_b32 v[7:8], v9, off
	global_load_b32 v9, v[5:6], off offset:20
	s_waitcnt vmcnt(0)
	v_mul_f32_e32 v10, 0xbfb8aa3b, v9
	v_cmp_nlt_f32_e32 vcc_lo, 0x42ce8ed0, v9
	s_delay_alu instid0(VALU_DEP_2) | instskip(SKIP_1) | instid1(VALU_DEP_2)
	v_fma_f32 v14, 0xbfb8aa3b, v9, -v10
	v_rndne_f32_e32 v15, v10
	v_fmac_f32_e32 v14, 0xb2a5705f, v9
	s_delay_alu instid0(VALU_DEP_2) | instskip(NEXT) | instid1(VALU_DEP_1)
	v_sub_f32_e32 v10, v10, v15
	v_add_f32_e32 v10, v10, v14
	v_cvt_i32_f32_e32 v14, v15
	s_delay_alu instid0(VALU_DEP_2) | instskip(SKIP_2) | instid1(VALU_DEP_1)
	v_exp_f32_e32 v10, v10
	s_waitcnt_depctr 0xfff
	v_ldexp_f32 v10, v10, v14
	v_cndmask_b32_e32 v10, 0, v10, vcc_lo
	v_cmp_ngt_f32_e32 vcc_lo, 0xc2b17218, v9
	s_delay_alu instid0(VALU_DEP_2) | instskip(NEXT) | instid1(VALU_DEP_1)
	v_cndmask_b32_e32 v9, 0x7f800000, v10, vcc_lo
	v_add_f32_e32 v9, 1.0, v9
	s_delay_alu instid0(VALU_DEP_1) | instskip(SKIP_1) | instid1(VALU_DEP_2)
	v_div_scale_f32 v10, null, v9, v9, 1.0
	v_div_scale_f32 v16, vcc_lo, 1.0, v9, 1.0
	v_rcp_f32_e32 v14, v10
	s_waitcnt_depctr 0xfff
	v_fma_f32 v15, -v10, v14, 1.0
	s_delay_alu instid0(VALU_DEP_1) | instskip(NEXT) | instid1(VALU_DEP_1)
	v_fmac_f32_e32 v14, v15, v14
	v_mul_f32_e32 v15, v16, v14
	s_delay_alu instid0(VALU_DEP_1) | instskip(NEXT) | instid1(VALU_DEP_1)
	v_fma_f32 v17, -v10, v15, v16
	v_fmac_f32_e32 v15, v17, v14
	s_delay_alu instid0(VALU_DEP_1) | instskip(NEXT) | instid1(VALU_DEP_1)
	v_fma_f32 v10, -v10, v15, v16
	v_div_fmas_f32 v10, v10, v14, v15
	s_delay_alu instid0(VALU_DEP_1)
	v_div_fixup_f32 v9, v10, v9, 1.0
	global_store_b32 v[7:8], v9, off offset:4
	global_load_b32 v9, v[5:6], off offset:24
	s_waitcnt vmcnt(0)
	v_mul_f32_e32 v10, 0xbfb8aa3b, v9
	v_cmp_nlt_f32_e32 vcc_lo, 0x42ce8ed0, v9
	s_delay_alu instid0(VALU_DEP_2) | instskip(SKIP_1) | instid1(VALU_DEP_2)
	v_fma_f32 v14, 0xbfb8aa3b, v9, -v10
	v_rndne_f32_e32 v15, v10
	v_fmac_f32_e32 v14, 0xb2a5705f, v9
	s_delay_alu instid0(VALU_DEP_2) | instskip(NEXT) | instid1(VALU_DEP_1)
	v_sub_f32_e32 v10, v10, v15
	v_add_f32_e32 v10, v10, v14
	v_cvt_i32_f32_e32 v14, v15
	s_delay_alu instid0(VALU_DEP_2) | instskip(SKIP_2) | instid1(VALU_DEP_1)
	v_exp_f32_e32 v10, v10
	s_waitcnt_depctr 0xfff
	v_ldexp_f32 v10, v10, v14
	v_cndmask_b32_e32 v10, 0, v10, vcc_lo
	v_cmp_ngt_f32_e32 vcc_lo, 0xc2b17218, v9
	s_delay_alu instid0(VALU_DEP_2) | instskip(NEXT) | instid1(VALU_DEP_1)
	v_cndmask_b32_e32 v9, 0x7f800000, v10, vcc_lo
	v_add_f32_e32 v9, 1.0, v9
	s_delay_alu instid0(VALU_DEP_1) | instskip(SKIP_1) | instid1(VALU_DEP_2)
	v_div_scale_f32 v10, null, v9, v9, 1.0
	v_div_scale_f32 v16, vcc_lo, 1.0, v9, 1.0
	v_rcp_f32_e32 v14, v10
	s_waitcnt_depctr 0xfff
	v_fma_f32 v15, -v10, v14, 1.0
	s_delay_alu instid0(VALU_DEP_1) | instskip(NEXT) | instid1(VALU_DEP_1)
	v_fmac_f32_e32 v14, v15, v14
	v_mul_f32_e32 v15, v16, v14
	s_delay_alu instid0(VALU_DEP_1) | instskip(NEXT) | instid1(VALU_DEP_1)
	v_fma_f32 v17, -v10, v15, v16
	v_fmac_f32_e32 v15, v17, v14
	s_delay_alu instid0(VALU_DEP_1) | instskip(NEXT) | instid1(VALU_DEP_1)
	v_fma_f32 v10, -v10, v15, v16
	v_div_fmas_f32 v10, v10, v14, v15
	s_delay_alu instid0(VALU_DEP_1)
	v_div_fixup_f32 v9, v10, v9, 1.0
	global_store_b32 v[7:8], v9, off offset:8
	;; [unrolled: 39-line block ×6, first 2 shown]
	global_load_b32 v5, v[5:6], off offset:44
	s_waitcnt vmcnt(0)
	v_mul_f32_e32 v6, 0xbfb8aa3b, v5
	v_cmp_nlt_f32_e32 vcc_lo, 0x42ce8ed0, v5
	s_delay_alu instid0(VALU_DEP_2) | instskip(SKIP_1) | instid1(VALU_DEP_1)
	v_fma_f32 v9, 0xbfb8aa3b, v5, -v6
	v_rndne_f32_e32 v10, v6
	v_dual_fmac_f32 v9, 0xb2a5705f, v5 :: v_dual_sub_f32 v6, v6, v10
	s_delay_alu instid0(VALU_DEP_1) | instskip(SKIP_1) | instid1(VALU_DEP_2)
	v_add_f32_e32 v6, v6, v9
	v_cvt_i32_f32_e32 v9, v10
	v_exp_f32_e32 v6, v6
	s_waitcnt_depctr 0xfff
	v_ldexp_f32 v6, v6, v9
	s_delay_alu instid0(VALU_DEP_1) | instskip(SKIP_1) | instid1(VALU_DEP_2)
	v_cndmask_b32_e32 v6, 0, v6, vcc_lo
	v_cmp_ngt_f32_e32 vcc_lo, 0xc2b17218, v5
	v_cndmask_b32_e32 v5, 0x7f800000, v6, vcc_lo
	s_delay_alu instid0(VALU_DEP_1) | instskip(NEXT) | instid1(VALU_DEP_1)
	v_add_f32_e32 v5, 1.0, v5
	v_div_scale_f32 v6, null, v5, v5, 1.0
	v_div_scale_f32 v14, vcc_lo, 1.0, v5, 1.0
	s_delay_alu instid0(VALU_DEP_2) | instskip(SKIP_2) | instid1(VALU_DEP_1)
	v_rcp_f32_e32 v9, v6
	s_waitcnt_depctr 0xfff
	v_fma_f32 v10, -v6, v9, 1.0
	v_fmac_f32_e32 v9, v10, v9
	s_delay_alu instid0(VALU_DEP_1) | instskip(NEXT) | instid1(VALU_DEP_1)
	v_mul_f32_e32 v10, v14, v9
	v_fma_f32 v15, -v6, v10, v14
	s_delay_alu instid0(VALU_DEP_1) | instskip(NEXT) | instid1(VALU_DEP_1)
	v_dual_fmac_f32 v10, v15, v9 :: v_dual_mov_b32 v15, 0
	v_fma_f32 v6, -v6, v10, v14
	s_delay_alu instid0(VALU_DEP_1) | instskip(NEXT) | instid1(VALU_DEP_1)
	v_div_fmas_f32 v6, v6, v9, v10
	v_div_fixup_f32 v5, v6, v5, 1.0
	global_store_b32 v[7:8], v5, off offset:28
	s_cbranch_scc1 .LBB29_8
; %bb.5:
	v_cmp_lt_f32_e32 vcc_lo, v0, v1
	v_mul_lo_u32 v7, v13, s8
	s_load_b128 s[8:11], s[0:1], 0x20
	v_mul_lo_u32 v9, v13, s4
	v_cndmask_b32_e32 v6, v0, v1, vcc_lo
	v_cndmask_b32_e64 v5, 0, 1, vcc_lo
	s_delay_alu instid0(VALU_DEP_2) | instskip(SKIP_1) | instid1(VALU_DEP_3)
	v_cmp_lt_f32_e32 vcc_lo, v6, v2
	v_cndmask_b32_e32 v6, v6, v2, vcc_lo
	v_cndmask_b32_e64 v5, v5, 2, vcc_lo
	s_delay_alu instid0(VALU_DEP_2) | instskip(SKIP_1) | instid1(VALU_DEP_3)
	v_cmp_lt_f32_e32 vcc_lo, v6, v3
	v_cndmask_b32_e32 v14, v6, v3, vcc_lo
	v_cndmask_b32_e64 v18, v5, 3, vcc_lo
	s_delay_alu instid0(VALU_DEP_2) | instskip(NEXT) | instid1(VALU_DEP_2)
	v_sub_f32_e32 v15, v14, v14
	v_subrev_nc_u32_e32 v19, s5, v18
	v_cmp_gt_i32_e64 s0, s6, v18
	s_delay_alu instid0(VALU_DEP_3) | instskip(NEXT) | instid1(VALU_DEP_1)
	v_mul_f32_e32 v5, 0x3fb8aa3b, v15
	v_fma_f32 v6, 0x3fb8aa3b, v15, -v5
	v_rndne_f32_e32 v16, v5
	s_delay_alu instid0(VALU_DEP_2) | instskip(NEXT) | instid1(VALU_DEP_2)
	v_fmac_f32_e32 v6, 0x32a5705f, v15
	v_sub_f32_e32 v8, v5, v16
	v_ashrrev_i32_e32 v5, 31, v4
	v_cvt_i32_f32_e32 v16, v16
	s_delay_alu instid0(VALU_DEP_3) | instskip(NEXT) | instid1(VALU_DEP_3)
	v_add_f32_e32 v10, v8, v6
	v_lshlrev_b64 v[5:6], 2, v[4:5]
	v_ashrrev_i32_e32 v8, 31, v7
	s_delay_alu instid0(VALU_DEP_3) | instskip(SKIP_1) | instid1(VALU_DEP_3)
	v_exp_f32_e32 v17, v10
	v_ashrrev_i32_e32 v10, 31, v9
	v_add_co_u32 v5, vcc_lo, s2, v5
	s_delay_alu instid0(VALU_DEP_4) | instskip(SKIP_3) | instid1(TRANS32_DEP_1)
	v_add_co_ci_u32_e32 v6, vcc_lo, s3, v6, vcc_lo
	v_cmp_le_i32_e32 vcc_lo, s5, v18
	v_lshlrev_b64 v[7:8], 2, v[7:8]
	v_lshlrev_b64 v[9:10], 2, v[9:10]
	v_ldexp_f32 v16, v17, v16
	s_and_b32 s0, vcc_lo, s0
	v_cmp_ngt_f32_e32 vcc_lo, 0xc2ce8ed0, v15
	s_delay_alu instid0(VALU_DEP_2)
	v_cndmask_b32_e32 v20, 0, v16, vcc_lo
	s_waitcnt lgkmcnt(0)
	v_add_co_u32 v16, vcc_lo, s8, v7
	v_add_co_ci_u32_e32 v17, vcc_lo, s9, v8, vcc_lo
	s_and_b32 vcc_lo, s13, s0
	s_cmp_eq_u32 s4, 1
	v_cndmask_b32_e32 v21, 4, v19, vcc_lo
	v_cmp_nlt_f32_e32 vcc_lo, 0x42b17218, v15
	v_cndmask_b32_e32 v15, 0x7f800000, v20, vcc_lo
	v_add_co_u32 v19, vcc_lo, s10, v9
	v_add_co_ci_u32_e32 v20, vcc_lo, s11, v10, vcc_lo
	global_store_b32 v[16:17], v21, off
	global_store_b32 v[5:6], v15, off
	;; [unrolled: 1-line block ×3, first 2 shown]
	s_cbranch_scc1 .LBB29_8
; %bb.6:
	v_cmp_ne_u32_e32 vcc_lo, 3, v18
	s_add_i32 s14, s14, s12
	v_cndmask_b32_e32 v13, 0xff800000, v3, vcc_lo
	v_cmp_ne_u32_e32 vcc_lo, 2, v18
	v_cndmask_b32_e32 v16, 0xff800000, v2, vcc_lo
	v_cmp_ne_u32_e32 vcc_lo, 1, v18
	;; [unrolled: 2-line block ×3, first 2 shown]
	v_cndmask_b32_e32 v18, 0xff800000, v0, vcc_lo
	v_add_co_u32 v0, vcc_lo, v9, s10
	v_add_co_ci_u32_e32 v1, vcc_lo, s11, v10, vcc_lo
	v_add_co_u32 v2, vcc_lo, v7, s8
	v_add_co_ci_u32_e32 v3, vcc_lo, s9, v8, vcc_lo
	s_delay_alu instid0(VALU_DEP_4) | instskip(NEXT) | instid1(VALU_DEP_4)
	v_add_co_u32 v0, vcc_lo, v0, 4
	v_add_co_ci_u32_e32 v1, vcc_lo, 0, v1, vcc_lo
	s_delay_alu instid0(VALU_DEP_4) | instskip(NEXT) | instid1(VALU_DEP_4)
	v_add_co_u32 v2, vcc_lo, v2, 4
	v_add_co_ci_u32_e32 v3, vcc_lo, 0, v3, vcc_lo
	v_add_co_u32 v5, vcc_lo, v5, 4
	v_add_co_ci_u32_e32 v6, vcc_lo, 0, v6, vcc_lo
	v_add3_u32 v7, s14, v12, v11
	s_add_i32 s8, s4, -1
.LBB29_7:                               ; =>This Inner Loop Header: Depth=1
	v_cmp_gt_f32_e32 vcc_lo, v17, v18
	s_add_i32 s8, s8, -1
	v_cndmask_b32_e32 v8, v18, v17, vcc_lo
	v_cndmask_b32_e64 v9, 0, 1, vcc_lo
	s_delay_alu instid0(VALU_DEP_2) | instskip(SKIP_1) | instid1(VALU_DEP_3)
	v_cmp_gt_f32_e32 vcc_lo, v16, v8
	v_cndmask_b32_e32 v8, v8, v16, vcc_lo
	v_cndmask_b32_e64 v9, v9, 2, vcc_lo
	s_delay_alu instid0(VALU_DEP_2) | instskip(NEXT) | instid1(VALU_DEP_2)
	v_cmp_gt_f32_e32 vcc_lo, v13, v8
	v_cndmask_b32_e64 v9, v9, 3, vcc_lo
	v_cndmask_b32_e32 v8, v8, v13, vcc_lo
	s_delay_alu instid0(VALU_DEP_2) | instskip(SKIP_3) | instid1(VALU_DEP_3)
	v_cmp_le_i32_e32 vcc_lo, s5, v9
	v_cmp_gt_i32_e64 s0, s6, v9
	v_subrev_nc_u32_e32 v11, s5, v9
	v_cmp_ne_u32_e64 s1, 3, v9
	s_and_b32 s0, vcc_lo, s0
	s_delay_alu instid0(SALU_CYCLE_1) | instskip(NEXT) | instid1(VALU_DEP_1)
	s_and_b32 vcc_lo, s13, s0
	v_cndmask_b32_e64 v13, 0xff800000, v13, s1
	v_cndmask_b32_e32 v11, 4, v11, vcc_lo
	v_cmp_ne_u32_e64 s1, 2, v9
	s_cmp_eq_u32 s8, 0
	global_store_b32 v[2:3], v11, off
	global_store_b32 v[0:1], v7, off
	v_dual_sub_f32 v8, v8, v14 :: v_dual_add_nc_u32 v7, s12, v7
	v_cndmask_b32_e64 v16, 0xff800000, v16, s1
	v_cmp_ne_u32_e64 s1, 1, v9
	v_add_co_u32 v0, vcc_lo, v0, 4
	s_delay_alu instid0(VALU_DEP_4) | instskip(SKIP_1) | instid1(VALU_DEP_4)
	v_mul_f32_e32 v10, 0x3fb8aa3b, v8
	v_add_co_ci_u32_e32 v1, vcc_lo, 0, v1, vcc_lo
	v_cndmask_b32_e64 v17, 0xff800000, v17, s1
	v_cmp_ne_u32_e64 s1, 0, v9
	s_delay_alu instid0(VALU_DEP_4) | instskip(SKIP_3) | instid1(VALU_DEP_4)
	v_fma_f32 v9, 0x3fb8aa3b, v8, -v10
	v_rndne_f32_e32 v12, v10
	v_add_co_u32 v2, vcc_lo, v2, 4
	v_add_co_ci_u32_e32 v3, vcc_lo, 0, v3, vcc_lo
	v_fmac_f32_e32 v9, 0x32a5705f, v8
	s_delay_alu instid0(VALU_DEP_4) | instskip(SKIP_3) | instid1(VALU_DEP_4)
	v_sub_f32_e32 v10, v10, v12
	v_cvt_i32_f32_e32 v12, v12
	v_cmp_ngt_f32_e32 vcc_lo, 0xc2ce8ed0, v8
	v_cndmask_b32_e64 v18, 0xff800000, v18, s1
	v_add_f32_e32 v9, v10, v9
	s_delay_alu instid0(VALU_DEP_1) | instskip(SKIP_2) | instid1(VALU_DEP_1)
	v_exp_f32_e32 v9, v9
	s_waitcnt_depctr 0xfff
	v_ldexp_f32 v9, v9, v12
	v_cndmask_b32_e32 v9, 0, v9, vcc_lo
	v_cmp_nlt_f32_e32 vcc_lo, 0x42b17218, v8
	s_delay_alu instid0(VALU_DEP_2)
	v_cndmask_b32_e32 v8, 0x7f800000, v9, vcc_lo
	global_store_b32 v[5:6], v8, off
	v_add_co_u32 v5, vcc_lo, v5, 4
	v_add_f32_e32 v15, v15, v8
	v_add_co_ci_u32_e32 v6, vcc_lo, 0, v6, vcc_lo
	s_cbranch_scc0 .LBB29_7
.LBB29_8:
	s_delay_alu instid0(VALU_DEP_2)
	v_cmp_neq_f32_e32 vcc_lo, 0, v15
	s_and_b32 exec_lo, exec_lo, vcc_lo
	s_cbranch_execz .LBB29_12
; %bb.9:
	s_and_not1_b32 vcc_lo, exec_lo, s7
	s_cbranch_vccnz .LBB29_12
; %bb.10:
	v_div_scale_f32 v0, null, v15, v15, 1.0
	v_div_scale_f32 v3, vcc_lo, 1.0, v15, 1.0
	s_delay_alu instid0(VALU_DEP_2) | instskip(SKIP_2) | instid1(VALU_DEP_1)
	v_rcp_f32_e32 v1, v0
	s_waitcnt_depctr 0xfff
	v_fma_f32 v2, -v0, v1, 1.0
	v_fmac_f32_e32 v1, v2, v1
	s_delay_alu instid0(VALU_DEP_1) | instskip(NEXT) | instid1(VALU_DEP_1)
	v_mul_f32_e32 v2, v3, v1
	v_fma_f32 v5, -v0, v2, v3
	s_delay_alu instid0(VALU_DEP_1) | instskip(SKIP_1) | instid1(VALU_DEP_2)
	v_fmac_f32_e32 v2, v5, v1
	v_ashrrev_i32_e32 v5, 31, v4
	v_fma_f32 v0, -v0, v2, v3
	s_delay_alu instid0(VALU_DEP_1) | instskip(NEXT) | instid1(VALU_DEP_3)
	v_div_fmas_f32 v2, v0, v1, v2
	v_lshlrev_b64 v[0:1], 2, v[4:5]
	s_delay_alu instid0(VALU_DEP_2) | instskip(NEXT) | instid1(VALU_DEP_2)
	v_div_fixup_f32 v2, v2, v15, 1.0
	v_add_co_u32 v0, vcc_lo, s2, v0
	s_delay_alu instid0(VALU_DEP_3)
	v_add_co_ci_u32_e32 v1, vcc_lo, s3, v1, vcc_lo
.LBB29_11:                              ; =>This Inner Loop Header: Depth=1
	global_load_b32 v3, v[0:1], off
	s_add_i32 s4, s4, -1
	s_delay_alu instid0(SALU_CYCLE_1)
	s_cmp_lg_u32 s4, 0
	s_waitcnt vmcnt(0)
	v_mul_f32_e32 v3, v2, v3
	global_store_b32 v[0:1], v3, off
	v_add_co_u32 v0, vcc_lo, v0, 4
	v_add_co_ci_u32_e32 v1, vcc_lo, 0, v1, vcc_lo
	s_cbranch_scc1 .LBB29_11
.LBB29_12:
	s_nop 0
	s_sendmsg sendmsg(MSG_DEALLOC_VGPRS)
	s_endpgm
	.section	.rodata,"a",@progbits
	.p2align	6, 0x0
	.amdhsa_kernel _ZN4vllm3moe17topkGatingSoftmaxIfLi4ELi4ELi8ELi16ELb1ELi8ELNS0_23SharedExpertScoringFuncE1EEEvPKT_PKbPfiPiS9_iiiiii
		.amdhsa_group_segment_fixed_size 0
		.amdhsa_private_segment_fixed_size 0
		.amdhsa_kernarg_size 72
		.amdhsa_user_sgpr_count 15
		.amdhsa_user_sgpr_dispatch_ptr 0
		.amdhsa_user_sgpr_queue_ptr 0
		.amdhsa_user_sgpr_kernarg_segment_ptr 1
		.amdhsa_user_sgpr_dispatch_id 0
		.amdhsa_user_sgpr_private_segment_size 0
		.amdhsa_wavefront_size32 1
		.amdhsa_uses_dynamic_stack 0
		.amdhsa_enable_private_segment 0
		.amdhsa_system_sgpr_workgroup_id_x 1
		.amdhsa_system_sgpr_workgroup_id_y 0
		.amdhsa_system_sgpr_workgroup_id_z 0
		.amdhsa_system_sgpr_workgroup_info 0
		.amdhsa_system_vgpr_workitem_id 1
		.amdhsa_next_free_vgpr 22
		.amdhsa_next_free_sgpr 16
		.amdhsa_reserve_vcc 1
		.amdhsa_float_round_mode_32 0
		.amdhsa_float_round_mode_16_64 0
		.amdhsa_float_denorm_mode_32 3
		.amdhsa_float_denorm_mode_16_64 3
		.amdhsa_dx10_clamp 1
		.amdhsa_ieee_mode 1
		.amdhsa_fp16_overflow 0
		.amdhsa_workgroup_processor_mode 1
		.amdhsa_memory_ordered 1
		.amdhsa_forward_progress 0
		.amdhsa_shared_vgpr_count 0
		.amdhsa_exception_fp_ieee_invalid_op 0
		.amdhsa_exception_fp_denorm_src 0
		.amdhsa_exception_fp_ieee_div_zero 0
		.amdhsa_exception_fp_ieee_overflow 0
		.amdhsa_exception_fp_ieee_underflow 0
		.amdhsa_exception_fp_ieee_inexact 0
		.amdhsa_exception_int_div_zero 0
	.end_amdhsa_kernel
	.section	.text._ZN4vllm3moe17topkGatingSoftmaxIfLi4ELi4ELi8ELi16ELb1ELi8ELNS0_23SharedExpertScoringFuncE1EEEvPKT_PKbPfiPiS9_iiiiii,"axG",@progbits,_ZN4vllm3moe17topkGatingSoftmaxIfLi4ELi4ELi8ELi16ELb1ELi8ELNS0_23SharedExpertScoringFuncE1EEEvPKT_PKbPfiPiS9_iiiiii,comdat
.Lfunc_end29:
	.size	_ZN4vllm3moe17topkGatingSoftmaxIfLi4ELi4ELi8ELi16ELb1ELi8ELNS0_23SharedExpertScoringFuncE1EEEvPKT_PKbPfiPiS9_iiiiii, .Lfunc_end29-_ZN4vllm3moe17topkGatingSoftmaxIfLi4ELi4ELi8ELi16ELb1ELi8ELNS0_23SharedExpertScoringFuncE1EEEvPKT_PKbPfiPiS9_iiiiii
                                        ; -- End function
	.section	.AMDGPU.csdata,"",@progbits
; Kernel info:
; codeLenInByte = 3124
; NumSgprs: 18
; NumVgprs: 22
; ScratchSize: 0
; MemoryBound: 0
; FloatMode: 240
; IeeeMode: 1
; LDSByteSize: 0 bytes/workgroup (compile time only)
; SGPRBlocks: 2
; VGPRBlocks: 2
; NumSGPRsForWavesPerEU: 18
; NumVGPRsForWavesPerEU: 22
; Occupancy: 16
; WaveLimiterHint : 0
; COMPUTE_PGM_RSRC2:SCRATCH_EN: 0
; COMPUTE_PGM_RSRC2:USER_SGPR: 15
; COMPUTE_PGM_RSRC2:TRAP_HANDLER: 0
; COMPUTE_PGM_RSRC2:TGID_X_EN: 1
; COMPUTE_PGM_RSRC2:TGID_Y_EN: 0
; COMPUTE_PGM_RSRC2:TGID_Z_EN: 0
; COMPUTE_PGM_RSRC2:TIDIG_COMP_CNT: 1
	.section	.text._ZN4vllm3moe17topkGatingSoftmaxIfLi4ELi4ELi8ELi16ELb0ELi8ELNS0_23SharedExpertScoringFuncE1EEEvPKT_PKbPfiPiS9_iiiiii,"axG",@progbits,_ZN4vllm3moe17topkGatingSoftmaxIfLi4ELi4ELi8ELi16ELb0ELi8ELNS0_23SharedExpertScoringFuncE1EEEvPKT_PKbPfiPiS9_iiiiii,comdat
	.protected	_ZN4vllm3moe17topkGatingSoftmaxIfLi4ELi4ELi8ELi16ELb0ELi8ELNS0_23SharedExpertScoringFuncE1EEEvPKT_PKbPfiPiS9_iiiiii ; -- Begin function _ZN4vllm3moe17topkGatingSoftmaxIfLi4ELi4ELi8ELi16ELb0ELi8ELNS0_23SharedExpertScoringFuncE1EEEvPKT_PKbPfiPiS9_iiiiii
	.globl	_ZN4vllm3moe17topkGatingSoftmaxIfLi4ELi4ELi8ELi16ELb0ELi8ELNS0_23SharedExpertScoringFuncE1EEEvPKT_PKbPfiPiS9_iiiiii
	.p2align	8
	.type	_ZN4vllm3moe17topkGatingSoftmaxIfLi4ELi4ELi8ELi16ELb0ELi8ELNS0_23SharedExpertScoringFuncE1EEEvPKT_PKbPfiPiS9_iiiiii,@function
_ZN4vllm3moe17topkGatingSoftmaxIfLi4ELi4ELi8ELi16ELb0ELi8ELNS0_23SharedExpertScoringFuncE1EEEvPKT_PKbPfiPiS9_iiiiii: ; @_ZN4vllm3moe17topkGatingSoftmaxIfLi4ELi4ELi8ELi16ELb0ELi8ELNS0_23SharedExpertScoringFuncE1EEEvPKT_PKbPfiPiS9_iiiiii
; %bb.0:
	s_load_b32 s14, s[0:1], 0x18
	v_bfe_u32 v1, v0, 10, 10
	v_and_b32_e32 v12, 0x3ff, v0
	s_lshl_b32 s16, s15, 8
	s_mov_b32 s2, exec_lo
	s_delay_alu instid0(VALU_DEP_2) | instskip(NEXT) | instid1(VALU_DEP_1)
	v_lshlrev_b32_e32 v11, 5, v1
	v_add3_u32 v13, v11, v12, s16
	s_waitcnt lgkmcnt(0)
	s_delay_alu instid0(VALU_DEP_1)
	v_cmpx_gt_i32_e64 s14, v13
	s_cbranch_execz .LBB30_12
; %bb.1:
	s_clause 0x1
	s_load_b128 s[4:7], s[0:1], 0x0
	s_load_b64 s[12:13], s[0:1], 0x10
	s_waitcnt lgkmcnt(0)
	s_cmp_eq_u64 s[6:7], 0
	s_cbranch_scc1 .LBB30_3
; %bb.2:
	v_ashrrev_i32_e32 v1, 31, v13
	v_add_co_u32 v0, vcc_lo, s6, v13
	s_delay_alu instid0(VALU_DEP_2) | instskip(SKIP_3) | instid1(VALU_DEP_1)
	v_add_co_ci_u32_e32 v1, vcc_lo, s7, v1, vcc_lo
	global_load_u8 v0, v[0:1], off
	s_waitcnt vmcnt(0)
	v_and_b32_e32 v0, 1, v0
	v_cmp_eq_u32_e32 vcc_lo, 1, v0
	s_xor_b32 s2, vcc_lo, -1
	s_delay_alu instid0(SALU_CYCLE_1)
	s_or_not1_b32 s15, s2, exec_lo
	s_branch .LBB30_4
.LBB30_3:
	s_mov_b32 s15, -1
.LBB30_4:
	s_load_b64 s[8:9], s[0:1], 0x40
	s_waitcnt lgkmcnt(0)
	v_mul_lo_u32 v0, v13, s9
	s_delay_alu instid0(VALU_DEP_1) | instskip(NEXT) | instid1(VALU_DEP_1)
	v_ashrrev_i32_e32 v1, 31, v0
	v_lshlrev_b64 v[0:1], 2, v[0:1]
	s_delay_alu instid0(VALU_DEP_1) | instskip(NEXT) | instid1(VALU_DEP_2)
	v_add_co_u32 v5, vcc_lo, s4, v0
	v_add_co_ci_u32_e32 v6, vcc_lo, s5, v1, vcc_lo
	s_load_b128 s[4:7], s[0:1], 0x30
	s_clause 0x1
	global_load_b32 v4, v[5:6], off offset:16
	global_load_b128 v[0:3], v[5:6], off
	s_waitcnt lgkmcnt(0)
	s_cmp_gt_i32 s4, 0
	s_waitcnt vmcnt(1)
	v_mul_f32_e32 v7, 0xbfb8aa3b, v4
	v_cmp_nlt_f32_e32 vcc_lo, 0x42ce8ed0, v4
	s_waitcnt vmcnt(0)
	v_cmp_lt_f32_e64 s3, v0, v1
	s_delay_alu instid0(VALU_DEP_3) | instskip(SKIP_1) | instid1(VALU_DEP_1)
	v_fma_f32 v8, 0xbfb8aa3b, v4, -v7
	v_rndne_f32_e32 v9, v7
	v_dual_fmac_f32 v8, 0xb2a5705f, v4 :: v_dual_sub_f32 v7, v7, v9
	s_delay_alu instid0(VALU_DEP_1) | instskip(SKIP_1) | instid1(VALU_DEP_2)
	v_add_f32_e32 v7, v7, v8
	v_cvt_i32_f32_e32 v8, v9
	v_exp_f32_e32 v7, v7
	s_waitcnt_depctr 0xfff
	v_ldexp_f32 v7, v7, v8
	s_delay_alu instid0(VALU_DEP_1) | instskip(SKIP_1) | instid1(VALU_DEP_2)
	v_cndmask_b32_e32 v7, 0, v7, vcc_lo
	v_cmp_ngt_f32_e32 vcc_lo, 0xc2b17218, v4
	v_cndmask_b32_e32 v4, 0x7f800000, v7, vcc_lo
	s_delay_alu instid0(VALU_DEP_1) | instskip(NEXT) | instid1(VALU_DEP_1)
	v_add_f32_e32 v9, 1.0, v4
	v_div_scale_f32 v10, null, v9, v9, 1.0
	v_div_scale_f32 v15, vcc_lo, 1.0, v9, 1.0
	s_delay_alu instid0(VALU_DEP_2) | instskip(SKIP_2) | instid1(VALU_DEP_1)
	v_rcp_f32_e32 v14, v10
	s_waitcnt_depctr 0xfff
	v_fma_f32 v4, -v10, v14, 1.0
	v_fmac_f32_e32 v14, v4, v14
	v_mul_lo_u32 v4, v13, s7
	s_cselect_b32 s7, -1, 0
	s_cmp_lt_i32 s4, 1
	s_delay_alu instid0(VALU_DEP_1) | instskip(NEXT) | instid1(VALU_DEP_1)
	v_dual_mul_f32 v16, v15, v14 :: v_dual_add_nc_u32 v7, s4, v4
	v_fma_f32 v8, -v10, v16, v15
	s_delay_alu instid0(VALU_DEP_1) | instskip(NEXT) | instid1(VALU_DEP_3)
	v_fmac_f32_e32 v16, v8, v14
	v_ashrrev_i32_e32 v8, 31, v7
	s_delay_alu instid0(VALU_DEP_2) | instskip(NEXT) | instid1(VALU_DEP_2)
	v_fma_f32 v10, -v10, v16, v15
	v_lshlrev_b64 v[7:8], 2, v[7:8]
	s_delay_alu instid0(VALU_DEP_2) | instskip(NEXT) | instid1(VALU_DEP_2)
	v_div_fmas_f32 v10, v10, v14, v16
	v_add_co_u32 v7, vcc_lo, s12, v7
	s_delay_alu instid0(VALU_DEP_3) | instskip(NEXT) | instid1(VALU_DEP_3)
	v_add_co_ci_u32_e32 v8, vcc_lo, s13, v8, vcc_lo
	v_div_fixup_f32 v9, v10, v9, 1.0
	global_store_b32 v[7:8], v9, off
	global_load_b32 v9, v[5:6], off offset:20
	s_waitcnt vmcnt(0)
	v_mul_f32_e32 v10, 0xbfb8aa3b, v9
	v_cmp_nlt_f32_e32 vcc_lo, 0x42ce8ed0, v9
	s_delay_alu instid0(VALU_DEP_2) | instskip(SKIP_1) | instid1(VALU_DEP_2)
	v_fma_f32 v14, 0xbfb8aa3b, v9, -v10
	v_rndne_f32_e32 v15, v10
	v_fmac_f32_e32 v14, 0xb2a5705f, v9
	s_delay_alu instid0(VALU_DEP_2) | instskip(NEXT) | instid1(VALU_DEP_1)
	v_sub_f32_e32 v10, v10, v15
	v_add_f32_e32 v10, v10, v14
	v_cvt_i32_f32_e32 v14, v15
	s_delay_alu instid0(VALU_DEP_2) | instskip(SKIP_2) | instid1(VALU_DEP_1)
	v_exp_f32_e32 v10, v10
	s_waitcnt_depctr 0xfff
	v_ldexp_f32 v10, v10, v14
	v_cndmask_b32_e32 v10, 0, v10, vcc_lo
	v_cmp_ngt_f32_e32 vcc_lo, 0xc2b17218, v9
	s_delay_alu instid0(VALU_DEP_2) | instskip(NEXT) | instid1(VALU_DEP_1)
	v_cndmask_b32_e32 v9, 0x7f800000, v10, vcc_lo
	v_add_f32_e32 v9, 1.0, v9
	s_delay_alu instid0(VALU_DEP_1) | instskip(SKIP_1) | instid1(VALU_DEP_2)
	v_div_scale_f32 v10, null, v9, v9, 1.0
	v_div_scale_f32 v16, vcc_lo, 1.0, v9, 1.0
	v_rcp_f32_e32 v14, v10
	s_waitcnt_depctr 0xfff
	v_fma_f32 v15, -v10, v14, 1.0
	s_delay_alu instid0(VALU_DEP_1) | instskip(NEXT) | instid1(VALU_DEP_1)
	v_fmac_f32_e32 v14, v15, v14
	v_mul_f32_e32 v15, v16, v14
	s_delay_alu instid0(VALU_DEP_1) | instskip(NEXT) | instid1(VALU_DEP_1)
	v_fma_f32 v17, -v10, v15, v16
	v_fmac_f32_e32 v15, v17, v14
	s_delay_alu instid0(VALU_DEP_1) | instskip(NEXT) | instid1(VALU_DEP_1)
	v_fma_f32 v10, -v10, v15, v16
	v_div_fmas_f32 v10, v10, v14, v15
	s_delay_alu instid0(VALU_DEP_1)
	v_div_fixup_f32 v9, v10, v9, 1.0
	global_store_b32 v[7:8], v9, off offset:4
	global_load_b32 v9, v[5:6], off offset:24
	s_waitcnt vmcnt(0)
	v_mul_f32_e32 v10, 0xbfb8aa3b, v9
	v_cmp_nlt_f32_e32 vcc_lo, 0x42ce8ed0, v9
	s_delay_alu instid0(VALU_DEP_2) | instskip(SKIP_1) | instid1(VALU_DEP_2)
	v_fma_f32 v14, 0xbfb8aa3b, v9, -v10
	v_rndne_f32_e32 v15, v10
	v_fmac_f32_e32 v14, 0xb2a5705f, v9
	s_delay_alu instid0(VALU_DEP_2) | instskip(NEXT) | instid1(VALU_DEP_1)
	v_sub_f32_e32 v10, v10, v15
	v_add_f32_e32 v10, v10, v14
	v_cvt_i32_f32_e32 v14, v15
	s_delay_alu instid0(VALU_DEP_2) | instskip(SKIP_2) | instid1(VALU_DEP_1)
	v_exp_f32_e32 v10, v10
	s_waitcnt_depctr 0xfff
	v_ldexp_f32 v10, v10, v14
	v_cndmask_b32_e32 v10, 0, v10, vcc_lo
	v_cmp_ngt_f32_e32 vcc_lo, 0xc2b17218, v9
	s_delay_alu instid0(VALU_DEP_2) | instskip(NEXT) | instid1(VALU_DEP_1)
	v_cndmask_b32_e32 v9, 0x7f800000, v10, vcc_lo
	v_add_f32_e32 v9, 1.0, v9
	s_delay_alu instid0(VALU_DEP_1) | instskip(SKIP_1) | instid1(VALU_DEP_2)
	v_div_scale_f32 v10, null, v9, v9, 1.0
	v_div_scale_f32 v16, vcc_lo, 1.0, v9, 1.0
	v_rcp_f32_e32 v14, v10
	s_waitcnt_depctr 0xfff
	v_fma_f32 v15, -v10, v14, 1.0
	s_delay_alu instid0(VALU_DEP_1) | instskip(NEXT) | instid1(VALU_DEP_1)
	v_fmac_f32_e32 v14, v15, v14
	v_mul_f32_e32 v15, v16, v14
	s_delay_alu instid0(VALU_DEP_1) | instskip(NEXT) | instid1(VALU_DEP_1)
	v_fma_f32 v17, -v10, v15, v16
	v_fmac_f32_e32 v15, v17, v14
	s_delay_alu instid0(VALU_DEP_1) | instskip(NEXT) | instid1(VALU_DEP_1)
	v_fma_f32 v10, -v10, v15, v16
	v_div_fmas_f32 v10, v10, v14, v15
	s_delay_alu instid0(VALU_DEP_1)
	v_div_fixup_f32 v9, v10, v9, 1.0
	global_store_b32 v[7:8], v9, off offset:8
	;; [unrolled: 39-line block ×6, first 2 shown]
	global_load_b32 v5, v[5:6], off offset:44
	s_waitcnt vmcnt(0)
	v_mul_f32_e32 v6, 0xbfb8aa3b, v5
	v_cmp_nlt_f32_e32 vcc_lo, 0x42ce8ed0, v5
	s_delay_alu instid0(VALU_DEP_2) | instskip(SKIP_1) | instid1(VALU_DEP_1)
	v_fma_f32 v9, 0xbfb8aa3b, v5, -v6
	v_rndne_f32_e32 v10, v6
	v_dual_fmac_f32 v9, 0xb2a5705f, v5 :: v_dual_sub_f32 v6, v6, v10
	s_delay_alu instid0(VALU_DEP_1) | instskip(SKIP_1) | instid1(VALU_DEP_2)
	v_add_f32_e32 v6, v6, v9
	v_cvt_i32_f32_e32 v9, v10
	v_exp_f32_e32 v6, v6
	s_waitcnt_depctr 0xfff
	v_ldexp_f32 v6, v6, v9
	s_delay_alu instid0(VALU_DEP_1) | instskip(SKIP_1) | instid1(VALU_DEP_2)
	v_cndmask_b32_e32 v6, 0, v6, vcc_lo
	v_cmp_ngt_f32_e32 vcc_lo, 0xc2b17218, v5
	v_cndmask_b32_e32 v5, 0x7f800000, v6, vcc_lo
	s_delay_alu instid0(VALU_DEP_1) | instskip(NEXT) | instid1(VALU_DEP_1)
	v_add_f32_e32 v5, 1.0, v5
	v_div_scale_f32 v6, null, v5, v5, 1.0
	v_div_scale_f32 v14, vcc_lo, 1.0, v5, 1.0
	s_delay_alu instid0(VALU_DEP_2) | instskip(SKIP_2) | instid1(VALU_DEP_1)
	v_rcp_f32_e32 v9, v6
	s_waitcnt_depctr 0xfff
	v_fma_f32 v10, -v6, v9, 1.0
	v_fmac_f32_e32 v9, v10, v9
	s_delay_alu instid0(VALU_DEP_1) | instskip(NEXT) | instid1(VALU_DEP_1)
	v_mul_f32_e32 v10, v14, v9
	v_fma_f32 v15, -v6, v10, v14
	s_delay_alu instid0(VALU_DEP_1) | instskip(SKIP_1) | instid1(VALU_DEP_2)
	v_fmac_f32_e32 v10, v15, v9
	v_cndmask_b32_e64 v15, v0, v1, s3
	v_fma_f32 v6, -v6, v10, v14
	s_delay_alu instid0(VALU_DEP_2) | instskip(NEXT) | instid1(VALU_DEP_2)
	v_cmp_lt_f32_e64 s2, v15, v2
	v_div_fmas_f32 v6, v6, v9, v10
	s_delay_alu instid0(VALU_DEP_2) | instskip(SKIP_1) | instid1(VALU_DEP_3)
	v_cndmask_b32_e64 v14, v15, v2, s2
	v_mov_b32_e32 v15, 0
	v_div_fixup_f32 v5, v6, v5, 1.0
	s_delay_alu instid0(VALU_DEP_3)
	v_cmp_lt_f32_e32 vcc_lo, v14, v3
	global_store_b32 v[7:8], v5, off offset:28
	v_cndmask_b32_e32 v14, v14, v3, vcc_lo
	s_cbranch_scc1 .LBB30_8
; %bb.5:
	v_cndmask_b32_e64 v8, 0, 1, s3
	s_delay_alu instid0(VALU_DEP_2)
	v_sub_f32_e32 v20, v14, v14
	v_mul_lo_u32 v6, v13, s8
	s_load_b128 s[8:11], s[0:1], 0x20
	v_ashrrev_i32_e32 v5, 31, v4
	v_cndmask_b32_e64 v8, v8, 2, s2
	v_mul_lo_u32 v15, v13, s4
	s_delay_alu instid0(VALU_DEP_3) | instskip(NEXT) | instid1(VALU_DEP_3)
	v_lshlrev_b64 v[9:10], 2, v[4:5]
	v_cndmask_b32_e64 v21, v8, 3, vcc_lo
	s_delay_alu instid0(VALU_DEP_3) | instskip(NEXT) | instid1(VALU_DEP_2)
	v_ashrrev_i32_e32 v16, 31, v15
	v_subrev_nc_u32_e32 v22, s5, v21
	v_mul_f32_e32 v7, 0x3fb8aa3b, v20
	v_add_co_u32 v9, vcc_lo, s12, v9
	v_add_co_ci_u32_e32 v10, vcc_lo, s13, v10, vcc_lo
	s_delay_alu instid0(VALU_DEP_3) | instskip(SKIP_3) | instid1(VALU_DEP_4)
	v_rndne_f32_e32 v17, v7
	v_cmp_le_i32_e32 vcc_lo, s5, v21
	v_cmp_gt_i32_e64 s0, s6, v21
	v_cmp_ne_u32_e64 s1, 3, v21
	v_sub_f32_e32 v19, v7, v17
	v_fma_f32 v18, 0x3fb8aa3b, v20, -v7
	v_ashrrev_i32_e32 v7, 31, v6
	s_and_b32 s0, vcc_lo, s0
	v_cndmask_b32_e64 v3, 0xff800000, v3, s1
	s_delay_alu instid0(VALU_DEP_3) | instskip(NEXT) | instid1(VALU_DEP_1)
	v_fmac_f32_e32 v18, 0x32a5705f, v20
	v_add_f32_e32 v5, v19, v18
	s_delay_alu instid0(VALU_DEP_1) | instskip(SKIP_4) | instid1(VALU_DEP_3)
	v_exp_f32_e32 v18, v5
	v_lshlrev_b64 v[5:6], 2, v[6:7]
	v_lshlrev_b64 v[7:8], 2, v[15:16]
	v_cvt_i32_f32_e32 v15, v17
	s_waitcnt lgkmcnt(0)
	v_add_co_u32 v16, vcc_lo, s8, v5
	s_delay_alu instid0(VALU_DEP_4) | instskip(SKIP_3) | instid1(VALU_DEP_2)
	v_add_co_ci_u32_e32 v17, vcc_lo, s9, v6, vcc_lo
	s_waitcnt_depctr 0xfff
	v_ldexp_f32 v15, v18, v15
	v_cmp_ngt_f32_e32 vcc_lo, 0xc2ce8ed0, v20
	v_cndmask_b32_e32 v15, 0, v15, vcc_lo
	v_add_co_u32 v18, vcc_lo, s10, v7
	v_add_co_ci_u32_e32 v19, vcc_lo, s11, v8, vcc_lo
	s_and_b32 vcc_lo, s15, s0
	s_cmp_eq_u32 s4, 1
	v_cndmask_b32_e32 v22, 4, v22, vcc_lo
	v_cmp_nlt_f32_e32 vcc_lo, 0x42b17218, v20
	v_cndmask_b32_e32 v15, 0x7f800000, v15, vcc_lo
	v_cmp_ne_u32_e32 vcc_lo, 2, v21
	global_store_b32 v[9:10], v15, off
	v_cndmask_b32_e32 v2, 0xff800000, v2, vcc_lo
	v_cmp_ne_u32_e32 vcc_lo, 1, v21
	global_store_b32 v[16:17], v22, off
	global_store_b32 v[18:19], v13, off
	v_cndmask_b32_e32 v1, 0xff800000, v1, vcc_lo
	v_cmp_ne_u32_e32 vcc_lo, 0, v21
	v_cndmask_b32_e32 v0, 0xff800000, v0, vcc_lo
	s_cbranch_scc1 .LBB30_8
; %bb.6:
	v_add_co_u32 v7, vcc_lo, v7, s10
	v_add_co_ci_u32_e32 v8, vcc_lo, s11, v8, vcc_lo
	v_add_co_u32 v13, vcc_lo, v5, s8
	v_add_co_ci_u32_e32 v16, vcc_lo, s9, v6, vcc_lo
	s_delay_alu instid0(VALU_DEP_4) | instskip(NEXT) | instid1(VALU_DEP_4)
	v_add_co_u32 v5, vcc_lo, v7, 4
	v_add_co_ci_u32_e32 v6, vcc_lo, 0, v8, vcc_lo
	s_delay_alu instid0(VALU_DEP_4) | instskip(NEXT) | instid1(VALU_DEP_4)
	v_add_co_u32 v7, vcc_lo, v13, 4
	v_add_co_ci_u32_e32 v8, vcc_lo, 0, v16, vcc_lo
	s_add_i32 s16, s16, s14
	v_add_co_u32 v9, vcc_lo, v9, 4
	v_add_co_ci_u32_e32 v10, vcc_lo, 0, v10, vcc_lo
	v_add3_u32 v11, s16, v12, v11
	s_add_i32 s2, s4, -1
.LBB30_7:                               ; =>This Inner Loop Header: Depth=1
	v_cmp_gt_f32_e32 vcc_lo, v1, v0
	s_add_i32 s2, s2, -1
	v_cndmask_b32_e32 v12, v0, v1, vcc_lo
	v_cndmask_b32_e64 v13, 0, 1, vcc_lo
	s_delay_alu instid0(VALU_DEP_2) | instskip(SKIP_1) | instid1(VALU_DEP_3)
	v_cmp_gt_f32_e32 vcc_lo, v2, v12
	v_cndmask_b32_e32 v12, v12, v2, vcc_lo
	v_cndmask_b32_e64 v13, v13, 2, vcc_lo
	s_delay_alu instid0(VALU_DEP_2) | instskip(NEXT) | instid1(VALU_DEP_2)
	v_cmp_gt_f32_e32 vcc_lo, v3, v12
	v_cndmask_b32_e64 v13, v13, 3, vcc_lo
	v_cndmask_b32_e32 v12, v12, v3, vcc_lo
	s_delay_alu instid0(VALU_DEP_2) | instskip(NEXT) | instid1(VALU_DEP_2)
	v_cmp_ne_u32_e64 s1, 3, v13
	v_sub_f32_e32 v12, v12, v14
	v_cmp_le_i32_e32 vcc_lo, s5, v13
	v_cmp_gt_i32_e64 s0, s6, v13
	v_subrev_nc_u32_e32 v17, s5, v13
	v_cndmask_b32_e64 v3, 0xff800000, v3, s1
	v_cmp_ne_u32_e64 s1, 2, v13
	v_mul_f32_e32 v16, 0x3fb8aa3b, v12
	s_and_b32 s0, vcc_lo, s0
	s_delay_alu instid0(SALU_CYCLE_1) | instskip(NEXT) | instid1(VALU_DEP_2)
	s_and_b32 vcc_lo, s15, s0
	v_cndmask_b32_e64 v2, 0xff800000, v2, s1
	v_cmp_ne_u32_e64 s1, 1, v13
	v_rndne_f32_e32 v18, v16
	v_cndmask_b32_e32 v17, 4, v17, vcc_lo
	global_store_b32 v[7:8], v17, off
	global_store_b32 v[5:6], v11, off
	v_cndmask_b32_e64 v1, 0xff800000, v1, s1
	v_cmp_ne_u32_e64 s1, 0, v13
	v_fma_f32 v13, 0x3fb8aa3b, v12, -v16
	v_sub_f32_e32 v16, v16, v18
	v_add_co_u32 v5, vcc_lo, v5, 4
	v_cvt_i32_f32_e32 v18, v18
	s_delay_alu instid0(VALU_DEP_4) | instskip(SKIP_2) | instid1(VALU_DEP_3)
	v_fmac_f32_e32 v13, 0x32a5705f, v12
	v_add_co_ci_u32_e32 v6, vcc_lo, 0, v6, vcc_lo
	v_add_co_u32 v7, vcc_lo, v7, 4
	v_add_f32_e32 v13, v16, v13
	v_add_co_ci_u32_e32 v8, vcc_lo, 0, v8, vcc_lo
	v_cmp_ngt_f32_e32 vcc_lo, 0xc2ce8ed0, v12
	v_cndmask_b32_e64 v0, 0xff800000, v0, s1
	s_delay_alu instid0(VALU_DEP_4) | instskip(SKIP_4) | instid1(VALU_DEP_1)
	v_exp_f32_e32 v13, v13
	v_add_nc_u32_e32 v11, s14, v11
	s_cmp_eq_u32 s2, 0
	s_waitcnt_depctr 0xfff
	v_ldexp_f32 v13, v13, v18
	v_cndmask_b32_e32 v13, 0, v13, vcc_lo
	v_cmp_nlt_f32_e32 vcc_lo, 0x42b17218, v12
	s_delay_alu instid0(VALU_DEP_2)
	v_cndmask_b32_e32 v12, 0x7f800000, v13, vcc_lo
	global_store_b32 v[9:10], v12, off
	v_add_co_u32 v9, vcc_lo, v9, 4
	v_add_f32_e32 v15, v15, v12
	v_add_co_ci_u32_e32 v10, vcc_lo, 0, v10, vcc_lo
	s_cbranch_scc0 .LBB30_7
.LBB30_8:
	s_delay_alu instid0(VALU_DEP_1) | instskip(NEXT) | instid1(VALU_DEP_1)
	v_sub_f32_e32 v3, v3, v14
	v_dual_sub_f32 v1, v1, v14 :: v_dual_mul_f32 v8, 0x3fb8aa3b, v3
	s_delay_alu instid0(VALU_DEP_1) | instskip(NEXT) | instid1(VALU_DEP_2)
	v_mul_f32_e32 v6, 0x3fb8aa3b, v1
	v_fma_f32 v16, 0x3fb8aa3b, v3, -v8
	s_delay_alu instid0(VALU_DEP_2) | instskip(SKIP_3) | instid1(VALU_DEP_4)
	v_fma_f32 v11, 0x3fb8aa3b, v1, -v6
	v_sub_f32_e32 v0, v0, v14
	v_rndne_f32_e32 v12, v6
	v_rndne_f32_e32 v17, v8
	v_dual_fmac_f32 v16, 0x32a5705f, v3 :: v_dual_fmac_f32 v11, 0x32a5705f, v1
	s_delay_alu instid0(VALU_DEP_4) | instskip(NEXT) | instid1(VALU_DEP_4)
	v_dual_sub_f32 v2, v2, v14 :: v_dual_mul_f32 v5, 0x3fb8aa3b, v0
	v_sub_f32_e32 v6, v6, v12
	v_cmp_ngt_f32_e32 vcc_lo, 0xc2ce8ed0, v0
	s_delay_alu instid0(VALU_DEP_3) | instskip(NEXT) | instid1(VALU_DEP_4)
	v_dual_sub_f32 v8, v8, v17 :: v_dual_mul_f32 v7, 0x3fb8aa3b, v2
	v_fma_f32 v9, 0x3fb8aa3b, v0, -v5
	v_rndne_f32_e32 v10, v5
	v_add_f32_e32 v6, v6, v11
	s_delay_alu instid0(VALU_DEP_4)
	v_add_f32_e32 v8, v8, v16
	v_fma_f32 v13, 0x3fb8aa3b, v2, -v7
	v_fmac_f32_e32 v9, 0x32a5705f, v0
	v_sub_f32_e32 v5, v5, v10
	v_exp_f32_e32 v6, v6
	v_rndne_f32_e32 v14, v7
	v_fmac_f32_e32 v13, 0x32a5705f, v2
	v_exp_f32_e32 v8, v8
	v_add_f32_e32 v5, v5, v9
	v_cvt_i32_f32_e32 v9, v10
	v_cvt_i32_f32_e32 v10, v12
	;; [unrolled: 1-line block ×3, first 2 shown]
	s_delay_alu instid0(VALU_DEP_4)
	v_exp_f32_e32 v5, v5
	s_delay_alu instid0(TRANS32_DEP_3) | instid1(VALU_DEP_2)
	v_ldexp_f32 v6, v6, v10
	s_waitcnt_depctr 0xfff
	v_ldexp_f32 v5, v5, v9
	v_cvt_i32_f32_e32 v9, v17
	s_delay_alu instid0(VALU_DEP_2) | instskip(SKIP_3) | instid1(VALU_DEP_4)
	v_cndmask_b32_e32 v5, 0, v5, vcc_lo
	v_cmp_ngt_f32_e32 vcc_lo, 0xc2ce8ed0, v1
	v_cndmask_b32_e32 v6, 0, v6, vcc_lo
	v_cmp_nlt_f32_e32 vcc_lo, 0x42b17218, v0
	v_dual_sub_f32 v7, v7, v14 :: v_dual_cndmask_b32 v0, 0x7f800000, v5
	v_cmp_nlt_f32_e32 vcc_lo, 0x42b17218, v1
	s_delay_alu instid0(VALU_DEP_4) | instskip(SKIP_1) | instid1(VALU_DEP_4)
	v_cndmask_b32_e32 v1, 0x7f800000, v6, vcc_lo
	v_ldexp_f32 v6, v8, v9
	v_add_f32_e32 v7, v7, v13
	v_cmp_ngt_f32_e32 vcc_lo, 0xc2ce8ed0, v2
	s_delay_alu instid0(VALU_DEP_4) | instskip(NEXT) | instid1(VALU_DEP_3)
	v_add_f32_e32 v0, v0, v1
	v_exp_f32_e32 v7, v7
	s_waitcnt_depctr 0xfff
	v_ldexp_f32 v7, v7, v11
	s_delay_alu instid0(VALU_DEP_1) | instskip(SKIP_1) | instid1(VALU_DEP_2)
	v_cndmask_b32_e32 v5, 0, v7, vcc_lo
	v_cmp_nlt_f32_e32 vcc_lo, 0x42b17218, v2
	v_cndmask_b32_e32 v1, 0x7f800000, v5, vcc_lo
	v_cmp_ngt_f32_e32 vcc_lo, 0xc2ce8ed0, v3
	v_cndmask_b32_e32 v2, 0, v6, vcc_lo
	v_cmp_nlt_f32_e32 vcc_lo, 0x42b17218, v3
	s_delay_alu instid0(VALU_DEP_2) | instskip(NEXT) | instid1(VALU_DEP_1)
	v_dual_add_f32 v0, v0, v1 :: v_dual_cndmask_b32 v1, 0x7f800000, v2
	v_add_f32_e32 v0, v0, v1
	s_delay_alu instid0(VALU_DEP_1) | instskip(NEXT) | instid1(VALU_DEP_1)
	v_add_f32_e32 v0, v15, v0
	v_cmp_neq_f32_e32 vcc_lo, 0, v0
	s_and_b32 exec_lo, exec_lo, vcc_lo
	s_cbranch_execz .LBB30_12
; %bb.9:
	s_and_not1_b32 vcc_lo, exec_lo, s7
	s_cbranch_vccnz .LBB30_12
; %bb.10:
	v_div_scale_f32 v1, null, v0, v0, 1.0
	v_div_scale_f32 v5, vcc_lo, 1.0, v0, 1.0
	s_delay_alu instid0(VALU_DEP_2) | instskip(SKIP_2) | instid1(VALU_DEP_1)
	v_rcp_f32_e32 v2, v1
	s_waitcnt_depctr 0xfff
	v_fma_f32 v3, -v1, v2, 1.0
	v_fmac_f32_e32 v2, v3, v2
	s_delay_alu instid0(VALU_DEP_1) | instskip(NEXT) | instid1(VALU_DEP_1)
	v_mul_f32_e32 v3, v5, v2
	v_fma_f32 v6, -v1, v3, v5
	s_delay_alu instid0(VALU_DEP_1) | instskip(NEXT) | instid1(VALU_DEP_1)
	v_fmac_f32_e32 v3, v6, v2
	v_fma_f32 v1, -v1, v3, v5
	v_ashrrev_i32_e32 v5, 31, v4
	s_delay_alu instid0(VALU_DEP_2) | instskip(NEXT) | instid1(VALU_DEP_2)
	v_div_fmas_f32 v1, v1, v2, v3
	v_lshlrev_b64 v[3:4], 2, v[4:5]
	s_delay_alu instid0(VALU_DEP_2) | instskip(NEXT) | instid1(VALU_DEP_2)
	v_div_fixup_f32 v2, v1, v0, 1.0
	v_add_co_u32 v0, vcc_lo, s12, v3
	s_delay_alu instid0(VALU_DEP_3)
	v_add_co_ci_u32_e32 v1, vcc_lo, s13, v4, vcc_lo
.LBB30_11:                              ; =>This Inner Loop Header: Depth=1
	global_load_b32 v3, v[0:1], off
	s_add_i32 s4, s4, -1
	s_delay_alu instid0(SALU_CYCLE_1)
	s_cmp_lg_u32 s4, 0
	s_waitcnt vmcnt(0)
	v_mul_f32_e32 v3, v2, v3
	global_store_b32 v[0:1], v3, off
	v_add_co_u32 v0, vcc_lo, v0, 4
	v_add_co_ci_u32_e32 v1, vcc_lo, 0, v1, vcc_lo
	s_cbranch_scc1 .LBB30_11
.LBB30_12:
	s_nop 0
	s_sendmsg sendmsg(MSG_DEALLOC_VGPRS)
	s_endpgm
	.section	.rodata,"a",@progbits
	.p2align	6, 0x0
	.amdhsa_kernel _ZN4vllm3moe17topkGatingSoftmaxIfLi4ELi4ELi8ELi16ELb0ELi8ELNS0_23SharedExpertScoringFuncE1EEEvPKT_PKbPfiPiS9_iiiiii
		.amdhsa_group_segment_fixed_size 0
		.amdhsa_private_segment_fixed_size 0
		.amdhsa_kernarg_size 72
		.amdhsa_user_sgpr_count 15
		.amdhsa_user_sgpr_dispatch_ptr 0
		.amdhsa_user_sgpr_queue_ptr 0
		.amdhsa_user_sgpr_kernarg_segment_ptr 1
		.amdhsa_user_sgpr_dispatch_id 0
		.amdhsa_user_sgpr_private_segment_size 0
		.amdhsa_wavefront_size32 1
		.amdhsa_uses_dynamic_stack 0
		.amdhsa_enable_private_segment 0
		.amdhsa_system_sgpr_workgroup_id_x 1
		.amdhsa_system_sgpr_workgroup_id_y 0
		.amdhsa_system_sgpr_workgroup_id_z 0
		.amdhsa_system_sgpr_workgroup_info 0
		.amdhsa_system_vgpr_workitem_id 1
		.amdhsa_next_free_vgpr 23
		.amdhsa_next_free_sgpr 17
		.amdhsa_reserve_vcc 1
		.amdhsa_float_round_mode_32 0
		.amdhsa_float_round_mode_16_64 0
		.amdhsa_float_denorm_mode_32 3
		.amdhsa_float_denorm_mode_16_64 3
		.amdhsa_dx10_clamp 1
		.amdhsa_ieee_mode 1
		.amdhsa_fp16_overflow 0
		.amdhsa_workgroup_processor_mode 1
		.amdhsa_memory_ordered 1
		.amdhsa_forward_progress 0
		.amdhsa_shared_vgpr_count 0
		.amdhsa_exception_fp_ieee_invalid_op 0
		.amdhsa_exception_fp_denorm_src 0
		.amdhsa_exception_fp_ieee_div_zero 0
		.amdhsa_exception_fp_ieee_overflow 0
		.amdhsa_exception_fp_ieee_underflow 0
		.amdhsa_exception_fp_ieee_inexact 0
		.amdhsa_exception_int_div_zero 0
	.end_amdhsa_kernel
	.section	.text._ZN4vllm3moe17topkGatingSoftmaxIfLi4ELi4ELi8ELi16ELb0ELi8ELNS0_23SharedExpertScoringFuncE1EEEvPKT_PKbPfiPiS9_iiiiii,"axG",@progbits,_ZN4vllm3moe17topkGatingSoftmaxIfLi4ELi4ELi8ELi16ELb0ELi8ELNS0_23SharedExpertScoringFuncE1EEEvPKT_PKbPfiPiS9_iiiiii,comdat
.Lfunc_end30:
	.size	_ZN4vllm3moe17topkGatingSoftmaxIfLi4ELi4ELi8ELi16ELb0ELi8ELNS0_23SharedExpertScoringFuncE1EEEvPKT_PKbPfiPiS9_iiiiii, .Lfunc_end30-_ZN4vllm3moe17topkGatingSoftmaxIfLi4ELi4ELi8ELi16ELb0ELi8ELNS0_23SharedExpertScoringFuncE1EEEvPKT_PKbPfiPiS9_iiiiii
                                        ; -- End function
	.section	.AMDGPU.csdata,"",@progbits
; Kernel info:
; codeLenInByte = 3572
; NumSgprs: 19
; NumVgprs: 23
; ScratchSize: 0
; MemoryBound: 0
; FloatMode: 240
; IeeeMode: 1
; LDSByteSize: 0 bytes/workgroup (compile time only)
; SGPRBlocks: 2
; VGPRBlocks: 2
; NumSGPRsForWavesPerEU: 19
; NumVGPRsForWavesPerEU: 23
; Occupancy: 16
; WaveLimiterHint : 0
; COMPUTE_PGM_RSRC2:SCRATCH_EN: 0
; COMPUTE_PGM_RSRC2:USER_SGPR: 15
; COMPUTE_PGM_RSRC2:TRAP_HANDLER: 0
; COMPUTE_PGM_RSRC2:TGID_X_EN: 1
; COMPUTE_PGM_RSRC2:TGID_Y_EN: 0
; COMPUTE_PGM_RSRC2:TGID_Z_EN: 0
; COMPUTE_PGM_RSRC2:TIDIG_COMP_CNT: 1
	.section	.text._ZN4vllm3moe17topkGatingSoftmaxIfLi8ELi8ELi8ELi32ELb1ELi0ELNS0_23SharedExpertScoringFuncE0EEEvPKT_PKbPfiPiS9_iiiiii,"axG",@progbits,_ZN4vllm3moe17topkGatingSoftmaxIfLi8ELi8ELi8ELi32ELb1ELi0ELNS0_23SharedExpertScoringFuncE0EEEvPKT_PKbPfiPiS9_iiiiii,comdat
	.protected	_ZN4vllm3moe17topkGatingSoftmaxIfLi8ELi8ELi8ELi32ELb1ELi0ELNS0_23SharedExpertScoringFuncE0EEEvPKT_PKbPfiPiS9_iiiiii ; -- Begin function _ZN4vllm3moe17topkGatingSoftmaxIfLi8ELi8ELi8ELi32ELb1ELi0ELNS0_23SharedExpertScoringFuncE0EEEvPKT_PKbPfiPiS9_iiiiii
	.globl	_ZN4vllm3moe17topkGatingSoftmaxIfLi8ELi8ELi8ELi32ELb1ELi0ELNS0_23SharedExpertScoringFuncE0EEEvPKT_PKbPfiPiS9_iiiiii
	.p2align	8
	.type	_ZN4vllm3moe17topkGatingSoftmaxIfLi8ELi8ELi8ELi32ELb1ELi0ELNS0_23SharedExpertScoringFuncE0EEEvPKT_PKbPfiPiS9_iiiiii,@function
_ZN4vllm3moe17topkGatingSoftmaxIfLi8ELi8ELi8ELi32ELb1ELi0ELNS0_23SharedExpertScoringFuncE0EEEvPKT_PKbPfiPiS9_iiiiii: ; @_ZN4vllm3moe17topkGatingSoftmaxIfLi8ELi8ELi8ELi32ELb1ELi0ELNS0_23SharedExpertScoringFuncE0EEEvPKT_PKbPfiPiS9_iiiiii
; %bb.0:
	s_load_b32 s16, s[0:1], 0x18
	v_bfe_u32 v1, v0, 10, 10
	v_and_b32_e32 v18, 0x3ff, v0
	s_lshl_b32 s17, s15, 8
	s_mov_b32 s2, exec_lo
	s_delay_alu instid0(VALU_DEP_2) | instskip(NEXT) | instid1(VALU_DEP_1)
	v_lshlrev_b32_e32 v17, 5, v1
	v_add3_u32 v14, v17, v18, s17
	s_waitcnt lgkmcnt(0)
	s_delay_alu instid0(VALU_DEP_1)
	v_cmpx_gt_i32_e64 s16, v14
	s_cbranch_execz .LBB31_13
; %bb.1:
	s_clause 0x1
	s_load_b128 s[12:15], s[0:1], 0x0
	s_load_b64 s[2:3], s[0:1], 0x10
	s_waitcnt lgkmcnt(0)
	s_cmp_eq_u64 s[14:15], 0
	s_cbranch_scc1 .LBB31_3
; %bb.2:
	v_ashrrev_i32_e32 v1, 31, v14
	v_add_co_u32 v0, vcc_lo, s14, v14
	s_delay_alu instid0(VALU_DEP_2) | instskip(SKIP_3) | instid1(VALU_DEP_1)
	v_add_co_ci_u32_e32 v1, vcc_lo, s15, v1, vcc_lo
	global_load_u8 v0, v[0:1], off
	s_waitcnt vmcnt(0)
	v_and_b32_e32 v0, 1, v0
	v_cmp_eq_u32_e32 vcc_lo, 1, v0
	s_xor_b32 s4, vcc_lo, -1
	s_delay_alu instid0(SALU_CYCLE_1)
	s_or_not1_b32 s15, s4, exec_lo
	s_branch .LBB31_4
.LBB31_3:
	s_mov_b32 s15, -1
.LBB31_4:
	s_load_b128 s[4:7], s[0:1], 0x30
	s_waitcnt lgkmcnt(0)
	s_cmp_gt_i32 s4, 0
	s_cselect_b32 s14, -1, 0
	s_cmp_lt_i32 s4, 1
	s_cbranch_scc1 .LBB31_9
; %bb.5:
	s_clause 0x1
	s_load_b64 s[18:19], s[0:1], 0x40
	s_load_b128 s[8:11], s[0:1], 0x20
	v_mul_lo_u32 v10, v14, s4
	s_waitcnt lgkmcnt(0)
	v_mul_lo_u32 v0, v14, s19
	v_mul_lo_u32 v12, v14, s18
	s_delay_alu instid0(VALU_DEP_2) | instskip(NEXT) | instid1(VALU_DEP_1)
	v_ashrrev_i32_e32 v1, 31, v0
	v_lshlrev_b64 v[0:1], 2, v[0:1]
	s_delay_alu instid0(VALU_DEP_1) | instskip(NEXT) | instid1(VALU_DEP_2)
	v_add_co_u32 v4, vcc_lo, s12, v0
	v_add_co_ci_u32_e32 v5, vcc_lo, s13, v1, vcc_lo
	s_clause 0x1
	global_load_b128 v[0:3], v[4:5], off
	global_load_b128 v[4:7], v[4:5], off offset:16
	s_waitcnt vmcnt(1)
	v_cmp_lt_f32_e32 vcc_lo, v0, v1
	v_cndmask_b32_e32 v9, v0, v1, vcc_lo
	v_cndmask_b32_e64 v8, 0, 1, vcc_lo
	s_delay_alu instid0(VALU_DEP_2) | instskip(SKIP_1) | instid1(VALU_DEP_3)
	v_cmp_lt_f32_e32 vcc_lo, v9, v2
	v_cndmask_b32_e32 v9, v9, v2, vcc_lo
	v_cndmask_b32_e64 v8, v8, 2, vcc_lo
	s_delay_alu instid0(VALU_DEP_2) | instskip(SKIP_1) | instid1(VALU_DEP_3)
	v_cmp_lt_f32_e32 vcc_lo, v9, v3
	v_cndmask_b32_e32 v9, v9, v3, vcc_lo
	v_cndmask_b32_e64 v8, v8, 3, vcc_lo
	s_waitcnt vmcnt(0)
	s_delay_alu instid0(VALU_DEP_2) | instskip(SKIP_1) | instid1(VALU_DEP_3)
	v_cmp_lt_f32_e32 vcc_lo, v9, v4
	v_cndmask_b32_e32 v9, v9, v4, vcc_lo
	v_cndmask_b32_e64 v8, v8, 4, vcc_lo
	s_delay_alu instid0(VALU_DEP_2) | instskip(SKIP_1) | instid1(VALU_DEP_3)
	v_cmp_lt_f32_e32 vcc_lo, v9, v5
	v_cndmask_b32_e32 v9, v9, v5, vcc_lo
	v_cndmask_b32_e64 v8, v8, 5, vcc_lo
	;; [unrolled: 4-line block ×4, first 2 shown]
	v_mul_lo_u32 v8, v14, s7
	s_delay_alu instid0(VALU_DEP_3) | instskip(NEXT) | instid1(VALU_DEP_3)
	v_sub_f32_e32 v16, v15, v15
	v_cmp_le_i32_e32 vcc_lo, s5, v24
	v_cmp_gt_i32_e64 s0, s6, v24
	v_subrev_nc_u32_e32 v21, s5, v24
	s_delay_alu instid0(VALU_DEP_4) | instskip(NEXT) | instid1(VALU_DEP_3)
	v_mul_f32_e32 v9, 0x3fb8aa3b, v16
	s_and_b32 s0, vcc_lo, s0
	v_cmp_ngt_f32_e32 vcc_lo, 0xc2ce8ed0, v16
	s_delay_alu instid0(VALU_DEP_2) | instskip(SKIP_1) | instid1(VALU_DEP_2)
	v_fma_f32 v11, 0x3fb8aa3b, v16, -v9
	v_rndne_f32_e32 v19, v9
	v_fmac_f32_e32 v11, 0x32a5705f, v16
	s_delay_alu instid0(VALU_DEP_2) | instskip(SKIP_2) | instid1(VALU_DEP_3)
	v_sub_f32_e32 v13, v9, v19
	v_cvt_i32_f32_e32 v19, v19
	v_ashrrev_i32_e32 v9, 31, v8
	v_add_f32_e32 v13, v13, v11
	v_ashrrev_i32_e32 v11, 31, v10
	s_delay_alu instid0(VALU_DEP_3) | instskip(NEXT) | instid1(VALU_DEP_3)
	v_lshlrev_b64 v[8:9], 2, v[8:9]
	v_exp_f32_e32 v20, v13
	v_ashrrev_i32_e32 v13, 31, v12
	s_delay_alu instid0(VALU_DEP_3) | instskip(NEXT) | instid1(VALU_DEP_3)
	v_lshlrev_b64 v[10:11], 2, v[10:11]
	v_add_co_u32 v8, s1, s2, v8
	s_delay_alu instid0(VALU_DEP_1) | instskip(NEXT) | instid1(VALU_DEP_4)
	v_add_co_ci_u32_e64 v9, s1, s3, v9, s1
	v_lshlrev_b64 v[12:13], 2, v[12:13]
	s_waitcnt_depctr 0xfff
	v_ldexp_f32 v19, v20, v19
	s_delay_alu instid0(VALU_DEP_1)
	v_cndmask_b32_e32 v22, 0, v19, vcc_lo
	v_add_co_u32 v19, vcc_lo, s8, v12
	v_add_co_ci_u32_e32 v20, vcc_lo, s9, v13, vcc_lo
	s_and_b32 vcc_lo, s15, s0
	s_cmp_eq_u32 s4, 1
	v_cndmask_b32_e32 v23, 8, v21, vcc_lo
	v_cmp_nlt_f32_e32 vcc_lo, 0x42b17218, v16
	v_cndmask_b32_e32 v16, 0x7f800000, v22, vcc_lo
	v_add_co_u32 v21, vcc_lo, s10, v10
	v_add_co_ci_u32_e32 v22, vcc_lo, s11, v11, vcc_lo
	global_store_b32 v[19:20], v23, off
	global_store_b32 v[8:9], v16, off
	;; [unrolled: 1-line block ×3, first 2 shown]
	s_cbranch_scc1 .LBB31_8
; %bb.6:
	v_cmp_ne_u32_e32 vcc_lo, 7, v24
	s_add_i32 s17, s17, s16
	v_cndmask_b32_e32 v7, 0xff800000, v7, vcc_lo
	v_cmp_ne_u32_e32 vcc_lo, 6, v24
	v_cndmask_b32_e32 v6, 0xff800000, v6, vcc_lo
	v_cmp_ne_u32_e32 vcc_lo, 5, v24
	;; [unrolled: 2-line block ×7, first 2 shown]
	v_cndmask_b32_e32 v24, 0xff800000, v0, vcc_lo
	v_add_co_u32 v0, vcc_lo, v10, s10
	v_add_co_ci_u32_e32 v1, vcc_lo, s11, v11, vcc_lo
	v_add_co_u32 v2, vcc_lo, v12, s8
	v_add_co_ci_u32_e32 v3, vcc_lo, s9, v13, vcc_lo
	s_delay_alu instid0(VALU_DEP_4) | instskip(NEXT) | instid1(VALU_DEP_4)
	v_add_co_u32 v0, vcc_lo, v0, 4
	v_add_co_ci_u32_e32 v1, vcc_lo, 0, v1, vcc_lo
	s_delay_alu instid0(VALU_DEP_4) | instskip(NEXT) | instid1(VALU_DEP_4)
	v_add_co_u32 v2, vcc_lo, v2, 4
	v_add_co_ci_u32_e32 v3, vcc_lo, 0, v3, vcc_lo
	v_add_co_u32 v4, vcc_lo, v8, 4
	v_add_co_ci_u32_e32 v5, vcc_lo, 0, v9, vcc_lo
	v_add3_u32 v8, s17, v18, v17
	s_add_i32 s8, s4, -1
.LBB31_7:                               ; =>This Inner Loop Header: Depth=1
	v_cmp_gt_f32_e32 vcc_lo, v23, v24
	s_add_i32 s8, s8, -1
	v_cndmask_b32_e32 v9, v24, v23, vcc_lo
	v_cndmask_b32_e64 v10, 0, 1, vcc_lo
	s_delay_alu instid0(VALU_DEP_2) | instskip(SKIP_1) | instid1(VALU_DEP_3)
	v_cmp_gt_f32_e32 vcc_lo, v22, v9
	v_cndmask_b32_e32 v9, v9, v22, vcc_lo
	v_cndmask_b32_e64 v10, v10, 2, vcc_lo
	s_delay_alu instid0(VALU_DEP_2) | instskip(SKIP_1) | instid1(VALU_DEP_3)
	v_cmp_gt_f32_e32 vcc_lo, v21, v9
	;; [unrolled: 4-line block ×5, first 2 shown]
	v_cndmask_b32_e32 v9, v9, v6, vcc_lo
	v_cndmask_b32_e64 v10, v10, 6, vcc_lo
	s_delay_alu instid0(VALU_DEP_2) | instskip(NEXT) | instid1(VALU_DEP_2)
	v_cmp_gt_f32_e32 vcc_lo, v7, v9
	v_cndmask_b32_e64 v10, v10, 7, vcc_lo
	v_cndmask_b32_e32 v9, v9, v7, vcc_lo
	s_delay_alu instid0(VALU_DEP_2) | instskip(NEXT) | instid1(VALU_DEP_2)
	v_cmp_ne_u32_e64 s1, 7, v10
	v_sub_f32_e32 v9, v9, v15
	v_cmp_le_i32_e32 vcc_lo, s5, v10
	v_cmp_gt_i32_e64 s0, s6, v10
	v_subrev_nc_u32_e32 v12, s5, v10
	v_cndmask_b32_e64 v7, 0xff800000, v7, s1
	v_cmp_ne_u32_e64 s1, 6, v10
	v_mul_f32_e32 v11, 0x3fb8aa3b, v9
	s_and_b32 s0, vcc_lo, s0
	s_delay_alu instid0(SALU_CYCLE_1) | instskip(NEXT) | instid1(VALU_DEP_2)
	s_and_b32 vcc_lo, s15, s0
	v_cndmask_b32_e64 v6, 0xff800000, v6, s1
	v_cmp_ne_u32_e64 s1, 5, v10
	v_rndne_f32_e32 v13, v11
	v_cndmask_b32_e32 v12, 8, v12, vcc_lo
	global_store_b32 v[2:3], v12, off
	global_store_b32 v[0:1], v8, off
	v_cndmask_b32_e64 v19, 0xff800000, v19, s1
	v_cmp_ne_u32_e64 s1, 4, v10
	v_add_co_u32 v0, vcc_lo, v0, 4
	v_add_co_ci_u32_e32 v1, vcc_lo, 0, v1, vcc_lo
	s_delay_alu instid0(VALU_DEP_3) | instskip(SKIP_3) | instid1(VALU_DEP_3)
	v_cndmask_b32_e64 v20, 0xff800000, v20, s1
	v_cmp_ne_u32_e64 s1, 3, v10
	v_add_co_u32 v2, vcc_lo, v2, 4
	v_add_co_ci_u32_e32 v3, vcc_lo, 0, v3, vcc_lo
	v_cndmask_b32_e64 v21, 0xff800000, v21, s1
	v_cmp_ne_u32_e64 s1, 2, v10
	v_cmp_ngt_f32_e32 vcc_lo, 0xc2ce8ed0, v9
	v_add_nc_u32_e32 v8, s16, v8
	s_cmp_eq_u32 s8, 0
	s_delay_alu instid0(VALU_DEP_3) | instskip(SKIP_1) | instid1(VALU_DEP_1)
	v_cndmask_b32_e64 v22, 0xff800000, v22, s1
	v_cmp_ne_u32_e64 s1, 1, v10
	v_cndmask_b32_e64 v23, 0xff800000, v23, s1
	v_cmp_ne_u32_e64 s1, 0, v10
	v_fma_f32 v10, 0x3fb8aa3b, v9, -v11
	v_sub_f32_e32 v11, v11, v13
	v_cvt_i32_f32_e32 v13, v13
	s_delay_alu instid0(VALU_DEP_4) | instskip(NEXT) | instid1(VALU_DEP_4)
	v_cndmask_b32_e64 v24, 0xff800000, v24, s1
	v_fmac_f32_e32 v10, 0x32a5705f, v9
	s_delay_alu instid0(VALU_DEP_1) | instskip(NEXT) | instid1(VALU_DEP_1)
	v_add_f32_e32 v10, v11, v10
	v_exp_f32_e32 v10, v10
	s_waitcnt_depctr 0xfff
	v_ldexp_f32 v10, v10, v13
	s_delay_alu instid0(VALU_DEP_1) | instskip(SKIP_1) | instid1(VALU_DEP_2)
	v_cndmask_b32_e32 v10, 0, v10, vcc_lo
	v_cmp_nlt_f32_e32 vcc_lo, 0x42b17218, v9
	v_cndmask_b32_e32 v9, 0x7f800000, v10, vcc_lo
	global_store_b32 v[4:5], v9, off
	v_add_co_u32 v4, vcc_lo, v4, 4
	v_add_f32_e32 v16, v16, v9
	v_add_co_ci_u32_e32 v5, vcc_lo, 0, v5, vcc_lo
	s_cbranch_scc0 .LBB31_7
.LBB31_8:
	s_delay_alu instid0(VALU_DEP_2)
	v_cmp_neq_f32_e32 vcc_lo, 0, v16
	s_and_b32 exec_lo, exec_lo, vcc_lo
	s_cbranch_execnz .LBB31_10
	s_branch .LBB31_13
.LBB31_9:
	v_mov_b32_e32 v16, 0
	s_delay_alu instid0(VALU_DEP_1)
	v_cmp_neq_f32_e32 vcc_lo, 0, v16
	s_and_b32 exec_lo, exec_lo, vcc_lo
	s_cbranch_execz .LBB31_13
.LBB31_10:
	s_and_not1_b32 vcc_lo, exec_lo, s14
	s_cbranch_vccnz .LBB31_13
; %bb.11:
	v_div_scale_f32 v1, null, v16, v16, 1.0
	v_div_scale_f32 v3, vcc_lo, 1.0, v16, 1.0
	s_delay_alu instid0(VALU_DEP_2) | instskip(SKIP_2) | instid1(VALU_DEP_1)
	v_rcp_f32_e32 v2, v1
	s_waitcnt_depctr 0xfff
	v_fma_f32 v0, -v1, v2, 1.0
	v_fmac_f32_e32 v2, v0, v2
	v_mul_lo_u32 v0, v14, s7
	s_delay_alu instid0(VALU_DEP_2) | instskip(NEXT) | instid1(VALU_DEP_1)
	v_mul_f32_e32 v4, v3, v2
	v_fma_f32 v5, -v1, v4, v3
	s_delay_alu instid0(VALU_DEP_1) | instskip(NEXT) | instid1(VALU_DEP_1)
	v_fmac_f32_e32 v4, v5, v2
	v_fma_f32 v3, -v1, v4, v3
	v_ashrrev_i32_e32 v1, 31, v0
	s_delay_alu instid0(VALU_DEP_2) | instskip(NEXT) | instid1(VALU_DEP_2)
	v_div_fmas_f32 v2, v3, v2, v4
	v_lshlrev_b64 v[0:1], 2, v[0:1]
	s_delay_alu instid0(VALU_DEP_2) | instskip(NEXT) | instid1(VALU_DEP_2)
	v_div_fixup_f32 v2, v2, v16, 1.0
	v_add_co_u32 v0, vcc_lo, s2, v0
	s_delay_alu instid0(VALU_DEP_3)
	v_add_co_ci_u32_e32 v1, vcc_lo, s3, v1, vcc_lo
.LBB31_12:                              ; =>This Inner Loop Header: Depth=1
	global_load_b32 v3, v[0:1], off
	s_add_i32 s4, s4, -1
	s_delay_alu instid0(SALU_CYCLE_1)
	s_cmp_lg_u32 s4, 0
	s_waitcnt vmcnt(0)
	v_mul_f32_e32 v3, v2, v3
	global_store_b32 v[0:1], v3, off
	v_add_co_u32 v0, vcc_lo, v0, 4
	v_add_co_ci_u32_e32 v1, vcc_lo, 0, v1, vcc_lo
	s_cbranch_scc1 .LBB31_12
.LBB31_13:
	s_nop 0
	s_sendmsg sendmsg(MSG_DEALLOC_VGPRS)
	s_endpgm
	.section	.rodata,"a",@progbits
	.p2align	6, 0x0
	.amdhsa_kernel _ZN4vllm3moe17topkGatingSoftmaxIfLi8ELi8ELi8ELi32ELb1ELi0ELNS0_23SharedExpertScoringFuncE0EEEvPKT_PKbPfiPiS9_iiiiii
		.amdhsa_group_segment_fixed_size 0
		.amdhsa_private_segment_fixed_size 0
		.amdhsa_kernarg_size 72
		.amdhsa_user_sgpr_count 15
		.amdhsa_user_sgpr_dispatch_ptr 0
		.amdhsa_user_sgpr_queue_ptr 0
		.amdhsa_user_sgpr_kernarg_segment_ptr 1
		.amdhsa_user_sgpr_dispatch_id 0
		.amdhsa_user_sgpr_private_segment_size 0
		.amdhsa_wavefront_size32 1
		.amdhsa_uses_dynamic_stack 0
		.amdhsa_enable_private_segment 0
		.amdhsa_system_sgpr_workgroup_id_x 1
		.amdhsa_system_sgpr_workgroup_id_y 0
		.amdhsa_system_sgpr_workgroup_id_z 0
		.amdhsa_system_sgpr_workgroup_info 0
		.amdhsa_system_vgpr_workitem_id 1
		.amdhsa_next_free_vgpr 25
		.amdhsa_next_free_sgpr 20
		.amdhsa_reserve_vcc 1
		.amdhsa_float_round_mode_32 0
		.amdhsa_float_round_mode_16_64 0
		.amdhsa_float_denorm_mode_32 3
		.amdhsa_float_denorm_mode_16_64 3
		.amdhsa_dx10_clamp 1
		.amdhsa_ieee_mode 1
		.amdhsa_fp16_overflow 0
		.amdhsa_workgroup_processor_mode 1
		.amdhsa_memory_ordered 1
		.amdhsa_forward_progress 0
		.amdhsa_shared_vgpr_count 0
		.amdhsa_exception_fp_ieee_invalid_op 0
		.amdhsa_exception_fp_denorm_src 0
		.amdhsa_exception_fp_ieee_div_zero 0
		.amdhsa_exception_fp_ieee_overflow 0
		.amdhsa_exception_fp_ieee_underflow 0
		.amdhsa_exception_fp_ieee_inexact 0
		.amdhsa_exception_int_div_zero 0
	.end_amdhsa_kernel
	.section	.text._ZN4vllm3moe17topkGatingSoftmaxIfLi8ELi8ELi8ELi32ELb1ELi0ELNS0_23SharedExpertScoringFuncE0EEEvPKT_PKbPfiPiS9_iiiiii,"axG",@progbits,_ZN4vllm3moe17topkGatingSoftmaxIfLi8ELi8ELi8ELi32ELb1ELi0ELNS0_23SharedExpertScoringFuncE0EEEvPKT_PKbPfiPiS9_iiiiii,comdat
.Lfunc_end31:
	.size	_ZN4vllm3moe17topkGatingSoftmaxIfLi8ELi8ELi8ELi32ELb1ELi0ELNS0_23SharedExpertScoringFuncE0EEEvPKT_PKbPfiPiS9_iiiiii, .Lfunc_end31-_ZN4vllm3moe17topkGatingSoftmaxIfLi8ELi8ELi8ELi32ELb1ELi0ELNS0_23SharedExpertScoringFuncE0EEEvPKT_PKbPfiPiS9_iiiiii
                                        ; -- End function
	.section	.AMDGPU.csdata,"",@progbits
; Kernel info:
; codeLenInByte = 1648
; NumSgprs: 22
; NumVgprs: 25
; ScratchSize: 0
; MemoryBound: 0
; FloatMode: 240
; IeeeMode: 1
; LDSByteSize: 0 bytes/workgroup (compile time only)
; SGPRBlocks: 2
; VGPRBlocks: 3
; NumSGPRsForWavesPerEU: 22
; NumVGPRsForWavesPerEU: 25
; Occupancy: 16
; WaveLimiterHint : 0
; COMPUTE_PGM_RSRC2:SCRATCH_EN: 0
; COMPUTE_PGM_RSRC2:USER_SGPR: 15
; COMPUTE_PGM_RSRC2:TRAP_HANDLER: 0
; COMPUTE_PGM_RSRC2:TGID_X_EN: 1
; COMPUTE_PGM_RSRC2:TGID_Y_EN: 0
; COMPUTE_PGM_RSRC2:TGID_Z_EN: 0
; COMPUTE_PGM_RSRC2:TIDIG_COMP_CNT: 1
	.section	.text._ZN4vllm3moe17topkGatingSoftmaxIfLi8ELi8ELi8ELi32ELb0ELi0ELNS0_23SharedExpertScoringFuncE0EEEvPKT_PKbPfiPiS9_iiiiii,"axG",@progbits,_ZN4vllm3moe17topkGatingSoftmaxIfLi8ELi8ELi8ELi32ELb0ELi0ELNS0_23SharedExpertScoringFuncE0EEEvPKT_PKbPfiPiS9_iiiiii,comdat
	.protected	_ZN4vllm3moe17topkGatingSoftmaxIfLi8ELi8ELi8ELi32ELb0ELi0ELNS0_23SharedExpertScoringFuncE0EEEvPKT_PKbPfiPiS9_iiiiii ; -- Begin function _ZN4vllm3moe17topkGatingSoftmaxIfLi8ELi8ELi8ELi32ELb0ELi0ELNS0_23SharedExpertScoringFuncE0EEEvPKT_PKbPfiPiS9_iiiiii
	.globl	_ZN4vllm3moe17topkGatingSoftmaxIfLi8ELi8ELi8ELi32ELb0ELi0ELNS0_23SharedExpertScoringFuncE0EEEvPKT_PKbPfiPiS9_iiiiii
	.p2align	8
	.type	_ZN4vllm3moe17topkGatingSoftmaxIfLi8ELi8ELi8ELi32ELb0ELi0ELNS0_23SharedExpertScoringFuncE0EEEvPKT_PKbPfiPiS9_iiiiii,@function
_ZN4vllm3moe17topkGatingSoftmaxIfLi8ELi8ELi8ELi32ELb0ELi0ELNS0_23SharedExpertScoringFuncE0EEEvPKT_PKbPfiPiS9_iiiiii: ; @_ZN4vllm3moe17topkGatingSoftmaxIfLi8ELi8ELi8ELi32ELb0ELi0ELNS0_23SharedExpertScoringFuncE0EEEvPKT_PKbPfiPiS9_iiiiii
; %bb.0:
	s_load_b32 s16, s[0:1], 0x18
	v_bfe_u32 v1, v0, 10, 10
	v_and_b32_e32 v18, 0x3ff, v0
	s_lshl_b32 s18, s15, 8
	s_mov_b32 s2, exec_lo
	s_delay_alu instid0(VALU_DEP_2) | instskip(NEXT) | instid1(VALU_DEP_1)
	v_lshlrev_b32_e32 v17, 5, v1
	v_add3_u32 v14, v17, v18, s18
	s_waitcnt lgkmcnt(0)
	s_delay_alu instid0(VALU_DEP_1)
	v_cmpx_gt_i32_e64 s16, v14
	s_cbranch_execz .LBB32_13
; %bb.1:
	s_clause 0x1
	s_load_b128 s[4:7], s[0:1], 0x0
	s_load_b64 s[12:13], s[0:1], 0x10
	s_waitcnt lgkmcnt(0)
	s_cmp_eq_u64 s[6:7], 0
	s_cbranch_scc1 .LBB32_3
; %bb.2:
	v_ashrrev_i32_e32 v1, 31, v14
	v_add_co_u32 v0, vcc_lo, s6, v14
	s_delay_alu instid0(VALU_DEP_2) | instskip(SKIP_3) | instid1(VALU_DEP_1)
	v_add_co_ci_u32_e32 v1, vcc_lo, s7, v1, vcc_lo
	global_load_u8 v0, v[0:1], off
	s_waitcnt vmcnt(0)
	v_and_b32_e32 v0, 1, v0
	v_cmp_eq_u32_e32 vcc_lo, 1, v0
	s_xor_b32 s2, vcc_lo, -1
	s_delay_alu instid0(SALU_CYCLE_1)
	s_or_not1_b32 s17, s2, exec_lo
	s_branch .LBB32_4
.LBB32_3:
	s_mov_b32 s17, -1
.LBB32_4:
	s_clause 0x1
	s_load_b64 s[14:15], s[0:1], 0x40
	s_load_b128 s[8:11], s[0:1], 0x30
	s_waitcnt lgkmcnt(0)
	v_mul_lo_u32 v0, v14, s15
	s_cmp_gt_i32 s8, 0
	s_cselect_b32 s15, -1, 0
	s_cmp_lt_i32 s8, 1
	s_delay_alu instid0(VALU_DEP_1) | instskip(NEXT) | instid1(VALU_DEP_1)
	v_ashrrev_i32_e32 v1, 31, v0
	v_lshlrev_b64 v[0:1], 2, v[0:1]
	s_delay_alu instid0(VALU_DEP_1) | instskip(NEXT) | instid1(VALU_DEP_2)
	v_add_co_u32 v0, vcc_lo, s4, v0
	v_add_co_ci_u32_e32 v1, vcc_lo, s5, v1, vcc_lo
	s_clause 0x1
	global_load_b128 v[4:7], v[0:1], off
	global_load_b128 v[0:3], v[0:1], off offset:16
	s_waitcnt vmcnt(1)
	v_cmp_lt_f32_e64 s7, v4, v5
	s_delay_alu instid0(VALU_DEP_1) | instskip(NEXT) | instid1(VALU_DEP_1)
	v_cndmask_b32_e64 v8, v4, v5, s7
	v_cmp_lt_f32_e64 s5, v8, v6
	s_delay_alu instid0(VALU_DEP_1) | instskip(NEXT) | instid1(VALU_DEP_1)
	v_cndmask_b32_e64 v8, v8, v6, s5
	v_cmp_lt_f32_e64 s6, v8, v7
	s_delay_alu instid0(VALU_DEP_1) | instskip(SKIP_1) | instid1(VALU_DEP_1)
	v_cndmask_b32_e64 v8, v8, v7, s6
	s_waitcnt vmcnt(0)
	v_cmp_lt_f32_e64 s4, v8, v0
	s_delay_alu instid0(VALU_DEP_1) | instskip(NEXT) | instid1(VALU_DEP_1)
	v_cndmask_b32_e64 v8, v8, v0, s4
	v_cmp_lt_f32_e64 s3, v8, v1
	s_delay_alu instid0(VALU_DEP_1) | instskip(NEXT) | instid1(VALU_DEP_1)
	v_cndmask_b32_e64 v8, v8, v1, s3
	;; [unrolled: 3-line block ×3, first 2 shown]
	v_cmp_lt_f32_e32 vcc_lo, v8, v3
	v_cndmask_b32_e32 v15, v8, v3, vcc_lo
	s_cbranch_scc1 .LBB32_8
; %bb.5:
	v_cndmask_b32_e64 v8, 0, 1, s7
	s_delay_alu instid0(VALU_DEP_2) | instskip(SKIP_1) | instid1(VALU_DEP_3)
	v_sub_f32_e32 v16, v15, v15
	v_mul_lo_u32 v10, v14, s14
	v_cndmask_b32_e64 v8, v8, 2, s5
	s_delay_alu instid0(VALU_DEP_3) | instskip(NEXT) | instid1(VALU_DEP_2)
	v_mul_f32_e32 v9, 0x3fb8aa3b, v16
	v_cndmask_b32_e64 v8, v8, 3, s6
	s_delay_alu instid0(VALU_DEP_2) | instskip(SKIP_1) | instid1(VALU_DEP_3)
	v_rndne_f32_e32 v21, v9
	v_fma_f32 v11, 0x3fb8aa3b, v16, -v9
	v_cndmask_b32_e64 v12, v8, 4, s4
	s_delay_alu instid0(VALU_DEP_3) | instskip(NEXT) | instid1(VALU_DEP_3)
	v_sub_f32_e32 v9, v9, v21
	v_fmac_f32_e32 v11, 0x32a5705f, v16
	s_load_b128 s[4:7], s[0:1], 0x20
	v_mul_lo_u32 v8, v14, s11
	v_cndmask_b32_e64 v13, v12, 5, s3
	v_mul_lo_u32 v12, v14, s8
	v_add_f32_e32 v11, v9, v11
	v_cvt_i32_f32_e32 v21, v21
	s_delay_alu instid0(VALU_DEP_4) | instskip(NEXT) | instid1(VALU_DEP_3)
	v_cndmask_b32_e64 v19, v13, 6, s2
	v_exp_f32_e32 v22, v11
	v_ashrrev_i32_e32 v9, 31, v8
	v_ashrrev_i32_e32 v11, 31, v10
	s_delay_alu instid0(VALU_DEP_3) | instskip(SKIP_1) | instid1(VALU_DEP_4)
	v_cndmask_b32_e64 v23, v19, 7, vcc_lo
	v_ashrrev_i32_e32 v13, 31, v12
	v_lshlrev_b64 v[19:20], 2, v[8:9]
	s_delay_alu instid0(VALU_DEP_4) | instskip(NEXT) | instid1(VALU_DEP_4)
	v_lshlrev_b64 v[8:9], 2, v[10:11]
	v_cmp_le_i32_e32 vcc_lo, s9, v23
	v_cmp_gt_i32_e64 s0, s10, v23
	s_delay_alu instid0(TRANS32_DEP_1) | instskip(SKIP_2) | instid1(VALU_DEP_4)
	v_ldexp_f32 v21, v22, v21
	v_lshlrev_b64 v[10:11], 2, v[12:13]
	v_add_co_u32 v12, s1, s12, v19
	s_and_b32 s0, vcc_lo, s0
	v_cmp_ngt_f32_e32 vcc_lo, 0xc2ce8ed0, v16
	v_subrev_nc_u32_e32 v22, s9, v23
	v_add_co_ci_u32_e64 v13, s1, s13, v20, s1
	v_cndmask_b32_e32 v21, 0, v21, vcc_lo
	s_waitcnt lgkmcnt(0)
	v_add_co_u32 v19, vcc_lo, s4, v8
	v_add_co_ci_u32_e32 v20, vcc_lo, s5, v9, vcc_lo
	s_and_b32 vcc_lo, s17, s0
	s_cmp_eq_u32 s8, 1
	v_cndmask_b32_e32 v24, 8, v22, vcc_lo
	v_cmp_nlt_f32_e32 vcc_lo, 0x42b17218, v16
	v_cndmask_b32_e32 v16, 0x7f800000, v21, vcc_lo
	v_add_co_u32 v21, vcc_lo, s6, v10
	v_add_co_ci_u32_e32 v22, vcc_lo, s7, v11, vcc_lo
	v_cmp_ne_u32_e32 vcc_lo, 7, v23
	global_store_b32 v[12:13], v16, off
	global_store_b32 v[19:20], v24, off
	;; [unrolled: 1-line block ×3, first 2 shown]
	v_cndmask_b32_e32 v3, 0xff800000, v3, vcc_lo
	v_cmp_ne_u32_e32 vcc_lo, 6, v23
	v_cndmask_b32_e32 v2, 0xff800000, v2, vcc_lo
	v_cmp_ne_u32_e32 vcc_lo, 5, v23
	;; [unrolled: 2-line block ×7, first 2 shown]
	v_cndmask_b32_e32 v4, 0xff800000, v4, vcc_lo
	s_cbranch_scc1 .LBB32_9
; %bb.6:
	v_add_co_u32 v10, vcc_lo, v10, s6
	v_add_co_ci_u32_e32 v11, vcc_lo, s7, v11, vcc_lo
	v_add_co_u32 v19, vcc_lo, v8, s4
	v_add_co_ci_u32_e32 v20, vcc_lo, s5, v9, vcc_lo
	s_delay_alu instid0(VALU_DEP_4) | instskip(NEXT) | instid1(VALU_DEP_4)
	v_add_co_u32 v8, vcc_lo, v10, 4
	v_add_co_ci_u32_e32 v9, vcc_lo, 0, v11, vcc_lo
	s_delay_alu instid0(VALU_DEP_4) | instskip(NEXT) | instid1(VALU_DEP_4)
	v_add_co_u32 v10, vcc_lo, v19, 4
	v_add_co_ci_u32_e32 v11, vcc_lo, 0, v20, vcc_lo
	s_add_i32 s18, s18, s16
	v_add_co_u32 v12, vcc_lo, v12, 4
	v_add_co_ci_u32_e32 v13, vcc_lo, 0, v13, vcc_lo
	v_add3_u32 v17, s18, v18, v17
	s_add_i32 s2, s8, -1
.LBB32_7:                               ; =>This Inner Loop Header: Depth=1
	v_cmp_gt_f32_e32 vcc_lo, v5, v4
	s_add_i32 s2, s2, -1
	v_cndmask_b32_e32 v18, v4, v5, vcc_lo
	v_cndmask_b32_e64 v19, 0, 1, vcc_lo
	s_delay_alu instid0(VALU_DEP_2) | instskip(SKIP_1) | instid1(VALU_DEP_3)
	v_cmp_gt_f32_e32 vcc_lo, v6, v18
	v_cndmask_b32_e32 v18, v18, v6, vcc_lo
	v_cndmask_b32_e64 v19, v19, 2, vcc_lo
	s_delay_alu instid0(VALU_DEP_2) | instskip(SKIP_1) | instid1(VALU_DEP_3)
	v_cmp_gt_f32_e32 vcc_lo, v7, v18
	;; [unrolled: 4-line block ×5, first 2 shown]
	v_cndmask_b32_e32 v18, v18, v2, vcc_lo
	v_cndmask_b32_e64 v19, v19, 6, vcc_lo
	s_delay_alu instid0(VALU_DEP_2) | instskip(NEXT) | instid1(VALU_DEP_2)
	v_cmp_gt_f32_e32 vcc_lo, v3, v18
	v_cndmask_b32_e64 v19, v19, 7, vcc_lo
	v_cndmask_b32_e32 v18, v18, v3, vcc_lo
	s_delay_alu instid0(VALU_DEP_2) | instskip(NEXT) | instid1(VALU_DEP_2)
	v_cmp_ne_u32_e64 s1, 7, v19
	v_sub_f32_e32 v18, v18, v15
	v_cmp_le_i32_e32 vcc_lo, s9, v19
	v_cmp_gt_i32_e64 s0, s10, v19
	v_subrev_nc_u32_e32 v21, s9, v19
	v_cndmask_b32_e64 v3, 0xff800000, v3, s1
	v_cmp_ne_u32_e64 s1, 6, v19
	v_mul_f32_e32 v20, 0x3fb8aa3b, v18
	s_and_b32 s0, vcc_lo, s0
	s_delay_alu instid0(SALU_CYCLE_1) | instskip(NEXT) | instid1(VALU_DEP_2)
	s_and_b32 vcc_lo, s17, s0
	v_cndmask_b32_e64 v2, 0xff800000, v2, s1
	v_cmp_ne_u32_e64 s1, 5, v19
	v_rndne_f32_e32 v22, v20
	v_cndmask_b32_e32 v21, 8, v21, vcc_lo
	global_store_b32 v[10:11], v21, off
	global_store_b32 v[8:9], v17, off
	v_cndmask_b32_e64 v1, 0xff800000, v1, s1
	v_cmp_ne_u32_e64 s1, 4, v19
	v_add_co_u32 v8, vcc_lo, v8, 4
	v_add_co_ci_u32_e32 v9, vcc_lo, 0, v9, vcc_lo
	s_delay_alu instid0(VALU_DEP_3) | instskip(SKIP_3) | instid1(VALU_DEP_3)
	v_cndmask_b32_e64 v0, 0xff800000, v0, s1
	v_cmp_ne_u32_e64 s1, 3, v19
	v_add_co_u32 v10, vcc_lo, v10, 4
	v_add_co_ci_u32_e32 v11, vcc_lo, 0, v11, vcc_lo
	v_cndmask_b32_e64 v7, 0xff800000, v7, s1
	v_cmp_ne_u32_e64 s1, 2, v19
	v_cmp_ngt_f32_e32 vcc_lo, 0xc2ce8ed0, v18
	v_add_nc_u32_e32 v17, s16, v17
	s_cmp_eq_u32 s2, 0
	s_delay_alu instid0(VALU_DEP_3) | instskip(SKIP_1) | instid1(VALU_DEP_1)
	v_cndmask_b32_e64 v6, 0xff800000, v6, s1
	v_cmp_ne_u32_e64 s1, 1, v19
	v_cndmask_b32_e64 v5, 0xff800000, v5, s1
	v_cmp_ne_u32_e64 s1, 0, v19
	v_fma_f32 v19, 0x3fb8aa3b, v18, -v20
	v_sub_f32_e32 v20, v20, v22
	v_cvt_i32_f32_e32 v22, v22
	s_delay_alu instid0(VALU_DEP_4) | instskip(NEXT) | instid1(VALU_DEP_4)
	v_cndmask_b32_e64 v4, 0xff800000, v4, s1
	v_fmac_f32_e32 v19, 0x32a5705f, v18
	s_delay_alu instid0(VALU_DEP_1) | instskip(NEXT) | instid1(VALU_DEP_1)
	v_add_f32_e32 v19, v20, v19
	v_exp_f32_e32 v19, v19
	s_waitcnt_depctr 0xfff
	v_ldexp_f32 v19, v19, v22
	s_delay_alu instid0(VALU_DEP_1) | instskip(SKIP_1) | instid1(VALU_DEP_2)
	v_cndmask_b32_e32 v19, 0, v19, vcc_lo
	v_cmp_nlt_f32_e32 vcc_lo, 0x42b17218, v18
	v_cndmask_b32_e32 v18, 0x7f800000, v19, vcc_lo
	global_store_b32 v[12:13], v18, off
	v_add_co_u32 v12, vcc_lo, v12, 4
	v_add_f32_e32 v16, v16, v18
	v_add_co_ci_u32_e32 v13, vcc_lo, 0, v13, vcc_lo
	s_cbranch_scc0 .LBB32_7
	s_branch .LBB32_9
.LBB32_8:
	v_mov_b32_e32 v16, 0
.LBB32_9:
	s_delay_alu instid0(VALU_DEP_2) | instskip(NEXT) | instid1(VALU_DEP_2)
	v_sub_f32_e32 v5, v5, v15
	v_sub_f32_e32 v4, v4, v15
	;; [unrolled: 1-line block ×5, first 2 shown]
	s_delay_alu instid0(VALU_DEP_4) | instskip(SKIP_1) | instid1(VALU_DEP_2)
	v_dual_mul_f32 v9, 0x3fb8aa3b, v5 :: v_dual_mul_f32 v8, 0x3fb8aa3b, v4
	v_cmp_ngt_f32_e32 vcc_lo, 0xc2ce8ed0, v4
	v_fma_f32 v17, 0x3fb8aa3b, v5, -v9
	v_sub_f32_e32 v6, v6, v15
	s_delay_alu instid0(VALU_DEP_4) | instskip(SKIP_4) | instid1(VALU_DEP_3)
	v_fma_f32 v12, 0x3fb8aa3b, v4, -v8
	v_rndne_f32_e32 v13, v8
	v_rndne_f32_e32 v18, v9
	v_fmac_f32_e32 v17, 0x32a5705f, v5
	v_dual_sub_f32 v7, v7, v15 :: v_dual_mul_f32 v10, 0x3fb8aa3b, v6
	v_dual_fmac_f32 v12, 0x32a5705f, v4 :: v_dual_sub_f32 v9, v9, v18
	s_delay_alu instid0(VALU_DEP_2) | instskip(NEXT) | instid1(VALU_DEP_3)
	v_dual_sub_f32 v8, v8, v13 :: v_dual_mul_f32 v11, 0x3fb8aa3b, v7
	v_fma_f32 v19, 0x3fb8aa3b, v6, -v10
	v_rndne_f32_e32 v20, v10
	s_delay_alu instid0(VALU_DEP_3) | instskip(NEXT) | instid1(VALU_DEP_4)
	v_dual_add_f32 v9, v9, v17 :: v_dual_add_f32 v8, v8, v12
	v_rndne_f32_e32 v22, v11
	s_delay_alu instid0(VALU_DEP_3) | instskip(SKIP_1) | instid1(VALU_DEP_4)
	v_dual_fmac_f32 v19, 0x32a5705f, v6 :: v_dual_sub_f32 v10, v10, v20
	v_fma_f32 v21, 0x3fb8aa3b, v7, -v11
	v_exp_f32_e32 v8, v8
	s_delay_alu instid0(VALU_DEP_3) | instskip(SKIP_4) | instid1(VALU_DEP_3)
	v_sub_f32_e32 v11, v11, v22
	v_exp_f32_e32 v9, v9
	v_add_f32_e32 v10, v10, v19
	v_cvt_i32_f32_e32 v12, v13
	v_cvt_i32_f32_e32 v13, v18
	v_exp_f32_e32 v10, v10
	s_delay_alu instid0(TRANS32_DEP_3) | instid1(VALU_DEP_2)
	v_ldexp_f32 v8, v8, v12
	v_fmac_f32_e32 v21, 0x32a5705f, v7
	v_cvt_i32_f32_e32 v12, v20
	s_delay_alu instid0(TRANS32_DEP_2) | instskip(NEXT) | instid1(VALU_DEP_4)
	v_ldexp_f32 v9, v9, v13
	v_dual_mul_f32 v13, 0x3fb8aa3b, v3 :: v_dual_cndmask_b32 v8, 0, v8
	v_cmp_ngt_f32_e32 vcc_lo, 0xc2ce8ed0, v5
	s_delay_alu instid0(TRANS32_DEP_1) | instid1(VALU_DEP_4)
	v_ldexp_f32 v10, v10, v12
	s_delay_alu instid0(VALU_DEP_4) | instskip(SKIP_3) | instid1(VALU_DEP_2)
	v_cndmask_b32_e32 v9, 0, v9, vcc_lo
	v_cmp_nlt_f32_e32 vcc_lo, 0x42b17218, v4
	v_dual_add_f32 v11, v11, v21 :: v_dual_cndmask_b32 v4, 0x7f800000, v8
	v_cmp_nlt_f32_e32 vcc_lo, 0x42b17218, v5
	v_exp_f32_e32 v11, v11
	v_cndmask_b32_e32 v5, 0x7f800000, v9, vcc_lo
	v_cmp_ngt_f32_e32 vcc_lo, 0xc2ce8ed0, v6
	v_cvt_i32_f32_e32 v9, v22
	v_cndmask_b32_e32 v8, 0, v10, vcc_lo
	v_cmp_nlt_f32_e32 vcc_lo, 0x42b17218, v6
	v_add_f32_e32 v4, v4, v5
	v_mul_f32_e32 v6, 0x3fb8aa3b, v0
	s_delay_alu instid0(VALU_DEP_4) | instskip(NEXT) | instid1(TRANS32_DEP_1)
	v_cndmask_b32_e32 v5, 0x7f800000, v8, vcc_lo
	v_ldexp_f32 v8, v11, v9
	s_delay_alu instid0(VALU_DEP_3) | instskip(SKIP_1) | instid1(VALU_DEP_4)
	v_rndne_f32_e32 v9, v6
	v_cmp_ngt_f32_e32 vcc_lo, 0xc2ce8ed0, v7
	v_add_f32_e32 v4, v4, v5
	v_fma_f32 v5, 0x3fb8aa3b, v0, -v6
	s_delay_alu instid0(VALU_DEP_4) | instskip(SKIP_1) | instid1(VALU_DEP_3)
	v_sub_f32_e32 v6, v6, v9
	v_cvt_i32_f32_e32 v9, v9
	v_fmac_f32_e32 v5, 0x32a5705f, v0
	v_cndmask_b32_e32 v8, 0, v8, vcc_lo
	v_cmp_nlt_f32_e32 vcc_lo, 0x42b17218, v7
	s_delay_alu instid0(VALU_DEP_3) | instskip(NEXT) | instid1(VALU_DEP_3)
	v_add_f32_e32 v5, v6, v5
	v_cndmask_b32_e32 v7, 0x7f800000, v8, vcc_lo
	v_mul_f32_e32 v8, 0x3fb8aa3b, v1
	v_cmp_ngt_f32_e32 vcc_lo, 0xc2ce8ed0, v0
	s_delay_alu instid0(VALU_DEP_4) | instskip(NEXT) | instid1(VALU_DEP_2)
	v_exp_f32_e32 v5, v5
	v_fma_f32 v6, 0x3fb8aa3b, v1, -v8
	s_waitcnt_depctr 0xfff
	v_ldexp_f32 v5, v5, v9
	v_sub_f32_e32 v2, v2, v15
	v_rndne_f32_e32 v15, v13
	v_fmac_f32_e32 v6, 0x32a5705f, v1
	s_delay_alu instid0(VALU_DEP_3) | instskip(SKIP_1) | instid1(VALU_DEP_4)
	v_dual_cndmask_b32 v5, 0, v5 :: v_dual_mul_f32 v10, 0x3fb8aa3b, v2
	v_cmp_nlt_f32_e32 vcc_lo, 0x42b17218, v0
	v_sub_f32_e32 v9, v13, v15
	s_delay_alu instid0(VALU_DEP_3)
	v_fma_f32 v11, 0x3fb8aa3b, v2, -v10
	v_add_f32_e32 v4, v4, v7
	v_rndne_f32_e32 v7, v8
	v_rndne_f32_e32 v12, v10
	v_cndmask_b32_e32 v0, 0x7f800000, v5, vcc_lo
	v_fmac_f32_e32 v11, 0x32a5705f, v2
	v_cmp_ngt_f32_e32 vcc_lo, 0xc2ce8ed0, v1
	v_sub_f32_e32 v8, v8, v7
	v_cvt_i32_f32_e32 v7, v7
	v_cvt_i32_f32_e32 v5, v12
	v_add_f32_e32 v0, v4, v0
	s_delay_alu instid0(VALU_DEP_4) | instskip(NEXT) | instid1(VALU_DEP_1)
	v_add_f32_e32 v6, v8, v6
	v_exp_f32_e32 v6, v6
	s_waitcnt_depctr 0xfff
	v_ldexp_f32 v6, v6, v7
	s_delay_alu instid0(VALU_DEP_1) | instskip(SKIP_3) | instid1(VALU_DEP_2)
	v_cndmask_b32_e32 v6, 0, v6, vcc_lo
	v_cmp_nlt_f32_e32 vcc_lo, 0x42b17218, v1
	v_sub_f32_e32 v8, v10, v12
	v_fma_f32 v10, 0x3fb8aa3b, v3, -v13
	v_dual_cndmask_b32 v1, 0x7f800000, v6 :: v_dual_add_f32 v8, v8, v11
	s_delay_alu instid0(VALU_DEP_2) | instskip(SKIP_1) | instid1(VALU_DEP_3)
	v_fmac_f32_e32 v10, 0x32a5705f, v3
	v_cmp_ngt_f32_e32 vcc_lo, 0xc2ce8ed0, v2
	v_add_f32_e32 v0, v0, v1
	s_delay_alu instid0(VALU_DEP_4) | instskip(NEXT) | instid1(VALU_DEP_3)
	v_exp_f32_e32 v8, v8
	v_add_f32_e32 v9, v9, v10
	s_delay_alu instid0(VALU_DEP_1) | instskip(SKIP_3) | instid1(VALU_DEP_2)
	v_exp_f32_e32 v7, v9
	s_waitcnt_depctr 0xfff
	v_ldexp_f32 v4, v8, v5
	v_cvt_i32_f32_e32 v5, v15
	v_cndmask_b32_e32 v4, 0, v4, vcc_lo
	v_cmp_nlt_f32_e32 vcc_lo, 0x42b17218, v2
	s_delay_alu instid0(VALU_DEP_3) | instskip(NEXT) | instid1(VALU_DEP_3)
	v_ldexp_f32 v5, v7, v5
	v_cndmask_b32_e32 v1, 0x7f800000, v4, vcc_lo
	v_cmp_ngt_f32_e32 vcc_lo, 0xc2ce8ed0, v3
	s_delay_alu instid0(VALU_DEP_2) | instskip(NEXT) | instid1(VALU_DEP_4)
	v_add_f32_e32 v0, v0, v1
	v_cndmask_b32_e32 v2, 0, v5, vcc_lo
	v_cmp_nlt_f32_e32 vcc_lo, 0x42b17218, v3
	s_delay_alu instid0(VALU_DEP_2) | instskip(NEXT) | instid1(VALU_DEP_1)
	v_cndmask_b32_e32 v1, 0x7f800000, v2, vcc_lo
	v_add_f32_e32 v0, v0, v1
	s_delay_alu instid0(VALU_DEP_1) | instskip(NEXT) | instid1(VALU_DEP_1)
	v_add_f32_e32 v0, v16, v0
	v_cmp_neq_f32_e32 vcc_lo, 0, v0
	s_and_b32 exec_lo, exec_lo, vcc_lo
	s_cbranch_execz .LBB32_13
; %bb.10:
	s_and_not1_b32 vcc_lo, exec_lo, s15
	s_cbranch_vccnz .LBB32_13
; %bb.11:
	v_div_scale_f32 v2, null, v0, v0, 1.0
	v_div_scale_f32 v4, vcc_lo, 1.0, v0, 1.0
	s_delay_alu instid0(VALU_DEP_2) | instskip(SKIP_2) | instid1(VALU_DEP_1)
	v_rcp_f32_e32 v3, v2
	s_waitcnt_depctr 0xfff
	v_fma_f32 v1, -v2, v3, 1.0
	v_fmac_f32_e32 v3, v1, v3
	v_mul_lo_u32 v1, v14, s11
	s_delay_alu instid0(VALU_DEP_2) | instskip(NEXT) | instid1(VALU_DEP_1)
	v_mul_f32_e32 v5, v4, v3
	v_fma_f32 v6, -v2, v5, v4
	s_delay_alu instid0(VALU_DEP_1) | instskip(NEXT) | instid1(VALU_DEP_1)
	v_fmac_f32_e32 v5, v6, v3
	v_fma_f32 v4, -v2, v5, v4
	v_ashrrev_i32_e32 v2, 31, v1
	s_delay_alu instid0(VALU_DEP_2) | instskip(NEXT) | instid1(VALU_DEP_2)
	v_div_fmas_f32 v5, v4, v3, v5
	v_lshlrev_b64 v[3:4], 2, v[1:2]
	s_delay_alu instid0(VALU_DEP_2) | instskip(NEXT) | instid1(VALU_DEP_2)
	v_div_fixup_f32 v2, v5, v0, 1.0
	v_add_co_u32 v0, vcc_lo, s12, v3
	s_delay_alu instid0(VALU_DEP_3)
	v_add_co_ci_u32_e32 v1, vcc_lo, s13, v4, vcc_lo
.LBB32_12:                              ; =>This Inner Loop Header: Depth=1
	global_load_b32 v3, v[0:1], off
	s_add_i32 s8, s8, -1
	s_delay_alu instid0(SALU_CYCLE_1)
	s_cmp_lg_u32 s8, 0
	s_waitcnt vmcnt(0)
	v_mul_f32_e32 v3, v2, v3
	global_store_b32 v[0:1], v3, off
	v_add_co_u32 v0, vcc_lo, v0, 4
	v_add_co_ci_u32_e32 v1, vcc_lo, 0, v1, vcc_lo
	s_cbranch_scc1 .LBB32_12
.LBB32_13:
	s_nop 0
	s_sendmsg sendmsg(MSG_DEALLOC_VGPRS)
	s_endpgm
	.section	.rodata,"a",@progbits
	.p2align	6, 0x0
	.amdhsa_kernel _ZN4vllm3moe17topkGatingSoftmaxIfLi8ELi8ELi8ELi32ELb0ELi0ELNS0_23SharedExpertScoringFuncE0EEEvPKT_PKbPfiPiS9_iiiiii
		.amdhsa_group_segment_fixed_size 0
		.amdhsa_private_segment_fixed_size 0
		.amdhsa_kernarg_size 72
		.amdhsa_user_sgpr_count 15
		.amdhsa_user_sgpr_dispatch_ptr 0
		.amdhsa_user_sgpr_queue_ptr 0
		.amdhsa_user_sgpr_kernarg_segment_ptr 1
		.amdhsa_user_sgpr_dispatch_id 0
		.amdhsa_user_sgpr_private_segment_size 0
		.amdhsa_wavefront_size32 1
		.amdhsa_uses_dynamic_stack 0
		.amdhsa_enable_private_segment 0
		.amdhsa_system_sgpr_workgroup_id_x 1
		.amdhsa_system_sgpr_workgroup_id_y 0
		.amdhsa_system_sgpr_workgroup_id_z 0
		.amdhsa_system_sgpr_workgroup_info 0
		.amdhsa_system_vgpr_workitem_id 1
		.amdhsa_next_free_vgpr 25
		.amdhsa_next_free_sgpr 19
		.amdhsa_reserve_vcc 1
		.amdhsa_float_round_mode_32 0
		.amdhsa_float_round_mode_16_64 0
		.amdhsa_float_denorm_mode_32 3
		.amdhsa_float_denorm_mode_16_64 3
		.amdhsa_dx10_clamp 1
		.amdhsa_ieee_mode 1
		.amdhsa_fp16_overflow 0
		.amdhsa_workgroup_processor_mode 1
		.amdhsa_memory_ordered 1
		.amdhsa_forward_progress 0
		.amdhsa_shared_vgpr_count 0
		.amdhsa_exception_fp_ieee_invalid_op 0
		.amdhsa_exception_fp_denorm_src 0
		.amdhsa_exception_fp_ieee_div_zero 0
		.amdhsa_exception_fp_ieee_overflow 0
		.amdhsa_exception_fp_ieee_underflow 0
		.amdhsa_exception_fp_ieee_inexact 0
		.amdhsa_exception_int_div_zero 0
	.end_amdhsa_kernel
	.section	.text._ZN4vllm3moe17topkGatingSoftmaxIfLi8ELi8ELi8ELi32ELb0ELi0ELNS0_23SharedExpertScoringFuncE0EEEvPKT_PKbPfiPiS9_iiiiii,"axG",@progbits,_ZN4vllm3moe17topkGatingSoftmaxIfLi8ELi8ELi8ELi32ELb0ELi0ELNS0_23SharedExpertScoringFuncE0EEEvPKT_PKbPfiPiS9_iiiiii,comdat
.Lfunc_end32:
	.size	_ZN4vllm3moe17topkGatingSoftmaxIfLi8ELi8ELi8ELi32ELb0ELi0ELNS0_23SharedExpertScoringFuncE0EEEvPKT_PKbPfiPiS9_iiiiii, .Lfunc_end32-_ZN4vllm3moe17topkGatingSoftmaxIfLi8ELi8ELi8ELi32ELb0ELi0ELNS0_23SharedExpertScoringFuncE0EEEvPKT_PKbPfiPiS9_iiiiii
                                        ; -- End function
	.section	.AMDGPU.csdata,"",@progbits
; Kernel info:
; codeLenInByte = 2524
; NumSgprs: 21
; NumVgprs: 25
; ScratchSize: 0
; MemoryBound: 0
; FloatMode: 240
; IeeeMode: 1
; LDSByteSize: 0 bytes/workgroup (compile time only)
; SGPRBlocks: 2
; VGPRBlocks: 3
; NumSGPRsForWavesPerEU: 21
; NumVGPRsForWavesPerEU: 25
; Occupancy: 16
; WaveLimiterHint : 0
; COMPUTE_PGM_RSRC2:SCRATCH_EN: 0
; COMPUTE_PGM_RSRC2:USER_SGPR: 15
; COMPUTE_PGM_RSRC2:TRAP_HANDLER: 0
; COMPUTE_PGM_RSRC2:TGID_X_EN: 1
; COMPUTE_PGM_RSRC2:TGID_Y_EN: 0
; COMPUTE_PGM_RSRC2:TGID_Z_EN: 0
; COMPUTE_PGM_RSRC2:TIDIG_COMP_CNT: 1
	.section	.text._ZN4vllm3moe17topkGatingSoftmaxIfLi8ELi8ELi8ELi32ELb1ELi1ELNS0_23SharedExpertScoringFuncE1EEEvPKT_PKbPfiPiS9_iiiiii,"axG",@progbits,_ZN4vllm3moe17topkGatingSoftmaxIfLi8ELi8ELi8ELi32ELb1ELi1ELNS0_23SharedExpertScoringFuncE1EEEvPKT_PKbPfiPiS9_iiiiii,comdat
	.protected	_ZN4vllm3moe17topkGatingSoftmaxIfLi8ELi8ELi8ELi32ELb1ELi1ELNS0_23SharedExpertScoringFuncE1EEEvPKT_PKbPfiPiS9_iiiiii ; -- Begin function _ZN4vllm3moe17topkGatingSoftmaxIfLi8ELi8ELi8ELi32ELb1ELi1ELNS0_23SharedExpertScoringFuncE1EEEvPKT_PKbPfiPiS9_iiiiii
	.globl	_ZN4vllm3moe17topkGatingSoftmaxIfLi8ELi8ELi8ELi32ELb1ELi1ELNS0_23SharedExpertScoringFuncE1EEEvPKT_PKbPfiPiS9_iiiiii
	.p2align	8
	.type	_ZN4vllm3moe17topkGatingSoftmaxIfLi8ELi8ELi8ELi32ELb1ELi1ELNS0_23SharedExpertScoringFuncE1EEEvPKT_PKbPfiPiS9_iiiiii,@function
_ZN4vllm3moe17topkGatingSoftmaxIfLi8ELi8ELi8ELi32ELb1ELi1ELNS0_23SharedExpertScoringFuncE1EEEvPKT_PKbPfiPiS9_iiiiii: ; @_ZN4vllm3moe17topkGatingSoftmaxIfLi8ELi8ELi8ELi32ELb1ELi1ELNS0_23SharedExpertScoringFuncE1EEEvPKT_PKbPfiPiS9_iiiiii
; %bb.0:
	s_load_b32 s12, s[0:1], 0x18
	v_bfe_u32 v1, v0, 10, 10
	v_and_b32_e32 v18, 0x3ff, v0
	s_lshl_b32 s14, s15, 8
	s_mov_b32 s2, exec_lo
	s_delay_alu instid0(VALU_DEP_2) | instskip(NEXT) | instid1(VALU_DEP_1)
	v_lshlrev_b32_e32 v17, 5, v1
	v_add3_u32 v19, v17, v18, s14
	s_waitcnt lgkmcnt(0)
	s_delay_alu instid0(VALU_DEP_1)
	v_cmpx_gt_i32_e64 s12, v19
	s_cbranch_execz .LBB33_12
; %bb.1:
	s_clause 0x1
	s_load_b128 s[4:7], s[0:1], 0x0
	s_load_b64 s[2:3], s[0:1], 0x10
	s_waitcnt lgkmcnt(0)
	s_cmp_eq_u64 s[6:7], 0
	s_cbranch_scc1 .LBB33_3
; %bb.2:
	v_ashrrev_i32_e32 v1, 31, v19
	v_add_co_u32 v0, vcc_lo, s6, v19
	s_delay_alu instid0(VALU_DEP_2) | instskip(SKIP_3) | instid1(VALU_DEP_1)
	v_add_co_ci_u32_e32 v1, vcc_lo, s7, v1, vcc_lo
	global_load_u8 v0, v[0:1], off
	s_waitcnt vmcnt(0)
	v_and_b32_e32 v0, 1, v0
	v_cmp_eq_u32_e32 vcc_lo, 1, v0
	s_xor_b32 s6, vcc_lo, -1
	s_delay_alu instid0(SALU_CYCLE_1)
	s_or_not1_b32 s13, s6, exec_lo
	s_branch .LBB33_4
.LBB33_3:
	s_mov_b32 s13, -1
.LBB33_4:
	s_load_b64 s[8:9], s[0:1], 0x40
	v_mov_b32_e32 v16, 0
	s_waitcnt lgkmcnt(0)
	v_mul_lo_u32 v0, v19, s9
	s_delay_alu instid0(VALU_DEP_1) | instskip(NEXT) | instid1(VALU_DEP_1)
	v_ashrrev_i32_e32 v1, 31, v0
	v_lshlrev_b64 v[0:1], 2, v[0:1]
	s_delay_alu instid0(VALU_DEP_1) | instskip(NEXT) | instid1(VALU_DEP_2)
	v_add_co_u32 v0, vcc_lo, s4, v0
	v_add_co_ci_u32_e32 v1, vcc_lo, s5, v1, vcc_lo
	s_clause 0x2
	global_load_b32 v8, v[0:1], off offset:32
	global_load_b128 v[4:7], v[0:1], off offset:16
	global_load_b128 v[0:3], v[0:1], off
	s_load_b128 s[4:7], s[0:1], 0x30
	s_waitcnt lgkmcnt(0)
	s_cmp_gt_i32 s4, 0
	s_waitcnt vmcnt(2)
	v_mul_f32_e32 v9, 0xbfb8aa3b, v8
	v_cmp_nlt_f32_e32 vcc_lo, 0x42ce8ed0, v8
	s_delay_alu instid0(VALU_DEP_2) | instskip(SKIP_1) | instid1(VALU_DEP_1)
	v_fma_f32 v10, 0xbfb8aa3b, v8, -v9
	v_rndne_f32_e32 v11, v9
	v_dual_fmamk_f32 v10, v8, 0xb2a5705f, v10 :: v_dual_sub_f32 v9, v9, v11
	s_delay_alu instid0(VALU_DEP_1) | instskip(SKIP_1) | instid1(VALU_DEP_2)
	v_add_f32_e32 v9, v9, v10
	v_cvt_i32_f32_e32 v10, v11
	v_exp_f32_e32 v9, v9
	s_waitcnt_depctr 0xfff
	v_ldexp_f32 v9, v9, v10
	s_delay_alu instid0(VALU_DEP_1) | instskip(SKIP_1) | instid1(VALU_DEP_2)
	v_cndmask_b32_e32 v9, 0, v9, vcc_lo
	v_cmp_ngt_f32_e32 vcc_lo, 0xc2b17218, v8
	v_cndmask_b32_e32 v8, 0x7f800000, v9, vcc_lo
	s_delay_alu instid0(VALU_DEP_1) | instskip(NEXT) | instid1(VALU_DEP_1)
	v_add_f32_e32 v11, 1.0, v8
	v_div_scale_f32 v12, null, v11, v11, 1.0
	v_div_scale_f32 v14, vcc_lo, 1.0, v11, 1.0
	s_delay_alu instid0(VALU_DEP_2) | instskip(SKIP_2) | instid1(VALU_DEP_1)
	v_rcp_f32_e32 v13, v12
	s_waitcnt_depctr 0xfff
	v_fma_f32 v8, -v12, v13, 1.0
	v_fmac_f32_e32 v13, v8, v13
	v_mul_lo_u32 v8, v19, s7
	s_cselect_b32 s7, -1, 0
	s_cmp_lt_i32 s4, 1
	s_delay_alu instid0(VALU_DEP_2) | instskip(NEXT) | instid1(VALU_DEP_2)
	v_mul_f32_e32 v15, v14, v13
	v_add_nc_u32_e32 v9, s4, v8
	s_delay_alu instid0(VALU_DEP_2) | instskip(NEXT) | instid1(VALU_DEP_1)
	v_fma_f32 v10, -v12, v15, v14
	v_fmac_f32_e32 v15, v10, v13
	s_delay_alu instid0(VALU_DEP_3) | instskip(NEXT) | instid1(VALU_DEP_2)
	v_ashrrev_i32_e32 v10, 31, v9
	v_fma_f32 v12, -v12, v15, v14
	s_delay_alu instid0(VALU_DEP_2) | instskip(NEXT) | instid1(VALU_DEP_2)
	v_lshlrev_b64 v[9:10], 2, v[9:10]
	v_div_fmas_f32 v12, v12, v13, v15
	s_delay_alu instid0(VALU_DEP_2) | instskip(NEXT) | instid1(VALU_DEP_3)
	v_add_co_u32 v9, vcc_lo, s2, v9
	v_add_co_ci_u32_e32 v10, vcc_lo, s3, v10, vcc_lo
	s_delay_alu instid0(VALU_DEP_3)
	v_div_fixup_f32 v11, v12, v11, 1.0
	global_store_b32 v[9:10], v11, off
	s_cbranch_scc1 .LBB33_8
; %bb.5:
	s_waitcnt vmcnt(0)
	v_cmp_lt_f32_e32 vcc_lo, v0, v1
	v_mul_lo_u32 v11, v19, s8
	s_load_b128 s[8:11], s[0:1], 0x20
	v_mul_lo_u32 v13, v19, s4
	v_cndmask_b32_e32 v10, v0, v1, vcc_lo
	v_cndmask_b32_e64 v9, 0, 1, vcc_lo
	s_delay_alu instid0(VALU_DEP_2) | instskip(SKIP_1) | instid1(VALU_DEP_3)
	v_cmp_lt_f32_e32 vcc_lo, v10, v2
	v_cndmask_b32_e32 v10, v10, v2, vcc_lo
	v_cndmask_b32_e64 v9, v9, 2, vcc_lo
	s_delay_alu instid0(VALU_DEP_2) | instskip(SKIP_1) | instid1(VALU_DEP_3)
	v_cmp_lt_f32_e32 vcc_lo, v10, v3
	;; [unrolled: 4-line block ×6, first 2 shown]
	v_cndmask_b32_e32 v15, v10, v7, vcc_lo
	v_cndmask_b32_e64 v24, v9, 7, vcc_lo
	s_delay_alu instid0(VALU_DEP_2) | instskip(NEXT) | instid1(VALU_DEP_2)
	v_sub_f32_e32 v16, v15, v15
	v_cmp_gt_i32_e64 s0, s6, v24
	v_subrev_nc_u32_e32 v22, s5, v24
	s_delay_alu instid0(VALU_DEP_3) | instskip(NEXT) | instid1(VALU_DEP_1)
	v_mul_f32_e32 v9, 0x3fb8aa3b, v16
	v_fma_f32 v10, 0x3fb8aa3b, v16, -v9
	v_rndne_f32_e32 v20, v9
	s_delay_alu instid0(VALU_DEP_2) | instskip(NEXT) | instid1(VALU_DEP_2)
	v_fmac_f32_e32 v10, 0x32a5705f, v16
	v_sub_f32_e32 v12, v9, v20
	v_ashrrev_i32_e32 v9, 31, v8
	v_cvt_i32_f32_e32 v20, v20
	s_delay_alu instid0(VALU_DEP_3) | instskip(NEXT) | instid1(VALU_DEP_3)
	v_add_f32_e32 v14, v12, v10
	v_lshlrev_b64 v[9:10], 2, v[8:9]
	v_ashrrev_i32_e32 v12, 31, v11
	s_delay_alu instid0(VALU_DEP_3) | instskip(SKIP_1) | instid1(VALU_DEP_3)
	v_exp_f32_e32 v21, v14
	v_ashrrev_i32_e32 v14, 31, v13
	v_add_co_u32 v9, vcc_lo, s2, v9
	s_delay_alu instid0(VALU_DEP_4) | instskip(SKIP_3) | instid1(TRANS32_DEP_1)
	v_add_co_ci_u32_e32 v10, vcc_lo, s3, v10, vcc_lo
	v_cmp_le_i32_e32 vcc_lo, s5, v24
	v_lshlrev_b64 v[11:12], 2, v[11:12]
	v_lshlrev_b64 v[13:14], 2, v[13:14]
	v_ldexp_f32 v20, v21, v20
	s_and_b32 s0, vcc_lo, s0
	v_cmp_ngt_f32_e32 vcc_lo, 0xc2ce8ed0, v16
	s_delay_alu instid0(VALU_DEP_2)
	v_cndmask_b32_e32 v23, 0, v20, vcc_lo
	s_waitcnt lgkmcnt(0)
	v_add_co_u32 v20, vcc_lo, s8, v11
	v_add_co_ci_u32_e32 v21, vcc_lo, s9, v12, vcc_lo
	s_and_b32 vcc_lo, s13, s0
	s_cmp_eq_u32 s4, 1
	v_cndmask_b32_e32 v25, 8, v22, vcc_lo
	v_cmp_nlt_f32_e32 vcc_lo, 0x42b17218, v16
	v_cndmask_b32_e32 v16, 0x7f800000, v23, vcc_lo
	v_add_co_u32 v22, vcc_lo, s10, v13
	v_add_co_ci_u32_e32 v23, vcc_lo, s11, v14, vcc_lo
	global_store_b32 v[20:21], v25, off
	global_store_b32 v[9:10], v16, off
	;; [unrolled: 1-line block ×3, first 2 shown]
	s_cbranch_scc1 .LBB33_8
; %bb.6:
	v_cmp_ne_u32_e32 vcc_lo, 7, v24
	s_add_i32 s14, s14, s12
	v_cndmask_b32_e32 v7, 0xff800000, v7, vcc_lo
	v_cmp_ne_u32_e32 vcc_lo, 6, v24
	v_cndmask_b32_e32 v6, 0xff800000, v6, vcc_lo
	v_cmp_ne_u32_e32 vcc_lo, 5, v24
	;; [unrolled: 2-line block ×7, first 2 shown]
	v_cndmask_b32_e32 v24, 0xff800000, v0, vcc_lo
	v_add_co_u32 v0, vcc_lo, v13, s10
	v_add_co_ci_u32_e32 v1, vcc_lo, s11, v14, vcc_lo
	v_add_co_u32 v2, vcc_lo, v11, s8
	v_add_co_ci_u32_e32 v3, vcc_lo, s9, v12, vcc_lo
	s_delay_alu instid0(VALU_DEP_4) | instskip(NEXT) | instid1(VALU_DEP_4)
	v_add_co_u32 v0, vcc_lo, v0, 4
	v_add_co_ci_u32_e32 v1, vcc_lo, 0, v1, vcc_lo
	s_delay_alu instid0(VALU_DEP_4) | instskip(NEXT) | instid1(VALU_DEP_4)
	v_add_co_u32 v2, vcc_lo, v2, 4
	v_add_co_ci_u32_e32 v3, vcc_lo, 0, v3, vcc_lo
	v_add_co_u32 v4, vcc_lo, v9, 4
	v_add_co_ci_u32_e32 v5, vcc_lo, 0, v10, vcc_lo
	v_add3_u32 v9, s14, v18, v17
	s_add_i32 s8, s4, -1
.LBB33_7:                               ; =>This Inner Loop Header: Depth=1
	v_cmp_gt_f32_e32 vcc_lo, v23, v24
	s_add_i32 s8, s8, -1
	v_cndmask_b32_e32 v10, v24, v23, vcc_lo
	v_cndmask_b32_e64 v11, 0, 1, vcc_lo
	s_delay_alu instid0(VALU_DEP_2) | instskip(SKIP_1) | instid1(VALU_DEP_3)
	v_cmp_gt_f32_e32 vcc_lo, v22, v10
	v_cndmask_b32_e32 v10, v10, v22, vcc_lo
	v_cndmask_b32_e64 v11, v11, 2, vcc_lo
	s_delay_alu instid0(VALU_DEP_2) | instskip(SKIP_1) | instid1(VALU_DEP_3)
	v_cmp_gt_f32_e32 vcc_lo, v21, v10
	;; [unrolled: 4-line block ×5, first 2 shown]
	v_cndmask_b32_e32 v10, v10, v6, vcc_lo
	v_cndmask_b32_e64 v11, v11, 6, vcc_lo
	s_delay_alu instid0(VALU_DEP_2) | instskip(NEXT) | instid1(VALU_DEP_2)
	v_cmp_gt_f32_e32 vcc_lo, v7, v10
	v_cndmask_b32_e64 v11, v11, 7, vcc_lo
	v_cndmask_b32_e32 v10, v10, v7, vcc_lo
	s_delay_alu instid0(VALU_DEP_2) | instskip(NEXT) | instid1(VALU_DEP_2)
	v_cmp_ne_u32_e64 s1, 7, v11
	v_sub_f32_e32 v10, v10, v15
	v_cmp_le_i32_e32 vcc_lo, s5, v11
	v_cmp_gt_i32_e64 s0, s6, v11
	v_subrev_nc_u32_e32 v13, s5, v11
	v_cndmask_b32_e64 v7, 0xff800000, v7, s1
	v_cmp_ne_u32_e64 s1, 6, v11
	v_mul_f32_e32 v12, 0x3fb8aa3b, v10
	s_and_b32 s0, vcc_lo, s0
	s_delay_alu instid0(SALU_CYCLE_1) | instskip(NEXT) | instid1(VALU_DEP_2)
	s_and_b32 vcc_lo, s13, s0
	v_cndmask_b32_e64 v6, 0xff800000, v6, s1
	v_cmp_ne_u32_e64 s1, 5, v11
	v_rndne_f32_e32 v14, v12
	v_cndmask_b32_e32 v13, 8, v13, vcc_lo
	global_store_b32 v[2:3], v13, off
	global_store_b32 v[0:1], v9, off
	v_add_nc_u32_e32 v9, s12, v9
	v_cndmask_b32_e64 v19, 0xff800000, v19, s1
	v_cmp_ne_u32_e64 s1, 4, v11
	v_add_co_u32 v0, vcc_lo, v0, 4
	v_add_co_ci_u32_e32 v1, vcc_lo, 0, v1, vcc_lo
	s_delay_alu instid0(VALU_DEP_3) | instskip(SKIP_3) | instid1(VALU_DEP_3)
	v_cndmask_b32_e64 v20, 0xff800000, v20, s1
	v_cmp_ne_u32_e64 s1, 3, v11
	v_add_co_u32 v2, vcc_lo, v2, 4
	v_add_co_ci_u32_e32 v3, vcc_lo, 0, v3, vcc_lo
	v_cndmask_b32_e64 v21, 0xff800000, v21, s1
	v_cmp_ne_u32_e64 s1, 2, v11
	v_cmp_ngt_f32_e32 vcc_lo, 0xc2ce8ed0, v10
	s_cmp_eq_u32 s8, 0
	s_delay_alu instid0(VALU_DEP_2) | instskip(SKIP_1) | instid1(VALU_DEP_1)
	v_cndmask_b32_e64 v22, 0xff800000, v22, s1
	v_cmp_ne_u32_e64 s1, 1, v11
	v_cndmask_b32_e64 v23, 0xff800000, v23, s1
	v_cmp_ne_u32_e64 s1, 0, v11
	v_fma_f32 v11, 0x3fb8aa3b, v10, -v12
	v_sub_f32_e32 v12, v12, v14
	v_cvt_i32_f32_e32 v14, v14
	s_delay_alu instid0(VALU_DEP_4) | instskip(NEXT) | instid1(VALU_DEP_4)
	v_cndmask_b32_e64 v24, 0xff800000, v24, s1
	v_fmac_f32_e32 v11, 0x32a5705f, v10
	s_delay_alu instid0(VALU_DEP_1) | instskip(NEXT) | instid1(VALU_DEP_1)
	v_add_f32_e32 v11, v12, v11
	v_exp_f32_e32 v11, v11
	s_waitcnt_depctr 0xfff
	v_ldexp_f32 v11, v11, v14
	s_delay_alu instid0(VALU_DEP_1) | instskip(SKIP_1) | instid1(VALU_DEP_2)
	v_cndmask_b32_e32 v11, 0, v11, vcc_lo
	v_cmp_nlt_f32_e32 vcc_lo, 0x42b17218, v10
	v_cndmask_b32_e32 v10, 0x7f800000, v11, vcc_lo
	global_store_b32 v[4:5], v10, off
	v_add_co_u32 v4, vcc_lo, v4, 4
	v_add_f32_e32 v16, v16, v10
	v_add_co_ci_u32_e32 v5, vcc_lo, 0, v5, vcc_lo
	s_cbranch_scc0 .LBB33_7
.LBB33_8:
	s_delay_alu instid0(VALU_DEP_2)
	v_cmp_neq_f32_e32 vcc_lo, 0, v16
	s_and_b32 exec_lo, exec_lo, vcc_lo
	s_cbranch_execz .LBB33_12
; %bb.9:
	s_and_not1_b32 vcc_lo, exec_lo, s7
	s_cbranch_vccnz .LBB33_12
; %bb.10:
	s_waitcnt vmcnt(0)
	v_div_scale_f32 v0, null, v16, v16, 1.0
	v_div_scale_f32 v3, vcc_lo, 1.0, v16, 1.0
	v_ashrrev_i32_e32 v9, 31, v8
	s_delay_alu instid0(VALU_DEP_3) | instskip(SKIP_2) | instid1(VALU_DEP_1)
	v_rcp_f32_e32 v1, v0
	s_waitcnt_depctr 0xfff
	v_fma_f32 v2, -v0, v1, 1.0
	v_fmac_f32_e32 v1, v2, v1
	s_delay_alu instid0(VALU_DEP_1) | instskip(NEXT) | instid1(VALU_DEP_1)
	v_mul_f32_e32 v2, v3, v1
	v_fma_f32 v4, -v0, v2, v3
	s_delay_alu instid0(VALU_DEP_1) | instskip(NEXT) | instid1(VALU_DEP_1)
	v_fmac_f32_e32 v2, v4, v1
	v_fma_f32 v0, -v0, v2, v3
	s_delay_alu instid0(VALU_DEP_1) | instskip(SKIP_1) | instid1(VALU_DEP_2)
	v_div_fmas_f32 v2, v0, v1, v2
	v_lshlrev_b64 v[0:1], 2, v[8:9]
	v_div_fixup_f32 v2, v2, v16, 1.0
	s_delay_alu instid0(VALU_DEP_2) | instskip(NEXT) | instid1(VALU_DEP_3)
	v_add_co_u32 v0, vcc_lo, s2, v0
	v_add_co_ci_u32_e32 v1, vcc_lo, s3, v1, vcc_lo
.LBB33_11:                              ; =>This Inner Loop Header: Depth=1
	global_load_b32 v3, v[0:1], off
	s_add_i32 s4, s4, -1
	s_delay_alu instid0(SALU_CYCLE_1)
	s_cmp_lg_u32 s4, 0
	s_waitcnt vmcnt(0)
	v_mul_f32_e32 v3, v2, v3
	global_store_b32 v[0:1], v3, off
	v_add_co_u32 v0, vcc_lo, v0, 4
	v_add_co_ci_u32_e32 v1, vcc_lo, 0, v1, vcc_lo
	s_cbranch_scc1 .LBB33_11
.LBB33_12:
	s_nop 0
	s_sendmsg sendmsg(MSG_DEALLOC_VGPRS)
	s_endpgm
	.section	.rodata,"a",@progbits
	.p2align	6, 0x0
	.amdhsa_kernel _ZN4vllm3moe17topkGatingSoftmaxIfLi8ELi8ELi8ELi32ELb1ELi1ELNS0_23SharedExpertScoringFuncE1EEEvPKT_PKbPfiPiS9_iiiiii
		.amdhsa_group_segment_fixed_size 0
		.amdhsa_private_segment_fixed_size 0
		.amdhsa_kernarg_size 72
		.amdhsa_user_sgpr_count 15
		.amdhsa_user_sgpr_dispatch_ptr 0
		.amdhsa_user_sgpr_queue_ptr 0
		.amdhsa_user_sgpr_kernarg_segment_ptr 1
		.amdhsa_user_sgpr_dispatch_id 0
		.amdhsa_user_sgpr_private_segment_size 0
		.amdhsa_wavefront_size32 1
		.amdhsa_uses_dynamic_stack 0
		.amdhsa_enable_private_segment 0
		.amdhsa_system_sgpr_workgroup_id_x 1
		.amdhsa_system_sgpr_workgroup_id_y 0
		.amdhsa_system_sgpr_workgroup_id_z 0
		.amdhsa_system_sgpr_workgroup_info 0
		.amdhsa_system_vgpr_workitem_id 1
		.amdhsa_next_free_vgpr 26
		.amdhsa_next_free_sgpr 16
		.amdhsa_reserve_vcc 1
		.amdhsa_float_round_mode_32 0
		.amdhsa_float_round_mode_16_64 0
		.amdhsa_float_denorm_mode_32 3
		.amdhsa_float_denorm_mode_16_64 3
		.amdhsa_dx10_clamp 1
		.amdhsa_ieee_mode 1
		.amdhsa_fp16_overflow 0
		.amdhsa_workgroup_processor_mode 1
		.amdhsa_memory_ordered 1
		.amdhsa_forward_progress 0
		.amdhsa_shared_vgpr_count 0
		.amdhsa_exception_fp_ieee_invalid_op 0
		.amdhsa_exception_fp_denorm_src 0
		.amdhsa_exception_fp_ieee_div_zero 0
		.amdhsa_exception_fp_ieee_overflow 0
		.amdhsa_exception_fp_ieee_underflow 0
		.amdhsa_exception_fp_ieee_inexact 0
		.amdhsa_exception_int_div_zero 0
	.end_amdhsa_kernel
	.section	.text._ZN4vllm3moe17topkGatingSoftmaxIfLi8ELi8ELi8ELi32ELb1ELi1ELNS0_23SharedExpertScoringFuncE1EEEvPKT_PKbPfiPiS9_iiiiii,"axG",@progbits,_ZN4vllm3moe17topkGatingSoftmaxIfLi8ELi8ELi8ELi32ELb1ELi1ELNS0_23SharedExpertScoringFuncE1EEEvPKT_PKbPfiPiS9_iiiiii,comdat
.Lfunc_end33:
	.size	_ZN4vllm3moe17topkGatingSoftmaxIfLi8ELi8ELi8ELi32ELb1ELi1ELNS0_23SharedExpertScoringFuncE1EEEvPKT_PKbPfiPiS9_iiiiii, .Lfunc_end33-_ZN4vllm3moe17topkGatingSoftmaxIfLi8ELi8ELi8ELi32ELb1ELi1ELNS0_23SharedExpertScoringFuncE1EEEvPKT_PKbPfiPiS9_iiiiii
                                        ; -- End function
	.section	.AMDGPU.csdata,"",@progbits
; Kernel info:
; codeLenInByte = 1864
; NumSgprs: 18
; NumVgprs: 26
; ScratchSize: 0
; MemoryBound: 0
; FloatMode: 240
; IeeeMode: 1
; LDSByteSize: 0 bytes/workgroup (compile time only)
; SGPRBlocks: 2
; VGPRBlocks: 3
; NumSGPRsForWavesPerEU: 18
; NumVGPRsForWavesPerEU: 26
; Occupancy: 16
; WaveLimiterHint : 0
; COMPUTE_PGM_RSRC2:SCRATCH_EN: 0
; COMPUTE_PGM_RSRC2:USER_SGPR: 15
; COMPUTE_PGM_RSRC2:TRAP_HANDLER: 0
; COMPUTE_PGM_RSRC2:TGID_X_EN: 1
; COMPUTE_PGM_RSRC2:TGID_Y_EN: 0
; COMPUTE_PGM_RSRC2:TGID_Z_EN: 0
; COMPUTE_PGM_RSRC2:TIDIG_COMP_CNT: 1
	.section	.text._ZN4vllm3moe17topkGatingSoftmaxIfLi8ELi8ELi8ELi32ELb0ELi1ELNS0_23SharedExpertScoringFuncE1EEEvPKT_PKbPfiPiS9_iiiiii,"axG",@progbits,_ZN4vllm3moe17topkGatingSoftmaxIfLi8ELi8ELi8ELi32ELb0ELi1ELNS0_23SharedExpertScoringFuncE1EEEvPKT_PKbPfiPiS9_iiiiii,comdat
	.protected	_ZN4vllm3moe17topkGatingSoftmaxIfLi8ELi8ELi8ELi32ELb0ELi1ELNS0_23SharedExpertScoringFuncE1EEEvPKT_PKbPfiPiS9_iiiiii ; -- Begin function _ZN4vllm3moe17topkGatingSoftmaxIfLi8ELi8ELi8ELi32ELb0ELi1ELNS0_23SharedExpertScoringFuncE1EEEvPKT_PKbPfiPiS9_iiiiii
	.globl	_ZN4vllm3moe17topkGatingSoftmaxIfLi8ELi8ELi8ELi32ELb0ELi1ELNS0_23SharedExpertScoringFuncE1EEEvPKT_PKbPfiPiS9_iiiiii
	.p2align	8
	.type	_ZN4vllm3moe17topkGatingSoftmaxIfLi8ELi8ELi8ELi32ELb0ELi1ELNS0_23SharedExpertScoringFuncE1EEEvPKT_PKbPfiPiS9_iiiiii,@function
_ZN4vllm3moe17topkGatingSoftmaxIfLi8ELi8ELi8ELi32ELb0ELi1ELNS0_23SharedExpertScoringFuncE1EEEvPKT_PKbPfiPiS9_iiiiii: ; @_ZN4vllm3moe17topkGatingSoftmaxIfLi8ELi8ELi8ELi32ELb0ELi1ELNS0_23SharedExpertScoringFuncE1EEEvPKT_PKbPfiPiS9_iiiiii
; %bb.0:
	s_load_b32 s16, s[0:1], 0x18
	v_bfe_u32 v1, v0, 10, 10
	v_and_b32_e32 v18, 0x3ff, v0
	s_lshl_b32 s18, s15, 8
	s_mov_b32 s2, exec_lo
	s_delay_alu instid0(VALU_DEP_2) | instskip(NEXT) | instid1(VALU_DEP_1)
	v_lshlrev_b32_e32 v17, 5, v1
	v_add3_u32 v19, v17, v18, s18
	s_waitcnt lgkmcnt(0)
	s_delay_alu instid0(VALU_DEP_1)
	v_cmpx_gt_i32_e64 s16, v19
	s_cbranch_execz .LBB34_12
; %bb.1:
	s_clause 0x1
	s_load_b128 s[4:7], s[0:1], 0x0
	s_load_b64 s[12:13], s[0:1], 0x10
	s_waitcnt lgkmcnt(0)
	s_cmp_eq_u64 s[6:7], 0
	s_cbranch_scc1 .LBB34_3
; %bb.2:
	v_ashrrev_i32_e32 v1, 31, v19
	v_add_co_u32 v0, vcc_lo, s6, v19
	s_delay_alu instid0(VALU_DEP_2) | instskip(SKIP_3) | instid1(VALU_DEP_1)
	v_add_co_ci_u32_e32 v1, vcc_lo, s7, v1, vcc_lo
	global_load_u8 v0, v[0:1], off
	s_waitcnt vmcnt(0)
	v_and_b32_e32 v0, 1, v0
	v_cmp_eq_u32_e32 vcc_lo, 1, v0
	s_xor_b32 s2, vcc_lo, -1
	s_delay_alu instid0(SALU_CYCLE_1)
	s_or_not1_b32 s17, s2, exec_lo
	s_branch .LBB34_4
.LBB34_3:
	s_mov_b32 s17, -1
.LBB34_4:
	s_clause 0x1
	s_load_b64 s[14:15], s[0:1], 0x40
	s_load_b128 s[8:11], s[0:1], 0x30
	s_waitcnt lgkmcnt(0)
	v_mul_lo_u32 v0, v19, s15
	s_cmp_gt_i32 s8, 0
	s_delay_alu instid0(VALU_DEP_1) | instskip(NEXT) | instid1(VALU_DEP_1)
	v_ashrrev_i32_e32 v1, 31, v0
	v_lshlrev_b64 v[0:1], 2, v[0:1]
	s_delay_alu instid0(VALU_DEP_1) | instskip(NEXT) | instid1(VALU_DEP_2)
	v_add_co_u32 v0, vcc_lo, s4, v0
	v_add_co_ci_u32_e32 v1, vcc_lo, s5, v1, vcc_lo
	s_clause 0x2
	global_load_b32 v8, v[0:1], off offset:32
	global_load_b128 v[4:7], v[0:1], off
	global_load_b128 v[0:3], v[0:1], off offset:16
	s_waitcnt vmcnt(2)
	v_mul_f32_e32 v9, 0xbfb8aa3b, v8
	v_cmp_nlt_f32_e32 vcc_lo, 0x42ce8ed0, v8
	s_waitcnt vmcnt(1)
	v_cmp_lt_f32_e64 s7, v4, v5
	s_delay_alu instid0(VALU_DEP_3) | instskip(SKIP_1) | instid1(VALU_DEP_1)
	v_fma_f32 v10, 0xbfb8aa3b, v8, -v9
	v_rndne_f32_e32 v11, v9
	v_dual_fmamk_f32 v10, v8, 0xb2a5705f, v10 :: v_dual_sub_f32 v9, v9, v11
	s_delay_alu instid0(VALU_DEP_1) | instskip(SKIP_1) | instid1(VALU_DEP_2)
	v_add_f32_e32 v9, v9, v10
	v_cvt_i32_f32_e32 v10, v11
	v_exp_f32_e32 v9, v9
	s_waitcnt_depctr 0xfff
	v_ldexp_f32 v9, v9, v10
	s_delay_alu instid0(VALU_DEP_1) | instskip(SKIP_1) | instid1(VALU_DEP_2)
	v_cndmask_b32_e32 v9, 0, v9, vcc_lo
	v_cmp_ngt_f32_e32 vcc_lo, 0xc2b17218, v8
	v_cndmask_b32_e32 v8, 0x7f800000, v9, vcc_lo
	v_cndmask_b32_e64 v9, v4, v5, s7
	s_delay_alu instid0(VALU_DEP_2) | instskip(NEXT) | instid1(VALU_DEP_2)
	v_add_f32_e32 v11, 1.0, v8
	v_cmp_lt_f32_e64 s4, v9, v6
	s_delay_alu instid0(VALU_DEP_2) | instskip(NEXT) | instid1(VALU_DEP_2)
	v_div_scale_f32 v12, null, v11, v11, 1.0
	v_cndmask_b32_e64 v9, v9, v6, s4
	v_div_scale_f32 v14, vcc_lo, 1.0, v11, 1.0
	s_delay_alu instid0(VALU_DEP_3) | instskip(NEXT) | instid1(VALU_DEP_2)
	v_rcp_f32_e32 v13, v12
	v_cmp_lt_f32_e64 s6, v9, v7
	s_delay_alu instid0(VALU_DEP_1) | instskip(SKIP_4) | instid1(VALU_DEP_2)
	v_cndmask_b32_e64 v10, v9, v7, s6
	s_waitcnt_depctr 0xfff
	v_fma_f32 v8, -v12, v13, 1.0
	s_waitcnt vmcnt(0)
	v_cmp_lt_f32_e64 s5, v10, v0
	v_fmac_f32_e32 v13, v8, v13
	v_mul_lo_u32 v8, v19, s11
	s_delay_alu instid0(VALU_DEP_3) | instskip(SKIP_3) | instid1(VALU_DEP_2)
	v_cndmask_b32_e64 v20, v10, v0, s5
	s_cselect_b32 s11, -1, 0
	s_cmp_lt_i32 s8, 1
	v_mul_f32_e32 v15, v14, v13
	v_cmp_lt_f32_e64 s3, v20, v1
	s_delay_alu instid0(VALU_DEP_4) | instskip(NEXT) | instid1(VALU_DEP_3)
	v_add_nc_u32_e32 v9, s8, v8
	v_fma_f32 v16, -v12, v15, v14
	s_delay_alu instid0(VALU_DEP_2) | instskip(NEXT) | instid1(VALU_DEP_2)
	v_ashrrev_i32_e32 v10, 31, v9
	v_fmac_f32_e32 v15, v16, v13
	v_cndmask_b32_e64 v16, v20, v1, s3
	s_delay_alu instid0(VALU_DEP_3) | instskip(NEXT) | instid1(VALU_DEP_3)
	v_lshlrev_b64 v[9:10], 2, v[9:10]
	v_fma_f32 v12, -v12, v15, v14
	s_delay_alu instid0(VALU_DEP_3) | instskip(NEXT) | instid1(VALU_DEP_2)
	v_cmp_lt_f32_e64 s2, v16, v2
	v_div_fmas_f32 v12, v12, v13, v15
	s_delay_alu instid0(VALU_DEP_2) | instskip(SKIP_2) | instid1(VALU_DEP_3)
	v_cndmask_b32_e64 v14, v16, v2, s2
	v_add_co_u32 v9, vcc_lo, s12, v9
	v_add_co_ci_u32_e32 v10, vcc_lo, s13, v10, vcc_lo
	v_cmp_lt_f32_e32 vcc_lo, v14, v3
	v_div_fixup_f32 v11, v12, v11, 1.0
	v_dual_mov_b32 v16, 0 :: v_dual_cndmask_b32 v15, v14, v3
	global_store_b32 v[9:10], v11, off
	s_cbranch_scc1 .LBB34_8
; %bb.5:
	v_cndmask_b32_e64 v9, 0, 1, s7
	v_sub_f32_e32 v16, v15, v15
	v_mul_lo_u32 v10, v19, s14
	v_mul_lo_u32 v20, v19, s8
	s_delay_alu instid0(VALU_DEP_4) | instskip(NEXT) | instid1(VALU_DEP_4)
	v_cndmask_b32_e64 v9, v9, 2, s4
	v_mul_f32_e32 v11, 0x3fb8aa3b, v16
	s_delay_alu instid0(VALU_DEP_2) | instskip(NEXT) | instid1(VALU_DEP_2)
	v_cndmask_b32_e64 v9, v9, 3, s6
	v_rndne_f32_e32 v12, v11
	v_fma_f32 v13, 0x3fb8aa3b, v16, -v11
	s_delay_alu instid0(VALU_DEP_3) | instskip(NEXT) | instid1(VALU_DEP_3)
	v_cndmask_b32_e64 v14, v9, 4, s5
	v_sub_f32_e32 v11, v11, v12
	s_delay_alu instid0(VALU_DEP_3)
	v_fmac_f32_e32 v13, 0x32a5705f, v16
	v_ashrrev_i32_e32 v9, 31, v8
	s_load_b128 s[4:7], s[0:1], 0x20
	v_cndmask_b32_e64 v21, v14, 5, s3
	v_cvt_i32_f32_e32 v12, v12
	v_add_f32_e32 v22, v11, v13
	v_lshlrev_b64 v[13:14], 2, v[8:9]
	v_ashrrev_i32_e32 v11, 31, v10
	v_cndmask_b32_e64 v9, v21, 6, s2
	v_ashrrev_i32_e32 v21, 31, v20
	v_exp_f32_e32 v22, v22
	s_delay_alu instid0(VALU_DEP_2) | instskip(SKIP_2) | instid1(VALU_DEP_3)
	v_cndmask_b32_e64 v24, v9, 7, vcc_lo
	v_add_co_u32 v13, vcc_lo, s12, v13
	v_add_co_ci_u32_e32 v14, vcc_lo, s13, v14, vcc_lo
	v_cmp_le_i32_e32 vcc_lo, s9, v24
	v_cmp_gt_i32_e64 s0, s10, v24
	v_lshlrev_b64 v[9:10], 2, v[10:11]
	s_delay_alu instid0(TRANS32_DEP_1)
	v_ldexp_f32 v22, v22, v12
	v_lshlrev_b64 v[11:12], 2, v[20:21]
	v_subrev_nc_u32_e32 v23, s9, v24
	s_and_b32 s0, vcc_lo, s0
	v_cmp_ngt_f32_e32 vcc_lo, 0xc2ce8ed0, v16
	v_cndmask_b32_e32 v22, 0, v22, vcc_lo
	s_waitcnt lgkmcnt(0)
	v_add_co_u32 v20, vcc_lo, s4, v9
	v_add_co_ci_u32_e32 v21, vcc_lo, s5, v10, vcc_lo
	s_and_b32 vcc_lo, s17, s0
	s_cmp_eq_u32 s8, 1
	v_cndmask_b32_e32 v25, 8, v23, vcc_lo
	v_cmp_nlt_f32_e32 vcc_lo, 0x42b17218, v16
	v_cndmask_b32_e32 v16, 0x7f800000, v22, vcc_lo
	v_add_co_u32 v22, vcc_lo, s6, v11
	v_add_co_ci_u32_e32 v23, vcc_lo, s7, v12, vcc_lo
	v_cmp_ne_u32_e32 vcc_lo, 7, v24
	global_store_b32 v[13:14], v16, off
	global_store_b32 v[20:21], v25, off
	;; [unrolled: 1-line block ×3, first 2 shown]
	v_cndmask_b32_e32 v3, 0xff800000, v3, vcc_lo
	v_cmp_ne_u32_e32 vcc_lo, 6, v24
	v_cndmask_b32_e32 v2, 0xff800000, v2, vcc_lo
	v_cmp_ne_u32_e32 vcc_lo, 5, v24
	;; [unrolled: 2-line block ×7, first 2 shown]
	v_cndmask_b32_e32 v4, 0xff800000, v4, vcc_lo
	s_cbranch_scc1 .LBB34_8
; %bb.6:
	v_add_co_u32 v11, vcc_lo, v11, s6
	v_add_co_ci_u32_e32 v12, vcc_lo, s7, v12, vcc_lo
	v_add_co_u32 v19, vcc_lo, v9, s4
	v_add_co_ci_u32_e32 v20, vcc_lo, s5, v10, vcc_lo
	s_delay_alu instid0(VALU_DEP_4) | instskip(NEXT) | instid1(VALU_DEP_4)
	v_add_co_u32 v9, vcc_lo, v11, 4
	v_add_co_ci_u32_e32 v10, vcc_lo, 0, v12, vcc_lo
	s_delay_alu instid0(VALU_DEP_4) | instskip(NEXT) | instid1(VALU_DEP_4)
	v_add_co_u32 v11, vcc_lo, v19, 4
	v_add_co_ci_u32_e32 v12, vcc_lo, 0, v20, vcc_lo
	s_add_i32 s18, s18, s16
	v_add_co_u32 v13, vcc_lo, v13, 4
	v_add_co_ci_u32_e32 v14, vcc_lo, 0, v14, vcc_lo
	v_add3_u32 v17, s18, v18, v17
	s_add_i32 s2, s8, -1
.LBB34_7:                               ; =>This Inner Loop Header: Depth=1
	v_cmp_gt_f32_e32 vcc_lo, v5, v4
	s_add_i32 s2, s2, -1
	v_cndmask_b32_e32 v18, v4, v5, vcc_lo
	v_cndmask_b32_e64 v19, 0, 1, vcc_lo
	s_delay_alu instid0(VALU_DEP_2) | instskip(SKIP_1) | instid1(VALU_DEP_3)
	v_cmp_gt_f32_e32 vcc_lo, v6, v18
	v_cndmask_b32_e32 v18, v18, v6, vcc_lo
	v_cndmask_b32_e64 v19, v19, 2, vcc_lo
	s_delay_alu instid0(VALU_DEP_2) | instskip(SKIP_1) | instid1(VALU_DEP_3)
	v_cmp_gt_f32_e32 vcc_lo, v7, v18
	v_cndmask_b32_e32 v18, v18, v7, vcc_lo
	v_cndmask_b32_e64 v19, v19, 3, vcc_lo
	s_delay_alu instid0(VALU_DEP_2) | instskip(SKIP_1) | instid1(VALU_DEP_3)
	v_cmp_gt_f32_e32 vcc_lo, v0, v18
	v_cndmask_b32_e32 v18, v18, v0, vcc_lo
	v_cndmask_b32_e64 v19, v19, 4, vcc_lo
	s_delay_alu instid0(VALU_DEP_2) | instskip(SKIP_1) | instid1(VALU_DEP_3)
	v_cmp_gt_f32_e32 vcc_lo, v1, v18
	v_cndmask_b32_e32 v18, v18, v1, vcc_lo
	v_cndmask_b32_e64 v19, v19, 5, vcc_lo
	s_delay_alu instid0(VALU_DEP_2) | instskip(SKIP_1) | instid1(VALU_DEP_3)
	v_cmp_gt_f32_e32 vcc_lo, v2, v18
	v_cndmask_b32_e32 v18, v18, v2, vcc_lo
	v_cndmask_b32_e64 v19, v19, 6, vcc_lo
	s_delay_alu instid0(VALU_DEP_2) | instskip(NEXT) | instid1(VALU_DEP_2)
	v_cmp_gt_f32_e32 vcc_lo, v3, v18
	v_cndmask_b32_e64 v19, v19, 7, vcc_lo
	v_cndmask_b32_e32 v18, v18, v3, vcc_lo
	s_delay_alu instid0(VALU_DEP_2) | instskip(NEXT) | instid1(VALU_DEP_2)
	v_cmp_ne_u32_e64 s1, 7, v19
	v_sub_f32_e32 v18, v18, v15
	v_cmp_le_i32_e32 vcc_lo, s9, v19
	v_cmp_gt_i32_e64 s0, s10, v19
	v_subrev_nc_u32_e32 v21, s9, v19
	v_cndmask_b32_e64 v3, 0xff800000, v3, s1
	v_cmp_ne_u32_e64 s1, 6, v19
	v_mul_f32_e32 v20, 0x3fb8aa3b, v18
	s_and_b32 s0, vcc_lo, s0
	s_delay_alu instid0(SALU_CYCLE_1) | instskip(NEXT) | instid1(VALU_DEP_2)
	s_and_b32 vcc_lo, s17, s0
	v_cndmask_b32_e64 v2, 0xff800000, v2, s1
	v_cmp_ne_u32_e64 s1, 5, v19
	v_rndne_f32_e32 v22, v20
	v_cndmask_b32_e32 v21, 8, v21, vcc_lo
	global_store_b32 v[11:12], v21, off
	global_store_b32 v[9:10], v17, off
	v_cndmask_b32_e64 v1, 0xff800000, v1, s1
	v_cmp_ne_u32_e64 s1, 4, v19
	v_add_co_u32 v9, vcc_lo, v9, 4
	v_add_co_ci_u32_e32 v10, vcc_lo, 0, v10, vcc_lo
	s_delay_alu instid0(VALU_DEP_3) | instskip(SKIP_3) | instid1(VALU_DEP_3)
	v_cndmask_b32_e64 v0, 0xff800000, v0, s1
	v_cmp_ne_u32_e64 s1, 3, v19
	v_add_co_u32 v11, vcc_lo, v11, 4
	v_add_co_ci_u32_e32 v12, vcc_lo, 0, v12, vcc_lo
	v_cndmask_b32_e64 v7, 0xff800000, v7, s1
	v_cmp_ne_u32_e64 s1, 2, v19
	v_cmp_ngt_f32_e32 vcc_lo, 0xc2ce8ed0, v18
	v_add_nc_u32_e32 v17, s16, v17
	s_cmp_eq_u32 s2, 0
	s_delay_alu instid0(VALU_DEP_3) | instskip(SKIP_1) | instid1(VALU_DEP_1)
	v_cndmask_b32_e64 v6, 0xff800000, v6, s1
	v_cmp_ne_u32_e64 s1, 1, v19
	v_cndmask_b32_e64 v5, 0xff800000, v5, s1
	v_cmp_ne_u32_e64 s1, 0, v19
	v_fma_f32 v19, 0x3fb8aa3b, v18, -v20
	v_sub_f32_e32 v20, v20, v22
	v_cvt_i32_f32_e32 v22, v22
	s_delay_alu instid0(VALU_DEP_4) | instskip(NEXT) | instid1(VALU_DEP_4)
	v_cndmask_b32_e64 v4, 0xff800000, v4, s1
	v_fmac_f32_e32 v19, 0x32a5705f, v18
	s_delay_alu instid0(VALU_DEP_1) | instskip(NEXT) | instid1(VALU_DEP_1)
	v_add_f32_e32 v19, v20, v19
	v_exp_f32_e32 v19, v19
	s_waitcnt_depctr 0xfff
	v_ldexp_f32 v19, v19, v22
	s_delay_alu instid0(VALU_DEP_1) | instskip(SKIP_1) | instid1(VALU_DEP_2)
	v_cndmask_b32_e32 v19, 0, v19, vcc_lo
	v_cmp_nlt_f32_e32 vcc_lo, 0x42b17218, v18
	v_cndmask_b32_e32 v18, 0x7f800000, v19, vcc_lo
	global_store_b32 v[13:14], v18, off
	v_add_co_u32 v13, vcc_lo, v13, 4
	v_add_f32_e32 v16, v16, v18
	v_add_co_ci_u32_e32 v14, vcc_lo, 0, v14, vcc_lo
	s_cbranch_scc0 .LBB34_7
.LBB34_8:
	v_sub_f32_e32 v6, v6, v15
	s_delay_alu instid0(VALU_DEP_2) | instskip(SKIP_2) | instid1(VALU_DEP_4)
	v_sub_f32_e32 v4, v4, v15
	v_sub_f32_e32 v5, v5, v15
	;; [unrolled: 1-line block ×3, first 2 shown]
	v_dual_sub_f32 v0, v0, v15 :: v_dual_mul_f32 v11, 0x3fb8aa3b, v6
	s_delay_alu instid0(VALU_DEP_3) | instskip(SKIP_2) | instid1(VALU_DEP_4)
	v_dual_mul_f32 v9, 0x3fb8aa3b, v4 :: v_dual_mul_f32 v10, 0x3fb8aa3b, v5
	v_cmp_ngt_f32_e32 vcc_lo, 0xc2ce8ed0, v4
	v_sub_f32_e32 v2, v2, v15
	v_rndne_f32_e32 v20, v11
	s_delay_alu instid0(VALU_DEP_4)
	v_rndne_f32_e32 v14, v9
	v_mul_f32_e32 v12, 0x3fb8aa3b, v7
	v_fma_f32 v13, 0x3fb8aa3b, v4, -v9
	v_fma_f32 v17, 0x3fb8aa3b, v5, -v10
	v_rndne_f32_e32 v18, v10
	v_sub_f32_e32 v9, v9, v14
	v_rndne_f32_e32 v22, v12
	v_fma_f32 v21, 0x3fb8aa3b, v7, -v12
	v_fma_f32 v19, 0x3fb8aa3b, v6, -v11
	v_dual_sub_f32 v10, v10, v18 :: v_dual_fmac_f32 v17, 0x32a5705f, v5
	s_delay_alu instid0(VALU_DEP_4) | instskip(NEXT) | instid1(VALU_DEP_2)
	v_dual_sub_f32 v12, v12, v22 :: v_dual_fmac_f32 v13, 0x32a5705f, v4
	v_add_f32_e32 v10, v10, v17
	s_delay_alu instid0(VALU_DEP_2) | instskip(SKIP_2) | instid1(VALU_DEP_4)
	v_add_f32_e32 v9, v9, v13
	v_cvt_i32_f32_e32 v13, v14
	v_cvt_i32_f32_e32 v14, v18
	v_exp_f32_e32 v10, v10
	s_delay_alu instid0(VALU_DEP_3) | instskip(SKIP_4) | instid1(VALU_DEP_2)
	v_exp_f32_e32 v9, v9
	s_waitcnt_depctr 0xfff
	v_ldexp_f32 v10, v10, v14
	v_ldexp_f32 v9, v9, v13
	v_cvt_i32_f32_e32 v13, v20
	v_cndmask_b32_e32 v9, 0, v9, vcc_lo
	v_cmp_ngt_f32_e32 vcc_lo, 0xc2ce8ed0, v5
	v_cndmask_b32_e32 v10, 0, v10, vcc_lo
	v_cmp_nlt_f32_e32 vcc_lo, 0x42b17218, v4
	s_delay_alu instid0(VALU_DEP_4) | instskip(SKIP_1) | instid1(VALU_DEP_4)
	v_dual_sub_f32 v11, v11, v20 :: v_dual_cndmask_b32 v4, 0x7f800000, v9
	v_cmp_nlt_f32_e32 vcc_lo, 0x42b17218, v5
	v_cndmask_b32_e32 v5, 0x7f800000, v10, vcc_lo
	v_fmac_f32_e32 v21, 0x32a5705f, v7
	v_cmp_ngt_f32_e32 vcc_lo, 0xc2ce8ed0, v6
	v_cvt_i32_f32_e32 v10, v22
	s_delay_alu instid0(VALU_DEP_4) | instskip(NEXT) | instid1(VALU_DEP_1)
	v_dual_add_f32 v4, v4, v5 :: v_dual_fmac_f32 v19, 0x32a5705f, v6
	v_dual_add_f32 v12, v12, v21 :: v_dual_add_f32 v11, v11, v19
	s_delay_alu instid0(VALU_DEP_1) | instskip(NEXT) | instid1(VALU_DEP_1)
	v_exp_f32_e32 v12, v12
	v_exp_f32_e32 v11, v11
	s_waitcnt_depctr 0xfff
	v_ldexp_f32 v11, v11, v13
	s_delay_alu instid0(VALU_DEP_1) | instskip(SKIP_2) | instid1(VALU_DEP_3)
	v_cndmask_b32_e32 v9, 0, v11, vcc_lo
	v_cmp_nlt_f32_e32 vcc_lo, 0x42b17218, v6
	v_dual_mul_f32 v6, 0x3fb8aa3b, v0 :: v_dual_mul_f32 v11, 0x3fb8aa3b, v2
	v_cndmask_b32_e32 v5, 0x7f800000, v9, vcc_lo
	v_ldexp_f32 v9, v12, v10
	s_delay_alu instid0(VALU_DEP_3) | instskip(NEXT) | instid1(VALU_DEP_4)
	v_rndne_f32_e32 v10, v6
	v_fma_f32 v12, 0x3fb8aa3b, v2, -v11
	s_delay_alu instid0(VALU_DEP_4) | instskip(SKIP_1) | instid1(VALU_DEP_4)
	v_dual_sub_f32 v1, v1, v15 :: v_dual_add_f32 v4, v4, v5
	v_fma_f32 v5, 0x3fb8aa3b, v0, -v6
	v_sub_f32_e32 v6, v6, v10
	s_delay_alu instid0(VALU_DEP_4)
	v_fmac_f32_e32 v12, 0x32a5705f, v2
	v_cmp_ngt_f32_e32 vcc_lo, 0xc2ce8ed0, v7
	v_cvt_i32_f32_e32 v10, v10
	v_fmac_f32_e32 v5, 0x32a5705f, v0
	v_cndmask_b32_e32 v9, 0, v9, vcc_lo
	v_cmp_nlt_f32_e32 vcc_lo, 0x42b17218, v7
	s_delay_alu instid0(VALU_DEP_3) | instskip(NEXT) | instid1(VALU_DEP_3)
	v_add_f32_e32 v5, v6, v5
	v_cndmask_b32_e32 v7, 0x7f800000, v9, vcc_lo
	s_delay_alu instid0(VALU_DEP_2) | instskip(SKIP_1) | instid1(VALU_DEP_2)
	v_exp_f32_e32 v5, v5
	v_cmp_ngt_f32_e32 vcc_lo, 0xc2ce8ed0, v0
	v_add_f32_e32 v4, v4, v7
	s_waitcnt_depctr 0xfff
	v_ldexp_f32 v5, v5, v10
	s_delay_alu instid0(VALU_DEP_1) | instskip(SKIP_1) | instid1(VALU_DEP_2)
	v_cndmask_b32_e32 v5, 0, v5, vcc_lo
	v_cmp_nlt_f32_e32 vcc_lo, 0x42b17218, v0
	v_dual_sub_f32 v3, v3, v15 :: v_dual_cndmask_b32 v0, 0x7f800000, v5
	s_delay_alu instid0(VALU_DEP_1) | instskip(SKIP_1) | instid1(VALU_DEP_3)
	v_dual_mul_f32 v9, 0x3fb8aa3b, v1 :: v_dual_mul_f32 v14, 0x3fb8aa3b, v3
	v_cmp_ngt_f32_e32 vcc_lo, 0xc2ce8ed0, v1
	v_add_f32_e32 v0, v4, v0
	s_delay_alu instid0(VALU_DEP_3) | instskip(SKIP_2) | instid1(VALU_DEP_2)
	v_fma_f32 v6, 0x3fb8aa3b, v1, -v9
	v_rndne_f32_e32 v7, v9
	v_rndne_f32_e32 v15, v14
	v_dual_fmac_f32 v6, 0x32a5705f, v1 :: v_dual_sub_f32 v9, v9, v7
	v_cvt_i32_f32_e32 v7, v7
	s_delay_alu instid0(VALU_DEP_3) | instskip(SKIP_1) | instid1(VALU_DEP_1)
	v_sub_f32_e32 v10, v14, v15
	v_rndne_f32_e32 v13, v11
	v_dual_add_f32 v6, v9, v6 :: v_dual_sub_f32 v9, v11, v13
	v_fma_f32 v11, 0x3fb8aa3b, v3, -v14
	s_delay_alu instid0(VALU_DEP_2) | instskip(SKIP_3) | instid1(VALU_DEP_1)
	v_exp_f32_e32 v6, v6
	v_cvt_i32_f32_e32 v5, v13
	s_waitcnt_depctr 0xfff
	v_ldexp_f32 v6, v6, v7
	v_cndmask_b32_e32 v6, 0, v6, vcc_lo
	v_cmp_nlt_f32_e32 vcc_lo, 0x42b17218, v1
	s_delay_alu instid0(VALU_DEP_2) | instskip(SKIP_1) | instid1(VALU_DEP_2)
	v_cndmask_b32_e32 v1, 0x7f800000, v6, vcc_lo
	v_cmp_ngt_f32_e32 vcc_lo, 0xc2ce8ed0, v2
	v_dual_fmac_f32 v11, 0x32a5705f, v3 :: v_dual_add_f32 v0, v0, v1
	s_delay_alu instid0(VALU_DEP_1) | instskip(NEXT) | instid1(VALU_DEP_1)
	v_dual_add_f32 v10, v10, v11 :: v_dual_add_f32 v9, v9, v12
	v_exp_f32_e32 v7, v10
	s_delay_alu instid0(VALU_DEP_1) | instskip(SKIP_3) | instid1(VALU_DEP_2)
	v_exp_f32_e32 v9, v9
	s_waitcnt_depctr 0xfff
	v_ldexp_f32 v4, v9, v5
	v_cvt_i32_f32_e32 v5, v15
	v_cndmask_b32_e32 v4, 0, v4, vcc_lo
	v_cmp_nlt_f32_e32 vcc_lo, 0x42b17218, v2
	s_delay_alu instid0(VALU_DEP_3) | instskip(NEXT) | instid1(VALU_DEP_3)
	v_ldexp_f32 v5, v7, v5
	v_cndmask_b32_e32 v1, 0x7f800000, v4, vcc_lo
	v_cmp_ngt_f32_e32 vcc_lo, 0xc2ce8ed0, v3
	s_delay_alu instid0(VALU_DEP_3) | instskip(SKIP_1) | instid1(VALU_DEP_2)
	v_cndmask_b32_e32 v2, 0, v5, vcc_lo
	v_cmp_nlt_f32_e32 vcc_lo, 0x42b17218, v3
	v_dual_add_f32 v0, v0, v1 :: v_dual_cndmask_b32 v1, 0x7f800000, v2
	s_delay_alu instid0(VALU_DEP_1) | instskip(NEXT) | instid1(VALU_DEP_1)
	v_add_f32_e32 v0, v0, v1
	v_add_f32_e32 v0, v16, v0
	s_delay_alu instid0(VALU_DEP_1)
	v_cmp_neq_f32_e32 vcc_lo, 0, v0
	s_and_b32 exec_lo, exec_lo, vcc_lo
	s_cbranch_execz .LBB34_12
; %bb.9:
	s_and_not1_b32 vcc_lo, exec_lo, s11
	s_cbranch_vccnz .LBB34_12
; %bb.10:
	v_div_scale_f32 v1, null, v0, v0, 1.0
	v_div_scale_f32 v4, vcc_lo, 1.0, v0, 1.0
	v_ashrrev_i32_e32 v9, 31, v8
	s_delay_alu instid0(VALU_DEP_3) | instskip(SKIP_2) | instid1(VALU_DEP_1)
	v_rcp_f32_e32 v2, v1
	s_waitcnt_depctr 0xfff
	v_fma_f32 v3, -v1, v2, 1.0
	v_fmac_f32_e32 v2, v3, v2
	s_delay_alu instid0(VALU_DEP_1) | instskip(NEXT) | instid1(VALU_DEP_1)
	v_mul_f32_e32 v3, v4, v2
	v_fma_f32 v5, -v1, v3, v4
	s_delay_alu instid0(VALU_DEP_1) | instskip(NEXT) | instid1(VALU_DEP_1)
	v_fmac_f32_e32 v3, v5, v2
	v_fma_f32 v1, -v1, v3, v4
	s_delay_alu instid0(VALU_DEP_1) | instskip(SKIP_1) | instid1(VALU_DEP_2)
	v_div_fmas_f32 v1, v1, v2, v3
	v_lshlrev_b64 v[3:4], 2, v[8:9]
	v_div_fixup_f32 v2, v1, v0, 1.0
	s_delay_alu instid0(VALU_DEP_2) | instskip(NEXT) | instid1(VALU_DEP_3)
	v_add_co_u32 v0, vcc_lo, s12, v3
	v_add_co_ci_u32_e32 v1, vcc_lo, s13, v4, vcc_lo
.LBB34_11:                              ; =>This Inner Loop Header: Depth=1
	global_load_b32 v3, v[0:1], off
	s_add_i32 s8, s8, -1
	s_delay_alu instid0(SALU_CYCLE_1)
	s_cmp_lg_u32 s8, 0
	s_waitcnt vmcnt(0)
	v_mul_f32_e32 v3, v2, v3
	global_store_b32 v[0:1], v3, off
	v_add_co_u32 v0, vcc_lo, v0, 4
	v_add_co_ci_u32_e32 v1, vcc_lo, 0, v1, vcc_lo
	s_cbranch_scc1 .LBB34_11
.LBB34_12:
	s_nop 0
	s_sendmsg sendmsg(MSG_DEALLOC_VGPRS)
	s_endpgm
	.section	.rodata,"a",@progbits
	.p2align	6, 0x0
	.amdhsa_kernel _ZN4vllm3moe17topkGatingSoftmaxIfLi8ELi8ELi8ELi32ELb0ELi1ELNS0_23SharedExpertScoringFuncE1EEEvPKT_PKbPfiPiS9_iiiiii
		.amdhsa_group_segment_fixed_size 0
		.amdhsa_private_segment_fixed_size 0
		.amdhsa_kernarg_size 72
		.amdhsa_user_sgpr_count 15
		.amdhsa_user_sgpr_dispatch_ptr 0
		.amdhsa_user_sgpr_queue_ptr 0
		.amdhsa_user_sgpr_kernarg_segment_ptr 1
		.amdhsa_user_sgpr_dispatch_id 0
		.amdhsa_user_sgpr_private_segment_size 0
		.amdhsa_wavefront_size32 1
		.amdhsa_uses_dynamic_stack 0
		.amdhsa_enable_private_segment 0
		.amdhsa_system_sgpr_workgroup_id_x 1
		.amdhsa_system_sgpr_workgroup_id_y 0
		.amdhsa_system_sgpr_workgroup_id_z 0
		.amdhsa_system_sgpr_workgroup_info 0
		.amdhsa_system_vgpr_workitem_id 1
		.amdhsa_next_free_vgpr 26
		.amdhsa_next_free_sgpr 19
		.amdhsa_reserve_vcc 1
		.amdhsa_float_round_mode_32 0
		.amdhsa_float_round_mode_16_64 0
		.amdhsa_float_denorm_mode_32 3
		.amdhsa_float_denorm_mode_16_64 3
		.amdhsa_dx10_clamp 1
		.amdhsa_ieee_mode 1
		.amdhsa_fp16_overflow 0
		.amdhsa_workgroup_processor_mode 1
		.amdhsa_memory_ordered 1
		.amdhsa_forward_progress 0
		.amdhsa_shared_vgpr_count 0
		.amdhsa_exception_fp_ieee_invalid_op 0
		.amdhsa_exception_fp_denorm_src 0
		.amdhsa_exception_fp_ieee_div_zero 0
		.amdhsa_exception_fp_ieee_overflow 0
		.amdhsa_exception_fp_ieee_underflow 0
		.amdhsa_exception_fp_ieee_inexact 0
		.amdhsa_exception_int_div_zero 0
	.end_amdhsa_kernel
	.section	.text._ZN4vllm3moe17topkGatingSoftmaxIfLi8ELi8ELi8ELi32ELb0ELi1ELNS0_23SharedExpertScoringFuncE1EEEvPKT_PKbPfiPiS9_iiiiii,"axG",@progbits,_ZN4vllm3moe17topkGatingSoftmaxIfLi8ELi8ELi8ELi32ELb0ELi1ELNS0_23SharedExpertScoringFuncE1EEEvPKT_PKbPfiPiS9_iiiiii,comdat
.Lfunc_end34:
	.size	_ZN4vllm3moe17topkGatingSoftmaxIfLi8ELi8ELi8ELi32ELb0ELi1ELNS0_23SharedExpertScoringFuncE1EEEvPKT_PKbPfiPiS9_iiiiii, .Lfunc_end34-_ZN4vllm3moe17topkGatingSoftmaxIfLi8ELi8ELi8ELi32ELb0ELi1ELNS0_23SharedExpertScoringFuncE1EEEvPKT_PKbPfiPiS9_iiiiii
                                        ; -- End function
	.section	.AMDGPU.csdata,"",@progbits
; Kernel info:
; codeLenInByte = 2740
; NumSgprs: 21
; NumVgprs: 26
; ScratchSize: 0
; MemoryBound: 0
; FloatMode: 240
; IeeeMode: 1
; LDSByteSize: 0 bytes/workgroup (compile time only)
; SGPRBlocks: 2
; VGPRBlocks: 3
; NumSGPRsForWavesPerEU: 21
; NumVGPRsForWavesPerEU: 26
; Occupancy: 16
; WaveLimiterHint : 0
; COMPUTE_PGM_RSRC2:SCRATCH_EN: 0
; COMPUTE_PGM_RSRC2:USER_SGPR: 15
; COMPUTE_PGM_RSRC2:TRAP_HANDLER: 0
; COMPUTE_PGM_RSRC2:TGID_X_EN: 1
; COMPUTE_PGM_RSRC2:TGID_Y_EN: 0
; COMPUTE_PGM_RSRC2:TGID_Z_EN: 0
; COMPUTE_PGM_RSRC2:TIDIG_COMP_CNT: 1
	.section	.text._ZN4vllm3moe17topkGatingSoftmaxIfLi8ELi8ELi8ELi32ELb1ELi2ELNS0_23SharedExpertScoringFuncE1EEEvPKT_PKbPfiPiS9_iiiiii,"axG",@progbits,_ZN4vllm3moe17topkGatingSoftmaxIfLi8ELi8ELi8ELi32ELb1ELi2ELNS0_23SharedExpertScoringFuncE1EEEvPKT_PKbPfiPiS9_iiiiii,comdat
	.protected	_ZN4vllm3moe17topkGatingSoftmaxIfLi8ELi8ELi8ELi32ELb1ELi2ELNS0_23SharedExpertScoringFuncE1EEEvPKT_PKbPfiPiS9_iiiiii ; -- Begin function _ZN4vllm3moe17topkGatingSoftmaxIfLi8ELi8ELi8ELi32ELb1ELi2ELNS0_23SharedExpertScoringFuncE1EEEvPKT_PKbPfiPiS9_iiiiii
	.globl	_ZN4vllm3moe17topkGatingSoftmaxIfLi8ELi8ELi8ELi32ELb1ELi2ELNS0_23SharedExpertScoringFuncE1EEEvPKT_PKbPfiPiS9_iiiiii
	.p2align	8
	.type	_ZN4vllm3moe17topkGatingSoftmaxIfLi8ELi8ELi8ELi32ELb1ELi2ELNS0_23SharedExpertScoringFuncE1EEEvPKT_PKbPfiPiS9_iiiiii,@function
_ZN4vllm3moe17topkGatingSoftmaxIfLi8ELi8ELi8ELi32ELb1ELi2ELNS0_23SharedExpertScoringFuncE1EEEvPKT_PKbPfiPiS9_iiiiii: ; @_ZN4vllm3moe17topkGatingSoftmaxIfLi8ELi8ELi8ELi32ELb1ELi2ELNS0_23SharedExpertScoringFuncE1EEEvPKT_PKbPfiPiS9_iiiiii
; %bb.0:
	s_load_b32 s12, s[0:1], 0x18
	v_bfe_u32 v1, v0, 10, 10
	v_and_b32_e32 v17, 0x3ff, v0
	s_lshl_b32 s14, s15, 8
	s_mov_b32 s2, exec_lo
	s_delay_alu instid0(VALU_DEP_2) | instskip(NEXT) | instid1(VALU_DEP_1)
	v_lshlrev_b32_e32 v16, 5, v1
	v_add3_u32 v19, v16, v17, s14
	s_waitcnt lgkmcnt(0)
	s_delay_alu instid0(VALU_DEP_1)
	v_cmpx_gt_i32_e64 s12, v19
	s_cbranch_execz .LBB35_12
; %bb.1:
	s_clause 0x1
	s_load_b128 s[4:7], s[0:1], 0x0
	s_load_b64 s[2:3], s[0:1], 0x10
	s_waitcnt lgkmcnt(0)
	s_cmp_eq_u64 s[6:7], 0
	s_cbranch_scc1 .LBB35_3
; %bb.2:
	v_ashrrev_i32_e32 v1, 31, v19
	v_add_co_u32 v0, vcc_lo, s6, v19
	s_delay_alu instid0(VALU_DEP_2) | instskip(SKIP_3) | instid1(VALU_DEP_1)
	v_add_co_ci_u32_e32 v1, vcc_lo, s7, v1, vcc_lo
	global_load_u8 v0, v[0:1], off
	s_waitcnt vmcnt(0)
	v_and_b32_e32 v0, 1, v0
	v_cmp_eq_u32_e32 vcc_lo, 1, v0
	s_xor_b32 s6, vcc_lo, -1
	s_delay_alu instid0(SALU_CYCLE_1)
	s_or_not1_b32 s13, s6, exec_lo
	s_branch .LBB35_4
.LBB35_3:
	s_mov_b32 s13, -1
.LBB35_4:
	s_load_b64 s[8:9], s[0:1], 0x40
	s_waitcnt lgkmcnt(0)
	v_mul_lo_u32 v0, v19, s9
	s_delay_alu instid0(VALU_DEP_1) | instskip(NEXT) | instid1(VALU_DEP_1)
	v_ashrrev_i32_e32 v1, 31, v0
	v_lshlrev_b64 v[0:1], 2, v[0:1]
	s_delay_alu instid0(VALU_DEP_1) | instskip(NEXT) | instid1(VALU_DEP_2)
	v_add_co_u32 v9, vcc_lo, s4, v0
	v_add_co_ci_u32_e32 v10, vcc_lo, s5, v1, vcc_lo
	s_load_b128 s[4:7], s[0:1], 0x30
	global_load_b32 v0, v[9:10], off offset:32
	s_waitcnt lgkmcnt(0)
	v_mul_lo_u32 v8, v19, s7
	s_cmp_gt_i32 s4, 0
	s_cselect_b32 s7, -1, 0
	s_cmp_lt_i32 s4, 1
	s_waitcnt vmcnt(0)
	v_mul_f32_e32 v1, 0xbfb8aa3b, v0
	v_cmp_nlt_f32_e32 vcc_lo, 0x42ce8ed0, v0
	s_delay_alu instid0(VALU_DEP_2) | instskip(SKIP_1) | instid1(VALU_DEP_1)
	v_fma_f32 v2, 0xbfb8aa3b, v0, -v1
	v_rndne_f32_e32 v3, v1
	v_dual_fmac_f32 v2, 0xb2a5705f, v0 :: v_dual_sub_f32 v1, v1, v3
	s_delay_alu instid0(VALU_DEP_1) | instskip(SKIP_1) | instid1(VALU_DEP_2)
	v_add_f32_e32 v1, v1, v2
	v_cvt_i32_f32_e32 v2, v3
	v_exp_f32_e32 v1, v1
	s_waitcnt_depctr 0xfff
	v_ldexp_f32 v1, v1, v2
	s_delay_alu instid0(VALU_DEP_1) | instskip(SKIP_1) | instid1(VALU_DEP_2)
	v_cndmask_b32_e32 v1, 0, v1, vcc_lo
	v_cmp_ngt_f32_e32 vcc_lo, 0xc2b17218, v0
	v_cndmask_b32_e32 v0, 0x7f800000, v1, vcc_lo
	s_delay_alu instid0(VALU_DEP_1) | instskip(NEXT) | instid1(VALU_DEP_1)
	v_add_f32_e32 v2, 1.0, v0
	v_div_scale_f32 v3, null, v2, v2, 1.0
	v_div_scale_f32 v5, vcc_lo, 1.0, v2, 1.0
	s_delay_alu instid0(VALU_DEP_2) | instskip(SKIP_2) | instid1(VALU_DEP_1)
	v_rcp_f32_e32 v4, v3
	s_waitcnt_depctr 0xfff
	v_fma_f32 v0, -v3, v4, 1.0
	v_fmac_f32_e32 v4, v0, v4
	v_add_nc_u32_e32 v0, s4, v8
	s_delay_alu instid0(VALU_DEP_2) | instskip(NEXT) | instid1(VALU_DEP_1)
	v_mul_f32_e32 v6, v5, v4
	v_fma_f32 v1, -v3, v6, v5
	s_delay_alu instid0(VALU_DEP_1) | instskip(NEXT) | instid1(VALU_DEP_4)
	v_fmac_f32_e32 v6, v1, v4
	v_ashrrev_i32_e32 v1, 31, v0
	s_delay_alu instid0(VALU_DEP_2) | instskip(NEXT) | instid1(VALU_DEP_2)
	v_fma_f32 v3, -v3, v6, v5
	v_lshlrev_b64 v[0:1], 2, v[0:1]
	s_delay_alu instid0(VALU_DEP_2) | instskip(NEXT) | instid1(VALU_DEP_2)
	v_div_fmas_f32 v3, v3, v4, v6
	v_add_co_u32 v11, vcc_lo, s2, v0
	s_delay_alu instid0(VALU_DEP_3) | instskip(NEXT) | instid1(VALU_DEP_3)
	v_add_co_ci_u32_e32 v12, vcc_lo, s3, v1, vcc_lo
	v_div_fixup_f32 v13, v3, v2, 1.0
	s_clause 0x1
	global_load_b128 v[4:7], v[9:10], off offset:16
	global_load_b128 v[0:3], v[9:10], off
	global_store_b32 v[11:12], v13, off
	global_load_b32 v9, v[9:10], off offset:36
	s_waitcnt vmcnt(0)
	v_mul_f32_e32 v10, 0xbfb8aa3b, v9
	v_cmp_nlt_f32_e32 vcc_lo, 0x42ce8ed0, v9
	s_delay_alu instid0(VALU_DEP_2) | instskip(SKIP_1) | instid1(VALU_DEP_1)
	v_fma_f32 v13, 0xbfb8aa3b, v9, -v10
	v_rndne_f32_e32 v14, v10
	v_dual_fmac_f32 v13, 0xb2a5705f, v9 :: v_dual_sub_f32 v10, v10, v14
	s_delay_alu instid0(VALU_DEP_1) | instskip(SKIP_1) | instid1(VALU_DEP_2)
	v_add_f32_e32 v10, v10, v13
	v_cvt_i32_f32_e32 v13, v14
	v_exp_f32_e32 v10, v10
	s_waitcnt_depctr 0xfff
	v_ldexp_f32 v10, v10, v13
	s_delay_alu instid0(VALU_DEP_1) | instskip(SKIP_1) | instid1(VALU_DEP_2)
	v_cndmask_b32_e32 v10, 0, v10, vcc_lo
	v_cmp_ngt_f32_e32 vcc_lo, 0xc2b17218, v9
	v_cndmask_b32_e32 v9, 0x7f800000, v10, vcc_lo
	s_delay_alu instid0(VALU_DEP_1) | instskip(NEXT) | instid1(VALU_DEP_1)
	v_add_f32_e32 v9, 1.0, v9
	v_div_scale_f32 v10, null, v9, v9, 1.0
	v_div_scale_f32 v15, vcc_lo, 1.0, v9, 1.0
	s_delay_alu instid0(VALU_DEP_2) | instskip(SKIP_2) | instid1(VALU_DEP_1)
	v_rcp_f32_e32 v13, v10
	s_waitcnt_depctr 0xfff
	v_fma_f32 v14, -v10, v13, 1.0
	v_fmac_f32_e32 v13, v14, v13
	s_delay_alu instid0(VALU_DEP_1) | instskip(NEXT) | instid1(VALU_DEP_1)
	v_mul_f32_e32 v14, v15, v13
	v_fma_f32 v18, -v10, v14, v15
	s_delay_alu instid0(VALU_DEP_1) | instskip(SKIP_1) | instid1(VALU_DEP_2)
	v_fmac_f32_e32 v14, v18, v13
	v_mov_b32_e32 v18, 0
	v_fma_f32 v10, -v10, v14, v15
	s_delay_alu instid0(VALU_DEP_1) | instskip(NEXT) | instid1(VALU_DEP_1)
	v_div_fmas_f32 v10, v10, v13, v14
	v_div_fixup_f32 v9, v10, v9, 1.0
	global_store_b32 v[11:12], v9, off offset:4
	s_cbranch_scc1 .LBB35_8
; %bb.5:
	v_cmp_lt_f32_e32 vcc_lo, v0, v1
	v_mul_lo_u32 v11, v19, s8
	s_load_b128 s[8:11], s[0:1], 0x20
	v_mul_lo_u32 v13, v19, s4
	v_cndmask_b32_e32 v10, v0, v1, vcc_lo
	v_cndmask_b32_e64 v9, 0, 1, vcc_lo
	s_delay_alu instid0(VALU_DEP_2) | instskip(SKIP_1) | instid1(VALU_DEP_3)
	v_cmp_lt_f32_e32 vcc_lo, v10, v2
	v_cndmask_b32_e32 v10, v10, v2, vcc_lo
	v_cndmask_b32_e64 v9, v9, 2, vcc_lo
	s_delay_alu instid0(VALU_DEP_2) | instskip(SKIP_1) | instid1(VALU_DEP_3)
	v_cmp_lt_f32_e32 vcc_lo, v10, v3
	;; [unrolled: 4-line block ×6, first 2 shown]
	v_cndmask_b32_e32 v15, v10, v7, vcc_lo
	v_cndmask_b32_e64 v24, v9, 7, vcc_lo
	s_delay_alu instid0(VALU_DEP_2) | instskip(NEXT) | instid1(VALU_DEP_2)
	v_sub_f32_e32 v18, v15, v15
	v_cmp_gt_i32_e64 s0, s6, v24
	v_subrev_nc_u32_e32 v22, s5, v24
	s_delay_alu instid0(VALU_DEP_3) | instskip(NEXT) | instid1(VALU_DEP_1)
	v_mul_f32_e32 v9, 0x3fb8aa3b, v18
	v_fma_f32 v10, 0x3fb8aa3b, v18, -v9
	v_rndne_f32_e32 v20, v9
	s_delay_alu instid0(VALU_DEP_2) | instskip(NEXT) | instid1(VALU_DEP_2)
	v_fmac_f32_e32 v10, 0x32a5705f, v18
	v_sub_f32_e32 v12, v9, v20
	v_ashrrev_i32_e32 v9, 31, v8
	v_cvt_i32_f32_e32 v20, v20
	s_delay_alu instid0(VALU_DEP_3) | instskip(NEXT) | instid1(VALU_DEP_3)
	v_add_f32_e32 v14, v12, v10
	v_lshlrev_b64 v[9:10], 2, v[8:9]
	v_ashrrev_i32_e32 v12, 31, v11
	s_delay_alu instid0(VALU_DEP_3) | instskip(SKIP_1) | instid1(VALU_DEP_3)
	v_exp_f32_e32 v21, v14
	v_ashrrev_i32_e32 v14, 31, v13
	v_add_co_u32 v9, vcc_lo, s2, v9
	s_delay_alu instid0(VALU_DEP_4) | instskip(SKIP_3) | instid1(TRANS32_DEP_1)
	v_add_co_ci_u32_e32 v10, vcc_lo, s3, v10, vcc_lo
	v_cmp_le_i32_e32 vcc_lo, s5, v24
	v_lshlrev_b64 v[11:12], 2, v[11:12]
	v_lshlrev_b64 v[13:14], 2, v[13:14]
	v_ldexp_f32 v20, v21, v20
	s_and_b32 s0, vcc_lo, s0
	v_cmp_ngt_f32_e32 vcc_lo, 0xc2ce8ed0, v18
	s_delay_alu instid0(VALU_DEP_2)
	v_cndmask_b32_e32 v23, 0, v20, vcc_lo
	s_waitcnt lgkmcnt(0)
	v_add_co_u32 v20, vcc_lo, s8, v11
	v_add_co_ci_u32_e32 v21, vcc_lo, s9, v12, vcc_lo
	s_and_b32 vcc_lo, s13, s0
	s_cmp_eq_u32 s4, 1
	v_cndmask_b32_e32 v25, 8, v22, vcc_lo
	v_cmp_nlt_f32_e32 vcc_lo, 0x42b17218, v18
	v_cndmask_b32_e32 v18, 0x7f800000, v23, vcc_lo
	v_add_co_u32 v22, vcc_lo, s10, v13
	v_add_co_ci_u32_e32 v23, vcc_lo, s11, v14, vcc_lo
	global_store_b32 v[20:21], v25, off
	global_store_b32 v[9:10], v18, off
	global_store_b32 v[22:23], v19, off
	s_cbranch_scc1 .LBB35_8
; %bb.6:
	v_cmp_ne_u32_e32 vcc_lo, 7, v24
	s_add_i32 s14, s14, s12
	v_cndmask_b32_e32 v7, 0xff800000, v7, vcc_lo
	v_cmp_ne_u32_e32 vcc_lo, 6, v24
	v_cndmask_b32_e32 v6, 0xff800000, v6, vcc_lo
	v_cmp_ne_u32_e32 vcc_lo, 5, v24
	;; [unrolled: 2-line block ×7, first 2 shown]
	v_cndmask_b32_e32 v24, 0xff800000, v0, vcc_lo
	v_add_co_u32 v0, vcc_lo, v13, s10
	v_add_co_ci_u32_e32 v1, vcc_lo, s11, v14, vcc_lo
	v_add_co_u32 v2, vcc_lo, v11, s8
	v_add_co_ci_u32_e32 v3, vcc_lo, s9, v12, vcc_lo
	s_delay_alu instid0(VALU_DEP_4) | instskip(NEXT) | instid1(VALU_DEP_4)
	v_add_co_u32 v0, vcc_lo, v0, 4
	v_add_co_ci_u32_e32 v1, vcc_lo, 0, v1, vcc_lo
	s_delay_alu instid0(VALU_DEP_4) | instskip(NEXT) | instid1(VALU_DEP_4)
	v_add_co_u32 v2, vcc_lo, v2, 4
	v_add_co_ci_u32_e32 v3, vcc_lo, 0, v3, vcc_lo
	v_add_co_u32 v4, vcc_lo, v9, 4
	v_add_co_ci_u32_e32 v5, vcc_lo, 0, v10, vcc_lo
	v_add3_u32 v9, s14, v17, v16
	s_add_i32 s8, s4, -1
.LBB35_7:                               ; =>This Inner Loop Header: Depth=1
	v_cmp_gt_f32_e32 vcc_lo, v23, v24
	s_add_i32 s8, s8, -1
	v_cndmask_b32_e32 v10, v24, v23, vcc_lo
	v_cndmask_b32_e64 v11, 0, 1, vcc_lo
	s_delay_alu instid0(VALU_DEP_2) | instskip(SKIP_1) | instid1(VALU_DEP_3)
	v_cmp_gt_f32_e32 vcc_lo, v22, v10
	v_cndmask_b32_e32 v10, v10, v22, vcc_lo
	v_cndmask_b32_e64 v11, v11, 2, vcc_lo
	s_delay_alu instid0(VALU_DEP_2) | instskip(SKIP_1) | instid1(VALU_DEP_3)
	v_cmp_gt_f32_e32 vcc_lo, v21, v10
	;; [unrolled: 4-line block ×5, first 2 shown]
	v_cndmask_b32_e32 v10, v10, v6, vcc_lo
	v_cndmask_b32_e64 v11, v11, 6, vcc_lo
	s_delay_alu instid0(VALU_DEP_2) | instskip(NEXT) | instid1(VALU_DEP_2)
	v_cmp_gt_f32_e32 vcc_lo, v7, v10
	v_cndmask_b32_e64 v11, v11, 7, vcc_lo
	v_cndmask_b32_e32 v10, v10, v7, vcc_lo
	s_delay_alu instid0(VALU_DEP_2) | instskip(NEXT) | instid1(VALU_DEP_2)
	v_cmp_ne_u32_e64 s1, 7, v11
	v_sub_f32_e32 v10, v10, v15
	v_cmp_le_i32_e32 vcc_lo, s5, v11
	v_cmp_gt_i32_e64 s0, s6, v11
	v_subrev_nc_u32_e32 v13, s5, v11
	v_cndmask_b32_e64 v7, 0xff800000, v7, s1
	v_cmp_ne_u32_e64 s1, 6, v11
	v_mul_f32_e32 v12, 0x3fb8aa3b, v10
	s_and_b32 s0, vcc_lo, s0
	s_delay_alu instid0(SALU_CYCLE_1) | instskip(NEXT) | instid1(VALU_DEP_2)
	s_and_b32 vcc_lo, s13, s0
	v_cndmask_b32_e64 v6, 0xff800000, v6, s1
	v_cmp_ne_u32_e64 s1, 5, v11
	v_rndne_f32_e32 v14, v12
	v_cndmask_b32_e32 v13, 8, v13, vcc_lo
	global_store_b32 v[2:3], v13, off
	global_store_b32 v[0:1], v9, off
	v_add_nc_u32_e32 v9, s12, v9
	v_cndmask_b32_e64 v19, 0xff800000, v19, s1
	v_cmp_ne_u32_e64 s1, 4, v11
	v_add_co_u32 v0, vcc_lo, v0, 4
	v_add_co_ci_u32_e32 v1, vcc_lo, 0, v1, vcc_lo
	s_delay_alu instid0(VALU_DEP_3) | instskip(SKIP_3) | instid1(VALU_DEP_3)
	v_cndmask_b32_e64 v20, 0xff800000, v20, s1
	v_cmp_ne_u32_e64 s1, 3, v11
	v_add_co_u32 v2, vcc_lo, v2, 4
	v_add_co_ci_u32_e32 v3, vcc_lo, 0, v3, vcc_lo
	v_cndmask_b32_e64 v21, 0xff800000, v21, s1
	v_cmp_ne_u32_e64 s1, 2, v11
	v_cmp_ngt_f32_e32 vcc_lo, 0xc2ce8ed0, v10
	s_cmp_eq_u32 s8, 0
	s_delay_alu instid0(VALU_DEP_2) | instskip(SKIP_1) | instid1(VALU_DEP_1)
	v_cndmask_b32_e64 v22, 0xff800000, v22, s1
	v_cmp_ne_u32_e64 s1, 1, v11
	v_cndmask_b32_e64 v23, 0xff800000, v23, s1
	v_cmp_ne_u32_e64 s1, 0, v11
	v_fma_f32 v11, 0x3fb8aa3b, v10, -v12
	v_sub_f32_e32 v12, v12, v14
	v_cvt_i32_f32_e32 v14, v14
	s_delay_alu instid0(VALU_DEP_4) | instskip(NEXT) | instid1(VALU_DEP_4)
	v_cndmask_b32_e64 v24, 0xff800000, v24, s1
	v_fmac_f32_e32 v11, 0x32a5705f, v10
	s_delay_alu instid0(VALU_DEP_1) | instskip(NEXT) | instid1(VALU_DEP_1)
	v_add_f32_e32 v11, v12, v11
	v_exp_f32_e32 v11, v11
	s_waitcnt_depctr 0xfff
	v_ldexp_f32 v11, v11, v14
	s_delay_alu instid0(VALU_DEP_1) | instskip(SKIP_1) | instid1(VALU_DEP_2)
	v_cndmask_b32_e32 v11, 0, v11, vcc_lo
	v_cmp_nlt_f32_e32 vcc_lo, 0x42b17218, v10
	v_cndmask_b32_e32 v10, 0x7f800000, v11, vcc_lo
	global_store_b32 v[4:5], v10, off
	v_add_co_u32 v4, vcc_lo, v4, 4
	v_add_f32_e32 v18, v18, v10
	v_add_co_ci_u32_e32 v5, vcc_lo, 0, v5, vcc_lo
	s_cbranch_scc0 .LBB35_7
.LBB35_8:
	s_delay_alu instid0(VALU_DEP_2)
	v_cmp_neq_f32_e32 vcc_lo, 0, v18
	s_and_b32 exec_lo, exec_lo, vcc_lo
	s_cbranch_execz .LBB35_12
; %bb.9:
	s_and_not1_b32 vcc_lo, exec_lo, s7
	s_cbranch_vccnz .LBB35_12
; %bb.10:
	v_div_scale_f32 v0, null, v18, v18, 1.0
	v_div_scale_f32 v3, vcc_lo, 1.0, v18, 1.0
	v_ashrrev_i32_e32 v9, 31, v8
	s_delay_alu instid0(VALU_DEP_3) | instskip(SKIP_2) | instid1(VALU_DEP_1)
	v_rcp_f32_e32 v1, v0
	s_waitcnt_depctr 0xfff
	v_fma_f32 v2, -v0, v1, 1.0
	v_fmac_f32_e32 v1, v2, v1
	s_delay_alu instid0(VALU_DEP_1) | instskip(NEXT) | instid1(VALU_DEP_1)
	v_mul_f32_e32 v2, v3, v1
	v_fma_f32 v4, -v0, v2, v3
	s_delay_alu instid0(VALU_DEP_1) | instskip(NEXT) | instid1(VALU_DEP_1)
	v_fmac_f32_e32 v2, v4, v1
	v_fma_f32 v0, -v0, v2, v3
	s_delay_alu instid0(VALU_DEP_1) | instskip(SKIP_1) | instid1(VALU_DEP_2)
	v_div_fmas_f32 v2, v0, v1, v2
	v_lshlrev_b64 v[0:1], 2, v[8:9]
	v_div_fixup_f32 v2, v2, v18, 1.0
	s_delay_alu instid0(VALU_DEP_2) | instskip(NEXT) | instid1(VALU_DEP_3)
	v_add_co_u32 v0, vcc_lo, s2, v0
	v_add_co_ci_u32_e32 v1, vcc_lo, s3, v1, vcc_lo
.LBB35_11:                              ; =>This Inner Loop Header: Depth=1
	global_load_b32 v3, v[0:1], off
	s_add_i32 s4, s4, -1
	s_delay_alu instid0(SALU_CYCLE_1)
	s_cmp_lg_u32 s4, 0
	s_waitcnt vmcnt(0)
	v_mul_f32_e32 v3, v2, v3
	global_store_b32 v[0:1], v3, off
	v_add_co_u32 v0, vcc_lo, v0, 4
	v_add_co_ci_u32_e32 v1, vcc_lo, 0, v1, vcc_lo
	s_cbranch_scc1 .LBB35_11
.LBB35_12:
	s_nop 0
	s_sendmsg sendmsg(MSG_DEALLOC_VGPRS)
	s_endpgm
	.section	.rodata,"a",@progbits
	.p2align	6, 0x0
	.amdhsa_kernel _ZN4vllm3moe17topkGatingSoftmaxIfLi8ELi8ELi8ELi32ELb1ELi2ELNS0_23SharedExpertScoringFuncE1EEEvPKT_PKbPfiPiS9_iiiiii
		.amdhsa_group_segment_fixed_size 0
		.amdhsa_private_segment_fixed_size 0
		.amdhsa_kernarg_size 72
		.amdhsa_user_sgpr_count 15
		.amdhsa_user_sgpr_dispatch_ptr 0
		.amdhsa_user_sgpr_queue_ptr 0
		.amdhsa_user_sgpr_kernarg_segment_ptr 1
		.amdhsa_user_sgpr_dispatch_id 0
		.amdhsa_user_sgpr_private_segment_size 0
		.amdhsa_wavefront_size32 1
		.amdhsa_uses_dynamic_stack 0
		.amdhsa_enable_private_segment 0
		.amdhsa_system_sgpr_workgroup_id_x 1
		.amdhsa_system_sgpr_workgroup_id_y 0
		.amdhsa_system_sgpr_workgroup_id_z 0
		.amdhsa_system_sgpr_workgroup_info 0
		.amdhsa_system_vgpr_workitem_id 1
		.amdhsa_next_free_vgpr 26
		.amdhsa_next_free_sgpr 16
		.amdhsa_reserve_vcc 1
		.amdhsa_float_round_mode_32 0
		.amdhsa_float_round_mode_16_64 0
		.amdhsa_float_denorm_mode_32 3
		.amdhsa_float_denorm_mode_16_64 3
		.amdhsa_dx10_clamp 1
		.amdhsa_ieee_mode 1
		.amdhsa_fp16_overflow 0
		.amdhsa_workgroup_processor_mode 1
		.amdhsa_memory_ordered 1
		.amdhsa_forward_progress 0
		.amdhsa_shared_vgpr_count 0
		.amdhsa_exception_fp_ieee_invalid_op 0
		.amdhsa_exception_fp_denorm_src 0
		.amdhsa_exception_fp_ieee_div_zero 0
		.amdhsa_exception_fp_ieee_overflow 0
		.amdhsa_exception_fp_ieee_underflow 0
		.amdhsa_exception_fp_ieee_inexact 0
		.amdhsa_exception_int_div_zero 0
	.end_amdhsa_kernel
	.section	.text._ZN4vllm3moe17topkGatingSoftmaxIfLi8ELi8ELi8ELi32ELb1ELi2ELNS0_23SharedExpertScoringFuncE1EEEvPKT_PKbPfiPiS9_iiiiii,"axG",@progbits,_ZN4vllm3moe17topkGatingSoftmaxIfLi8ELi8ELi8ELi32ELb1ELi2ELNS0_23SharedExpertScoringFuncE1EEEvPKT_PKbPfiPiS9_iiiiii,comdat
.Lfunc_end35:
	.size	_ZN4vllm3moe17topkGatingSoftmaxIfLi8ELi8ELi8ELi32ELb1ELi2ELNS0_23SharedExpertScoringFuncE1EEEvPKT_PKbPfiPiS9_iiiiii, .Lfunc_end35-_ZN4vllm3moe17topkGatingSoftmaxIfLi8ELi8ELi8ELi32ELb1ELi2ELNS0_23SharedExpertScoringFuncE1EEEvPKT_PKbPfiPiS9_iiiiii
                                        ; -- End function
	.section	.AMDGPU.csdata,"",@progbits
; Kernel info:
; codeLenInByte = 2072
; NumSgprs: 18
; NumVgprs: 26
; ScratchSize: 0
; MemoryBound: 0
; FloatMode: 240
; IeeeMode: 1
; LDSByteSize: 0 bytes/workgroup (compile time only)
; SGPRBlocks: 2
; VGPRBlocks: 3
; NumSGPRsForWavesPerEU: 18
; NumVGPRsForWavesPerEU: 26
; Occupancy: 16
; WaveLimiterHint : 0
; COMPUTE_PGM_RSRC2:SCRATCH_EN: 0
; COMPUTE_PGM_RSRC2:USER_SGPR: 15
; COMPUTE_PGM_RSRC2:TRAP_HANDLER: 0
; COMPUTE_PGM_RSRC2:TGID_X_EN: 1
; COMPUTE_PGM_RSRC2:TGID_Y_EN: 0
; COMPUTE_PGM_RSRC2:TGID_Z_EN: 0
; COMPUTE_PGM_RSRC2:TIDIG_COMP_CNT: 1
	.section	.text._ZN4vllm3moe17topkGatingSoftmaxIfLi8ELi8ELi8ELi32ELb0ELi2ELNS0_23SharedExpertScoringFuncE1EEEvPKT_PKbPfiPiS9_iiiiii,"axG",@progbits,_ZN4vllm3moe17topkGatingSoftmaxIfLi8ELi8ELi8ELi32ELb0ELi2ELNS0_23SharedExpertScoringFuncE1EEEvPKT_PKbPfiPiS9_iiiiii,comdat
	.protected	_ZN4vllm3moe17topkGatingSoftmaxIfLi8ELi8ELi8ELi32ELb0ELi2ELNS0_23SharedExpertScoringFuncE1EEEvPKT_PKbPfiPiS9_iiiiii ; -- Begin function _ZN4vllm3moe17topkGatingSoftmaxIfLi8ELi8ELi8ELi32ELb0ELi2ELNS0_23SharedExpertScoringFuncE1EEEvPKT_PKbPfiPiS9_iiiiii
	.globl	_ZN4vllm3moe17topkGatingSoftmaxIfLi8ELi8ELi8ELi32ELb0ELi2ELNS0_23SharedExpertScoringFuncE1EEEvPKT_PKbPfiPiS9_iiiiii
	.p2align	8
	.type	_ZN4vllm3moe17topkGatingSoftmaxIfLi8ELi8ELi8ELi32ELb0ELi2ELNS0_23SharedExpertScoringFuncE1EEEvPKT_PKbPfiPiS9_iiiiii,@function
_ZN4vllm3moe17topkGatingSoftmaxIfLi8ELi8ELi8ELi32ELb0ELi2ELNS0_23SharedExpertScoringFuncE1EEEvPKT_PKbPfiPiS9_iiiiii: ; @_ZN4vllm3moe17topkGatingSoftmaxIfLi8ELi8ELi8ELi32ELb0ELi2ELNS0_23SharedExpertScoringFuncE1EEEvPKT_PKbPfiPiS9_iiiiii
; %bb.0:
	s_load_b32 s16, s[0:1], 0x18
	v_bfe_u32 v1, v0, 10, 10
	v_and_b32_e32 v18, 0x3ff, v0
	s_lshl_b32 s18, s15, 8
	s_mov_b32 s2, exec_lo
	s_delay_alu instid0(VALU_DEP_2) | instskip(NEXT) | instid1(VALU_DEP_1)
	v_lshlrev_b32_e32 v17, 5, v1
	v_add3_u32 v19, v17, v18, s18
	s_waitcnt lgkmcnt(0)
	s_delay_alu instid0(VALU_DEP_1)
	v_cmpx_gt_i32_e64 s16, v19
	s_cbranch_execz .LBB36_12
; %bb.1:
	s_clause 0x1
	s_load_b128 s[4:7], s[0:1], 0x0
	s_load_b64 s[12:13], s[0:1], 0x10
	s_waitcnt lgkmcnt(0)
	s_cmp_eq_u64 s[6:7], 0
	s_cbranch_scc1 .LBB36_3
; %bb.2:
	v_ashrrev_i32_e32 v1, 31, v19
	v_add_co_u32 v0, vcc_lo, s6, v19
	s_delay_alu instid0(VALU_DEP_2) | instskip(SKIP_3) | instid1(VALU_DEP_1)
	v_add_co_ci_u32_e32 v1, vcc_lo, s7, v1, vcc_lo
	global_load_u8 v0, v[0:1], off
	s_waitcnt vmcnt(0)
	v_and_b32_e32 v0, 1, v0
	v_cmp_eq_u32_e32 vcc_lo, 1, v0
	s_xor_b32 s2, vcc_lo, -1
	s_delay_alu instid0(SALU_CYCLE_1)
	s_or_not1_b32 s17, s2, exec_lo
	s_branch .LBB36_4
.LBB36_3:
	s_mov_b32 s17, -1
.LBB36_4:
	s_clause 0x1
	s_load_b64 s[14:15], s[0:1], 0x40
	s_load_b128 s[8:11], s[0:1], 0x30
	s_waitcnt lgkmcnt(0)
	v_mul_lo_u32 v0, v19, s15
	v_mul_lo_u32 v8, v19, s11
	s_cmp_gt_i32 s8, 0
	s_cselect_b32 s11, -1, 0
	s_cmp_lt_i32 s8, 1
	s_delay_alu instid0(VALU_DEP_2) | instskip(NEXT) | instid1(VALU_DEP_1)
	v_ashrrev_i32_e32 v1, 31, v0
	v_lshlrev_b64 v[0:1], 2, v[0:1]
	s_delay_alu instid0(VALU_DEP_1) | instskip(NEXT) | instid1(VALU_DEP_2)
	v_add_co_u32 v9, vcc_lo, s4, v0
	v_add_co_ci_u32_e32 v10, vcc_lo, s5, v1, vcc_lo
	global_load_b32 v0, v[9:10], off offset:32
	s_waitcnt vmcnt(0)
	v_mul_f32_e32 v1, 0xbfb8aa3b, v0
	v_cmp_nlt_f32_e32 vcc_lo, 0x42ce8ed0, v0
	s_delay_alu instid0(VALU_DEP_2) | instskip(SKIP_1) | instid1(VALU_DEP_1)
	v_fma_f32 v2, 0xbfb8aa3b, v0, -v1
	v_rndne_f32_e32 v3, v1
	v_dual_fmac_f32 v2, 0xb2a5705f, v0 :: v_dual_sub_f32 v1, v1, v3
	s_delay_alu instid0(VALU_DEP_1) | instskip(SKIP_1) | instid1(VALU_DEP_2)
	v_add_f32_e32 v1, v1, v2
	v_cvt_i32_f32_e32 v2, v3
	v_exp_f32_e32 v1, v1
	s_waitcnt_depctr 0xfff
	v_ldexp_f32 v1, v1, v2
	s_delay_alu instid0(VALU_DEP_1) | instskip(SKIP_1) | instid1(VALU_DEP_2)
	v_cndmask_b32_e32 v1, 0, v1, vcc_lo
	v_cmp_ngt_f32_e32 vcc_lo, 0xc2b17218, v0
	v_cndmask_b32_e32 v0, 0x7f800000, v1, vcc_lo
	s_delay_alu instid0(VALU_DEP_1) | instskip(NEXT) | instid1(VALU_DEP_1)
	v_add_f32_e32 v2, 1.0, v0
	v_div_scale_f32 v3, null, v2, v2, 1.0
	v_div_scale_f32 v5, vcc_lo, 1.0, v2, 1.0
	s_delay_alu instid0(VALU_DEP_2) | instskip(SKIP_2) | instid1(VALU_DEP_1)
	v_rcp_f32_e32 v4, v3
	s_waitcnt_depctr 0xfff
	v_fma_f32 v0, -v3, v4, 1.0
	v_fmac_f32_e32 v4, v0, v4
	v_add_nc_u32_e32 v0, s8, v8
	s_delay_alu instid0(VALU_DEP_2) | instskip(NEXT) | instid1(VALU_DEP_1)
	v_mul_f32_e32 v6, v5, v4
	v_fma_f32 v1, -v3, v6, v5
	s_delay_alu instid0(VALU_DEP_1) | instskip(NEXT) | instid1(VALU_DEP_4)
	v_fmac_f32_e32 v6, v1, v4
	v_ashrrev_i32_e32 v1, 31, v0
	s_delay_alu instid0(VALU_DEP_2) | instskip(NEXT) | instid1(VALU_DEP_2)
	v_fma_f32 v3, -v3, v6, v5
	v_lshlrev_b64 v[0:1], 2, v[0:1]
	s_delay_alu instid0(VALU_DEP_2) | instskip(NEXT) | instid1(VALU_DEP_2)
	v_div_fmas_f32 v3, v3, v4, v6
	v_add_co_u32 v11, vcc_lo, s12, v0
	s_delay_alu instid0(VALU_DEP_3) | instskip(NEXT) | instid1(VALU_DEP_3)
	v_add_co_ci_u32_e32 v12, vcc_lo, s13, v1, vcc_lo
	v_div_fixup_f32 v13, v3, v2, 1.0
	s_clause 0x1
	global_load_b128 v[0:3], v[9:10], off offset:16
	global_load_b128 v[4:7], v[9:10], off
	global_store_b32 v[11:12], v13, off
	global_load_b32 v9, v[9:10], off offset:36
	s_waitcnt vmcnt(1)
	v_cmp_lt_f32_e64 s7, v4, v5
	s_delay_alu instid0(VALU_DEP_1) | instskip(SKIP_3) | instid1(VALU_DEP_3)
	v_cndmask_b32_e64 v15, v4, v5, s7
	s_waitcnt vmcnt(0)
	v_mul_f32_e32 v10, 0xbfb8aa3b, v9
	v_cmp_nlt_f32_e32 vcc_lo, 0x42ce8ed0, v9
	v_cmp_lt_f32_e64 s5, v15, v6
	s_delay_alu instid0(VALU_DEP_3) | instskip(SKIP_1) | instid1(VALU_DEP_1)
	v_fma_f32 v13, 0xbfb8aa3b, v9, -v10
	v_rndne_f32_e32 v14, v10
	v_dual_fmac_f32 v13, 0xb2a5705f, v9 :: v_dual_sub_f32 v10, v10, v14
	s_delay_alu instid0(VALU_DEP_1) | instskip(SKIP_1) | instid1(VALU_DEP_2)
	v_add_f32_e32 v10, v10, v13
	v_cvt_i32_f32_e32 v13, v14
	v_exp_f32_e32 v10, v10
	s_waitcnt_depctr 0xfff
	v_ldexp_f32 v10, v10, v13
	s_delay_alu instid0(VALU_DEP_1) | instskip(SKIP_1) | instid1(VALU_DEP_2)
	v_cndmask_b32_e32 v10, 0, v10, vcc_lo
	v_cmp_ngt_f32_e32 vcc_lo, 0xc2b17218, v9
	v_cndmask_b32_e32 v9, 0x7f800000, v10, vcc_lo
	s_delay_alu instid0(VALU_DEP_1) | instskip(NEXT) | instid1(VALU_DEP_1)
	v_add_f32_e32 v9, 1.0, v9
	v_div_scale_f32 v10, null, v9, v9, 1.0
	v_div_scale_f32 v16, vcc_lo, 1.0, v9, 1.0
	s_delay_alu instid0(VALU_DEP_2) | instskip(SKIP_2) | instid1(VALU_DEP_1)
	v_rcp_f32_e32 v13, v10
	s_waitcnt_depctr 0xfff
	v_fma_f32 v14, -v10, v13, 1.0
	v_fmac_f32_e32 v13, v14, v13
	v_cndmask_b32_e64 v14, v15, v6, s5
	s_delay_alu instid0(VALU_DEP_2) | instskip(NEXT) | instid1(VALU_DEP_2)
	v_mul_f32_e32 v15, v16, v13
	v_cmp_lt_f32_e64 s6, v14, v7
	s_delay_alu instid0(VALU_DEP_2) | instskip(NEXT) | instid1(VALU_DEP_2)
	v_fma_f32 v20, -v10, v15, v16
	v_cndmask_b32_e64 v14, v14, v7, s6
	s_delay_alu instid0(VALU_DEP_2) | instskip(NEXT) | instid1(VALU_DEP_2)
	v_fmac_f32_e32 v15, v20, v13
	v_cmp_lt_f32_e64 s4, v14, v0
	s_delay_alu instid0(VALU_DEP_2) | instskip(SKIP_1) | instid1(VALU_DEP_3)
	v_fma_f32 v10, -v10, v15, v16
	v_mov_b32_e32 v16, 0
	v_cndmask_b32_e64 v14, v14, v0, s4
	s_delay_alu instid0(VALU_DEP_3) | instskip(NEXT) | instid1(VALU_DEP_2)
	v_div_fmas_f32 v10, v10, v13, v15
	v_cmp_lt_f32_e64 s3, v14, v1
	s_delay_alu instid0(VALU_DEP_2) | instskip(NEXT) | instid1(VALU_DEP_2)
	v_div_fixup_f32 v9, v10, v9, 1.0
	v_cndmask_b32_e64 v14, v14, v1, s3
	global_store_b32 v[11:12], v9, off offset:4
	v_cmp_lt_f32_e64 s2, v14, v2
	s_delay_alu instid0(VALU_DEP_1) | instskip(NEXT) | instid1(VALU_DEP_1)
	v_cndmask_b32_e64 v14, v14, v2, s2
	v_cmp_lt_f32_e32 vcc_lo, v14, v3
	v_cndmask_b32_e32 v15, v14, v3, vcc_lo
	s_cbranch_scc1 .LBB36_8
; %bb.5:
	v_cndmask_b32_e64 v9, 0, 1, s7
	s_delay_alu instid0(VALU_DEP_2) | instskip(SKIP_2) | instid1(VALU_DEP_4)
	v_sub_f32_e32 v16, v15, v15
	v_mul_lo_u32 v10, v19, s14
	v_mul_lo_u32 v20, v19, s8
	v_cndmask_b32_e64 v9, v9, 2, s5
	s_delay_alu instid0(VALU_DEP_4) | instskip(NEXT) | instid1(VALU_DEP_2)
	v_mul_f32_e32 v11, 0x3fb8aa3b, v16
	v_cndmask_b32_e64 v9, v9, 3, s6
	s_delay_alu instid0(VALU_DEP_2) | instskip(SKIP_1) | instid1(VALU_DEP_3)
	v_rndne_f32_e32 v12, v11
	v_fma_f32 v13, 0x3fb8aa3b, v16, -v11
	v_cndmask_b32_e64 v14, v9, 4, s4
	s_delay_alu instid0(VALU_DEP_3) | instskip(NEXT) | instid1(VALU_DEP_3)
	v_sub_f32_e32 v11, v11, v12
	v_fmac_f32_e32 v13, 0x32a5705f, v16
	v_ashrrev_i32_e32 v9, 31, v8
	s_load_b128 s[4:7], s[0:1], 0x20
	v_cndmask_b32_e64 v21, v14, 5, s3
	v_cvt_i32_f32_e32 v12, v12
	v_add_f32_e32 v22, v11, v13
	v_lshlrev_b64 v[13:14], 2, v[8:9]
	v_ashrrev_i32_e32 v11, 31, v10
	v_cndmask_b32_e64 v9, v21, 6, s2
	v_ashrrev_i32_e32 v21, 31, v20
	v_exp_f32_e32 v22, v22
	s_delay_alu instid0(VALU_DEP_2) | instskip(SKIP_2) | instid1(VALU_DEP_3)
	v_cndmask_b32_e64 v24, v9, 7, vcc_lo
	v_add_co_u32 v13, vcc_lo, s12, v13
	v_add_co_ci_u32_e32 v14, vcc_lo, s13, v14, vcc_lo
	v_cmp_le_i32_e32 vcc_lo, s9, v24
	v_cmp_gt_i32_e64 s0, s10, v24
	v_lshlrev_b64 v[9:10], 2, v[10:11]
	s_delay_alu instid0(TRANS32_DEP_1)
	v_ldexp_f32 v22, v22, v12
	v_lshlrev_b64 v[11:12], 2, v[20:21]
	v_subrev_nc_u32_e32 v23, s9, v24
	s_and_b32 s0, vcc_lo, s0
	v_cmp_ngt_f32_e32 vcc_lo, 0xc2ce8ed0, v16
	v_cndmask_b32_e32 v22, 0, v22, vcc_lo
	s_waitcnt lgkmcnt(0)
	v_add_co_u32 v20, vcc_lo, s4, v9
	v_add_co_ci_u32_e32 v21, vcc_lo, s5, v10, vcc_lo
	s_and_b32 vcc_lo, s17, s0
	s_cmp_eq_u32 s8, 1
	v_cndmask_b32_e32 v25, 8, v23, vcc_lo
	v_cmp_nlt_f32_e32 vcc_lo, 0x42b17218, v16
	v_cndmask_b32_e32 v16, 0x7f800000, v22, vcc_lo
	v_add_co_u32 v22, vcc_lo, s6, v11
	v_add_co_ci_u32_e32 v23, vcc_lo, s7, v12, vcc_lo
	v_cmp_ne_u32_e32 vcc_lo, 7, v24
	global_store_b32 v[13:14], v16, off
	global_store_b32 v[20:21], v25, off
	;; [unrolled: 1-line block ×3, first 2 shown]
	v_cndmask_b32_e32 v3, 0xff800000, v3, vcc_lo
	v_cmp_ne_u32_e32 vcc_lo, 6, v24
	v_cndmask_b32_e32 v2, 0xff800000, v2, vcc_lo
	v_cmp_ne_u32_e32 vcc_lo, 5, v24
	;; [unrolled: 2-line block ×7, first 2 shown]
	v_cndmask_b32_e32 v4, 0xff800000, v4, vcc_lo
	s_cbranch_scc1 .LBB36_8
; %bb.6:
	v_add_co_u32 v11, vcc_lo, v11, s6
	v_add_co_ci_u32_e32 v12, vcc_lo, s7, v12, vcc_lo
	v_add_co_u32 v19, vcc_lo, v9, s4
	v_add_co_ci_u32_e32 v20, vcc_lo, s5, v10, vcc_lo
	s_delay_alu instid0(VALU_DEP_4) | instskip(NEXT) | instid1(VALU_DEP_4)
	v_add_co_u32 v9, vcc_lo, v11, 4
	v_add_co_ci_u32_e32 v10, vcc_lo, 0, v12, vcc_lo
	s_delay_alu instid0(VALU_DEP_4) | instskip(NEXT) | instid1(VALU_DEP_4)
	v_add_co_u32 v11, vcc_lo, v19, 4
	v_add_co_ci_u32_e32 v12, vcc_lo, 0, v20, vcc_lo
	s_add_i32 s18, s18, s16
	v_add_co_u32 v13, vcc_lo, v13, 4
	v_add_co_ci_u32_e32 v14, vcc_lo, 0, v14, vcc_lo
	v_add3_u32 v17, s18, v18, v17
	s_add_i32 s2, s8, -1
.LBB36_7:                               ; =>This Inner Loop Header: Depth=1
	v_cmp_gt_f32_e32 vcc_lo, v5, v4
	s_add_i32 s2, s2, -1
	v_cndmask_b32_e32 v18, v4, v5, vcc_lo
	v_cndmask_b32_e64 v19, 0, 1, vcc_lo
	s_delay_alu instid0(VALU_DEP_2) | instskip(SKIP_1) | instid1(VALU_DEP_3)
	v_cmp_gt_f32_e32 vcc_lo, v6, v18
	v_cndmask_b32_e32 v18, v18, v6, vcc_lo
	v_cndmask_b32_e64 v19, v19, 2, vcc_lo
	s_delay_alu instid0(VALU_DEP_2) | instskip(SKIP_1) | instid1(VALU_DEP_3)
	v_cmp_gt_f32_e32 vcc_lo, v7, v18
	;; [unrolled: 4-line block ×5, first 2 shown]
	v_cndmask_b32_e32 v18, v18, v2, vcc_lo
	v_cndmask_b32_e64 v19, v19, 6, vcc_lo
	s_delay_alu instid0(VALU_DEP_2) | instskip(NEXT) | instid1(VALU_DEP_2)
	v_cmp_gt_f32_e32 vcc_lo, v3, v18
	v_cndmask_b32_e64 v19, v19, 7, vcc_lo
	v_cndmask_b32_e32 v18, v18, v3, vcc_lo
	s_delay_alu instid0(VALU_DEP_2) | instskip(NEXT) | instid1(VALU_DEP_2)
	v_cmp_ne_u32_e64 s1, 7, v19
	v_sub_f32_e32 v18, v18, v15
	v_cmp_le_i32_e32 vcc_lo, s9, v19
	v_cmp_gt_i32_e64 s0, s10, v19
	v_subrev_nc_u32_e32 v21, s9, v19
	v_cndmask_b32_e64 v3, 0xff800000, v3, s1
	v_cmp_ne_u32_e64 s1, 6, v19
	v_mul_f32_e32 v20, 0x3fb8aa3b, v18
	s_and_b32 s0, vcc_lo, s0
	s_delay_alu instid0(SALU_CYCLE_1) | instskip(NEXT) | instid1(VALU_DEP_2)
	s_and_b32 vcc_lo, s17, s0
	v_cndmask_b32_e64 v2, 0xff800000, v2, s1
	v_cmp_ne_u32_e64 s1, 5, v19
	v_rndne_f32_e32 v22, v20
	v_cndmask_b32_e32 v21, 8, v21, vcc_lo
	global_store_b32 v[11:12], v21, off
	global_store_b32 v[9:10], v17, off
	v_cndmask_b32_e64 v1, 0xff800000, v1, s1
	v_cmp_ne_u32_e64 s1, 4, v19
	v_add_co_u32 v9, vcc_lo, v9, 4
	v_add_co_ci_u32_e32 v10, vcc_lo, 0, v10, vcc_lo
	s_delay_alu instid0(VALU_DEP_3) | instskip(SKIP_3) | instid1(VALU_DEP_3)
	v_cndmask_b32_e64 v0, 0xff800000, v0, s1
	v_cmp_ne_u32_e64 s1, 3, v19
	v_add_co_u32 v11, vcc_lo, v11, 4
	v_add_co_ci_u32_e32 v12, vcc_lo, 0, v12, vcc_lo
	v_cndmask_b32_e64 v7, 0xff800000, v7, s1
	v_cmp_ne_u32_e64 s1, 2, v19
	v_cmp_ngt_f32_e32 vcc_lo, 0xc2ce8ed0, v18
	v_add_nc_u32_e32 v17, s16, v17
	s_cmp_eq_u32 s2, 0
	s_delay_alu instid0(VALU_DEP_3) | instskip(SKIP_1) | instid1(VALU_DEP_1)
	v_cndmask_b32_e64 v6, 0xff800000, v6, s1
	v_cmp_ne_u32_e64 s1, 1, v19
	v_cndmask_b32_e64 v5, 0xff800000, v5, s1
	v_cmp_ne_u32_e64 s1, 0, v19
	v_fma_f32 v19, 0x3fb8aa3b, v18, -v20
	v_sub_f32_e32 v20, v20, v22
	v_cvt_i32_f32_e32 v22, v22
	s_delay_alu instid0(VALU_DEP_4) | instskip(NEXT) | instid1(VALU_DEP_4)
	v_cndmask_b32_e64 v4, 0xff800000, v4, s1
	v_fmac_f32_e32 v19, 0x32a5705f, v18
	s_delay_alu instid0(VALU_DEP_1) | instskip(NEXT) | instid1(VALU_DEP_1)
	v_add_f32_e32 v19, v20, v19
	v_exp_f32_e32 v19, v19
	s_waitcnt_depctr 0xfff
	v_ldexp_f32 v19, v19, v22
	s_delay_alu instid0(VALU_DEP_1) | instskip(SKIP_1) | instid1(VALU_DEP_2)
	v_cndmask_b32_e32 v19, 0, v19, vcc_lo
	v_cmp_nlt_f32_e32 vcc_lo, 0x42b17218, v18
	v_cndmask_b32_e32 v18, 0x7f800000, v19, vcc_lo
	global_store_b32 v[13:14], v18, off
	v_add_co_u32 v13, vcc_lo, v13, 4
	v_add_f32_e32 v16, v16, v18
	v_add_co_ci_u32_e32 v14, vcc_lo, 0, v14, vcc_lo
	s_cbranch_scc0 .LBB36_7
.LBB36_8:
	s_delay_alu instid0(VALU_DEP_1) | instskip(NEXT) | instid1(VALU_DEP_2)
	v_sub_f32_e32 v6, v6, v15
	v_sub_f32_e32 v4, v4, v15
	;; [unrolled: 1-line block ×4, first 2 shown]
	s_delay_alu instid0(VALU_DEP_4) | instskip(NEXT) | instid1(VALU_DEP_3)
	v_dual_sub_f32 v0, v0, v15 :: v_dual_mul_f32 v11, 0x3fb8aa3b, v6
	v_dual_mul_f32 v9, 0x3fb8aa3b, v4 :: v_dual_mul_f32 v10, 0x3fb8aa3b, v5
	v_cmp_ngt_f32_e32 vcc_lo, 0xc2ce8ed0, v4
	v_sub_f32_e32 v2, v2, v15
	s_delay_alu instid0(VALU_DEP_4) | instskip(NEXT) | instid1(VALU_DEP_4)
	v_rndne_f32_e32 v20, v11
	v_rndne_f32_e32 v14, v9
	v_mul_f32_e32 v12, 0x3fb8aa3b, v7
	v_fma_f32 v13, 0x3fb8aa3b, v4, -v9
	v_fma_f32 v17, 0x3fb8aa3b, v5, -v10
	v_rndne_f32_e32 v18, v10
	v_sub_f32_e32 v9, v9, v14
	v_rndne_f32_e32 v22, v12
	v_fma_f32 v21, 0x3fb8aa3b, v7, -v12
	v_fma_f32 v19, 0x3fb8aa3b, v6, -v11
	v_dual_sub_f32 v10, v10, v18 :: v_dual_fmac_f32 v17, 0x32a5705f, v5
	s_delay_alu instid0(VALU_DEP_4) | instskip(NEXT) | instid1(VALU_DEP_2)
	v_dual_sub_f32 v12, v12, v22 :: v_dual_fmac_f32 v13, 0x32a5705f, v4
	v_add_f32_e32 v10, v10, v17
	s_delay_alu instid0(VALU_DEP_2) | instskip(SKIP_2) | instid1(VALU_DEP_4)
	v_add_f32_e32 v9, v9, v13
	v_cvt_i32_f32_e32 v13, v14
	v_cvt_i32_f32_e32 v14, v18
	v_exp_f32_e32 v10, v10
	s_delay_alu instid0(VALU_DEP_3) | instskip(SKIP_4) | instid1(VALU_DEP_2)
	v_exp_f32_e32 v9, v9
	s_waitcnt_depctr 0xfff
	v_ldexp_f32 v10, v10, v14
	v_ldexp_f32 v9, v9, v13
	v_cvt_i32_f32_e32 v13, v20
	v_cndmask_b32_e32 v9, 0, v9, vcc_lo
	v_cmp_ngt_f32_e32 vcc_lo, 0xc2ce8ed0, v5
	v_cndmask_b32_e32 v10, 0, v10, vcc_lo
	v_cmp_nlt_f32_e32 vcc_lo, 0x42b17218, v4
	s_delay_alu instid0(VALU_DEP_4) | instskip(SKIP_1) | instid1(VALU_DEP_4)
	v_dual_sub_f32 v11, v11, v20 :: v_dual_cndmask_b32 v4, 0x7f800000, v9
	v_cmp_nlt_f32_e32 vcc_lo, 0x42b17218, v5
	v_cndmask_b32_e32 v5, 0x7f800000, v10, vcc_lo
	v_fmac_f32_e32 v21, 0x32a5705f, v7
	v_cmp_ngt_f32_e32 vcc_lo, 0xc2ce8ed0, v6
	v_cvt_i32_f32_e32 v10, v22
	s_delay_alu instid0(VALU_DEP_4) | instskip(NEXT) | instid1(VALU_DEP_1)
	v_dual_add_f32 v4, v4, v5 :: v_dual_fmac_f32 v19, 0x32a5705f, v6
	v_dual_add_f32 v12, v12, v21 :: v_dual_add_f32 v11, v11, v19
	s_delay_alu instid0(VALU_DEP_1) | instskip(NEXT) | instid1(VALU_DEP_1)
	v_exp_f32_e32 v12, v12
	v_exp_f32_e32 v11, v11
	s_waitcnt_depctr 0xfff
	v_ldexp_f32 v11, v11, v13
	s_delay_alu instid0(VALU_DEP_1) | instskip(SKIP_2) | instid1(VALU_DEP_3)
	v_cndmask_b32_e32 v9, 0, v11, vcc_lo
	v_cmp_nlt_f32_e32 vcc_lo, 0x42b17218, v6
	v_dual_mul_f32 v6, 0x3fb8aa3b, v0 :: v_dual_mul_f32 v11, 0x3fb8aa3b, v2
	v_cndmask_b32_e32 v5, 0x7f800000, v9, vcc_lo
	v_ldexp_f32 v9, v12, v10
	s_delay_alu instid0(VALU_DEP_3) | instskip(NEXT) | instid1(VALU_DEP_4)
	v_rndne_f32_e32 v10, v6
	v_fma_f32 v12, 0x3fb8aa3b, v2, -v11
	s_delay_alu instid0(VALU_DEP_4) | instskip(SKIP_1) | instid1(VALU_DEP_4)
	v_dual_sub_f32 v1, v1, v15 :: v_dual_add_f32 v4, v4, v5
	v_fma_f32 v5, 0x3fb8aa3b, v0, -v6
	v_sub_f32_e32 v6, v6, v10
	s_delay_alu instid0(VALU_DEP_4)
	v_fmac_f32_e32 v12, 0x32a5705f, v2
	v_cmp_ngt_f32_e32 vcc_lo, 0xc2ce8ed0, v7
	v_cvt_i32_f32_e32 v10, v10
	v_fmac_f32_e32 v5, 0x32a5705f, v0
	v_cndmask_b32_e32 v9, 0, v9, vcc_lo
	v_cmp_nlt_f32_e32 vcc_lo, 0x42b17218, v7
	s_delay_alu instid0(VALU_DEP_3) | instskip(NEXT) | instid1(VALU_DEP_3)
	v_add_f32_e32 v5, v6, v5
	v_cndmask_b32_e32 v7, 0x7f800000, v9, vcc_lo
	s_delay_alu instid0(VALU_DEP_2) | instskip(SKIP_1) | instid1(VALU_DEP_2)
	v_exp_f32_e32 v5, v5
	v_cmp_ngt_f32_e32 vcc_lo, 0xc2ce8ed0, v0
	v_add_f32_e32 v4, v4, v7
	s_waitcnt_depctr 0xfff
	v_ldexp_f32 v5, v5, v10
	s_delay_alu instid0(VALU_DEP_1) | instskip(SKIP_1) | instid1(VALU_DEP_2)
	v_cndmask_b32_e32 v5, 0, v5, vcc_lo
	v_cmp_nlt_f32_e32 vcc_lo, 0x42b17218, v0
	v_dual_sub_f32 v3, v3, v15 :: v_dual_cndmask_b32 v0, 0x7f800000, v5
	s_delay_alu instid0(VALU_DEP_1) | instskip(SKIP_1) | instid1(VALU_DEP_3)
	v_dual_mul_f32 v9, 0x3fb8aa3b, v1 :: v_dual_mul_f32 v14, 0x3fb8aa3b, v3
	v_cmp_ngt_f32_e32 vcc_lo, 0xc2ce8ed0, v1
	v_add_f32_e32 v0, v4, v0
	s_delay_alu instid0(VALU_DEP_3) | instskip(SKIP_2) | instid1(VALU_DEP_2)
	v_fma_f32 v6, 0x3fb8aa3b, v1, -v9
	v_rndne_f32_e32 v7, v9
	v_rndne_f32_e32 v15, v14
	v_dual_fmac_f32 v6, 0x32a5705f, v1 :: v_dual_sub_f32 v9, v9, v7
	v_cvt_i32_f32_e32 v7, v7
	s_delay_alu instid0(VALU_DEP_3) | instskip(SKIP_1) | instid1(VALU_DEP_1)
	v_sub_f32_e32 v10, v14, v15
	v_rndne_f32_e32 v13, v11
	v_dual_add_f32 v6, v9, v6 :: v_dual_sub_f32 v9, v11, v13
	v_fma_f32 v11, 0x3fb8aa3b, v3, -v14
	s_delay_alu instid0(VALU_DEP_2) | instskip(SKIP_3) | instid1(VALU_DEP_1)
	v_exp_f32_e32 v6, v6
	v_cvt_i32_f32_e32 v5, v13
	s_waitcnt_depctr 0xfff
	v_ldexp_f32 v6, v6, v7
	v_cndmask_b32_e32 v6, 0, v6, vcc_lo
	v_cmp_nlt_f32_e32 vcc_lo, 0x42b17218, v1
	s_delay_alu instid0(VALU_DEP_2) | instskip(SKIP_1) | instid1(VALU_DEP_2)
	v_cndmask_b32_e32 v1, 0x7f800000, v6, vcc_lo
	v_cmp_ngt_f32_e32 vcc_lo, 0xc2ce8ed0, v2
	v_dual_fmac_f32 v11, 0x32a5705f, v3 :: v_dual_add_f32 v0, v0, v1
	s_delay_alu instid0(VALU_DEP_1) | instskip(NEXT) | instid1(VALU_DEP_1)
	v_dual_add_f32 v10, v10, v11 :: v_dual_add_f32 v9, v9, v12
	v_exp_f32_e32 v7, v10
	s_delay_alu instid0(VALU_DEP_1) | instskip(SKIP_3) | instid1(VALU_DEP_2)
	v_exp_f32_e32 v9, v9
	s_waitcnt_depctr 0xfff
	v_ldexp_f32 v4, v9, v5
	v_cvt_i32_f32_e32 v5, v15
	v_cndmask_b32_e32 v4, 0, v4, vcc_lo
	v_cmp_nlt_f32_e32 vcc_lo, 0x42b17218, v2
	s_delay_alu instid0(VALU_DEP_3) | instskip(NEXT) | instid1(VALU_DEP_3)
	v_ldexp_f32 v5, v7, v5
	v_cndmask_b32_e32 v1, 0x7f800000, v4, vcc_lo
	v_cmp_ngt_f32_e32 vcc_lo, 0xc2ce8ed0, v3
	s_delay_alu instid0(VALU_DEP_3) | instskip(SKIP_1) | instid1(VALU_DEP_2)
	v_cndmask_b32_e32 v2, 0, v5, vcc_lo
	v_cmp_nlt_f32_e32 vcc_lo, 0x42b17218, v3
	v_dual_add_f32 v0, v0, v1 :: v_dual_cndmask_b32 v1, 0x7f800000, v2
	s_delay_alu instid0(VALU_DEP_1) | instskip(NEXT) | instid1(VALU_DEP_1)
	v_add_f32_e32 v0, v0, v1
	v_add_f32_e32 v0, v16, v0
	s_delay_alu instid0(VALU_DEP_1)
	v_cmp_neq_f32_e32 vcc_lo, 0, v0
	s_and_b32 exec_lo, exec_lo, vcc_lo
	s_cbranch_execz .LBB36_12
; %bb.9:
	s_and_not1_b32 vcc_lo, exec_lo, s11
	s_cbranch_vccnz .LBB36_12
; %bb.10:
	v_div_scale_f32 v1, null, v0, v0, 1.0
	v_div_scale_f32 v4, vcc_lo, 1.0, v0, 1.0
	v_ashrrev_i32_e32 v9, 31, v8
	s_delay_alu instid0(VALU_DEP_3) | instskip(SKIP_2) | instid1(VALU_DEP_1)
	v_rcp_f32_e32 v2, v1
	s_waitcnt_depctr 0xfff
	v_fma_f32 v3, -v1, v2, 1.0
	v_fmac_f32_e32 v2, v3, v2
	s_delay_alu instid0(VALU_DEP_1) | instskip(NEXT) | instid1(VALU_DEP_1)
	v_mul_f32_e32 v3, v4, v2
	v_fma_f32 v5, -v1, v3, v4
	s_delay_alu instid0(VALU_DEP_1) | instskip(NEXT) | instid1(VALU_DEP_1)
	v_fmac_f32_e32 v3, v5, v2
	v_fma_f32 v1, -v1, v3, v4
	s_delay_alu instid0(VALU_DEP_1) | instskip(SKIP_1) | instid1(VALU_DEP_2)
	v_div_fmas_f32 v1, v1, v2, v3
	v_lshlrev_b64 v[3:4], 2, v[8:9]
	v_div_fixup_f32 v2, v1, v0, 1.0
	s_delay_alu instid0(VALU_DEP_2) | instskip(NEXT) | instid1(VALU_DEP_3)
	v_add_co_u32 v0, vcc_lo, s12, v3
	v_add_co_ci_u32_e32 v1, vcc_lo, s13, v4, vcc_lo
.LBB36_11:                              ; =>This Inner Loop Header: Depth=1
	global_load_b32 v3, v[0:1], off
	s_add_i32 s8, s8, -1
	s_delay_alu instid0(SALU_CYCLE_1)
	s_cmp_lg_u32 s8, 0
	s_waitcnt vmcnt(0)
	v_mul_f32_e32 v3, v2, v3
	global_store_b32 v[0:1], v3, off
	v_add_co_u32 v0, vcc_lo, v0, 4
	v_add_co_ci_u32_e32 v1, vcc_lo, 0, v1, vcc_lo
	s_cbranch_scc1 .LBB36_11
.LBB36_12:
	s_nop 0
	s_sendmsg sendmsg(MSG_DEALLOC_VGPRS)
	s_endpgm
	.section	.rodata,"a",@progbits
	.p2align	6, 0x0
	.amdhsa_kernel _ZN4vllm3moe17topkGatingSoftmaxIfLi8ELi8ELi8ELi32ELb0ELi2ELNS0_23SharedExpertScoringFuncE1EEEvPKT_PKbPfiPiS9_iiiiii
		.amdhsa_group_segment_fixed_size 0
		.amdhsa_private_segment_fixed_size 0
		.amdhsa_kernarg_size 72
		.amdhsa_user_sgpr_count 15
		.amdhsa_user_sgpr_dispatch_ptr 0
		.amdhsa_user_sgpr_queue_ptr 0
		.amdhsa_user_sgpr_kernarg_segment_ptr 1
		.amdhsa_user_sgpr_dispatch_id 0
		.amdhsa_user_sgpr_private_segment_size 0
		.amdhsa_wavefront_size32 1
		.amdhsa_uses_dynamic_stack 0
		.amdhsa_enable_private_segment 0
		.amdhsa_system_sgpr_workgroup_id_x 1
		.amdhsa_system_sgpr_workgroup_id_y 0
		.amdhsa_system_sgpr_workgroup_id_z 0
		.amdhsa_system_sgpr_workgroup_info 0
		.amdhsa_system_vgpr_workitem_id 1
		.amdhsa_next_free_vgpr 26
		.amdhsa_next_free_sgpr 19
		.amdhsa_reserve_vcc 1
		.amdhsa_float_round_mode_32 0
		.amdhsa_float_round_mode_16_64 0
		.amdhsa_float_denorm_mode_32 3
		.amdhsa_float_denorm_mode_16_64 3
		.amdhsa_dx10_clamp 1
		.amdhsa_ieee_mode 1
		.amdhsa_fp16_overflow 0
		.amdhsa_workgroup_processor_mode 1
		.amdhsa_memory_ordered 1
		.amdhsa_forward_progress 0
		.amdhsa_shared_vgpr_count 0
		.amdhsa_exception_fp_ieee_invalid_op 0
		.amdhsa_exception_fp_denorm_src 0
		.amdhsa_exception_fp_ieee_div_zero 0
		.amdhsa_exception_fp_ieee_overflow 0
		.amdhsa_exception_fp_ieee_underflow 0
		.amdhsa_exception_fp_ieee_inexact 0
		.amdhsa_exception_int_div_zero 0
	.end_amdhsa_kernel
	.section	.text._ZN4vllm3moe17topkGatingSoftmaxIfLi8ELi8ELi8ELi32ELb0ELi2ELNS0_23SharedExpertScoringFuncE1EEEvPKT_PKbPfiPiS9_iiiiii,"axG",@progbits,_ZN4vllm3moe17topkGatingSoftmaxIfLi8ELi8ELi8ELi32ELb0ELi2ELNS0_23SharedExpertScoringFuncE1EEEvPKT_PKbPfiPiS9_iiiiii,comdat
.Lfunc_end36:
	.size	_ZN4vllm3moe17topkGatingSoftmaxIfLi8ELi8ELi8ELi32ELb0ELi2ELNS0_23SharedExpertScoringFuncE1EEEvPKT_PKbPfiPiS9_iiiiii, .Lfunc_end36-_ZN4vllm3moe17topkGatingSoftmaxIfLi8ELi8ELi8ELi32ELb0ELi2ELNS0_23SharedExpertScoringFuncE1EEEvPKT_PKbPfiPiS9_iiiiii
                                        ; -- End function
	.section	.AMDGPU.csdata,"",@progbits
; Kernel info:
; codeLenInByte = 2964
; NumSgprs: 21
; NumVgprs: 26
; ScratchSize: 0
; MemoryBound: 0
; FloatMode: 240
; IeeeMode: 1
; LDSByteSize: 0 bytes/workgroup (compile time only)
; SGPRBlocks: 2
; VGPRBlocks: 3
; NumSGPRsForWavesPerEU: 21
; NumVGPRsForWavesPerEU: 26
; Occupancy: 16
; WaveLimiterHint : 0
; COMPUTE_PGM_RSRC2:SCRATCH_EN: 0
; COMPUTE_PGM_RSRC2:USER_SGPR: 15
; COMPUTE_PGM_RSRC2:TRAP_HANDLER: 0
; COMPUTE_PGM_RSRC2:TGID_X_EN: 1
; COMPUTE_PGM_RSRC2:TGID_Y_EN: 0
; COMPUTE_PGM_RSRC2:TGID_Z_EN: 0
; COMPUTE_PGM_RSRC2:TIDIG_COMP_CNT: 1
	.section	.text._ZN4vllm3moe17topkGatingSoftmaxIfLi8ELi8ELi8ELi32ELb1ELi4ELNS0_23SharedExpertScoringFuncE1EEEvPKT_PKbPfiPiS9_iiiiii,"axG",@progbits,_ZN4vllm3moe17topkGatingSoftmaxIfLi8ELi8ELi8ELi32ELb1ELi4ELNS0_23SharedExpertScoringFuncE1EEEvPKT_PKbPfiPiS9_iiiiii,comdat
	.protected	_ZN4vllm3moe17topkGatingSoftmaxIfLi8ELi8ELi8ELi32ELb1ELi4ELNS0_23SharedExpertScoringFuncE1EEEvPKT_PKbPfiPiS9_iiiiii ; -- Begin function _ZN4vllm3moe17topkGatingSoftmaxIfLi8ELi8ELi8ELi32ELb1ELi4ELNS0_23SharedExpertScoringFuncE1EEEvPKT_PKbPfiPiS9_iiiiii
	.globl	_ZN4vllm3moe17topkGatingSoftmaxIfLi8ELi8ELi8ELi32ELb1ELi4ELNS0_23SharedExpertScoringFuncE1EEEvPKT_PKbPfiPiS9_iiiiii
	.p2align	8
	.type	_ZN4vllm3moe17topkGatingSoftmaxIfLi8ELi8ELi8ELi32ELb1ELi4ELNS0_23SharedExpertScoringFuncE1EEEvPKT_PKbPfiPiS9_iiiiii,@function
_ZN4vllm3moe17topkGatingSoftmaxIfLi8ELi8ELi8ELi32ELb1ELi4ELNS0_23SharedExpertScoringFuncE1EEEvPKT_PKbPfiPiS9_iiiiii: ; @_ZN4vllm3moe17topkGatingSoftmaxIfLi8ELi8ELi8ELi32ELb1ELi4ELNS0_23SharedExpertScoringFuncE1EEEvPKT_PKbPfiPiS9_iiiiii
; %bb.0:
	s_load_b32 s12, s[0:1], 0x18
	v_bfe_u32 v1, v0, 10, 10
	v_and_b32_e32 v16, 0x3ff, v0
	s_lshl_b32 s14, s15, 8
	s_mov_b32 s2, exec_lo
	s_delay_alu instid0(VALU_DEP_2) | instskip(NEXT) | instid1(VALU_DEP_1)
	v_lshlrev_b32_e32 v15, 5, v1
	v_add3_u32 v17, v15, v16, s14
	s_waitcnt lgkmcnt(0)
	s_delay_alu instid0(VALU_DEP_1)
	v_cmpx_gt_i32_e64 s12, v17
	s_cbranch_execz .LBB37_12
; %bb.1:
	s_clause 0x1
	s_load_b128 s[4:7], s[0:1], 0x0
	s_load_b64 s[2:3], s[0:1], 0x10
	s_waitcnt lgkmcnt(0)
	s_cmp_eq_u64 s[6:7], 0
	s_cbranch_scc1 .LBB37_3
; %bb.2:
	v_ashrrev_i32_e32 v1, 31, v17
	v_add_co_u32 v0, vcc_lo, s6, v17
	s_delay_alu instid0(VALU_DEP_2) | instskip(SKIP_3) | instid1(VALU_DEP_1)
	v_add_co_ci_u32_e32 v1, vcc_lo, s7, v1, vcc_lo
	global_load_u8 v0, v[0:1], off
	s_waitcnt vmcnt(0)
	v_and_b32_e32 v0, 1, v0
	v_cmp_eq_u32_e32 vcc_lo, 1, v0
	s_xor_b32 s6, vcc_lo, -1
	s_delay_alu instid0(SALU_CYCLE_1)
	s_or_not1_b32 s13, s6, exec_lo
	s_branch .LBB37_4
.LBB37_3:
	s_mov_b32 s13, -1
.LBB37_4:
	s_load_b64 s[8:9], s[0:1], 0x40
	s_waitcnt lgkmcnt(0)
	v_mul_lo_u32 v0, v17, s9
	s_delay_alu instid0(VALU_DEP_1) | instskip(NEXT) | instid1(VALU_DEP_1)
	v_ashrrev_i32_e32 v1, 31, v0
	v_lshlrev_b64 v[0:1], 2, v[0:1]
	s_delay_alu instid0(VALU_DEP_1) | instskip(NEXT) | instid1(VALU_DEP_2)
	v_add_co_u32 v9, vcc_lo, s4, v0
	v_add_co_ci_u32_e32 v10, vcc_lo, s5, v1, vcc_lo
	s_load_b128 s[4:7], s[0:1], 0x30
	global_load_b32 v0, v[9:10], off offset:32
	s_waitcnt lgkmcnt(0)
	v_mul_lo_u32 v8, v17, s7
	s_cmp_gt_i32 s4, 0
	s_cselect_b32 s7, -1, 0
	s_cmp_lt_i32 s4, 1
	s_waitcnt vmcnt(0)
	v_mul_f32_e32 v1, 0xbfb8aa3b, v0
	v_cmp_nlt_f32_e32 vcc_lo, 0x42ce8ed0, v0
	s_delay_alu instid0(VALU_DEP_2) | instskip(SKIP_1) | instid1(VALU_DEP_1)
	v_fma_f32 v2, 0xbfb8aa3b, v0, -v1
	v_rndne_f32_e32 v3, v1
	v_dual_fmac_f32 v2, 0xb2a5705f, v0 :: v_dual_sub_f32 v1, v1, v3
	s_delay_alu instid0(VALU_DEP_1) | instskip(SKIP_1) | instid1(VALU_DEP_2)
	v_add_f32_e32 v1, v1, v2
	v_cvt_i32_f32_e32 v2, v3
	v_exp_f32_e32 v1, v1
	s_waitcnt_depctr 0xfff
	v_ldexp_f32 v1, v1, v2
	s_delay_alu instid0(VALU_DEP_1) | instskip(SKIP_1) | instid1(VALU_DEP_2)
	v_cndmask_b32_e32 v1, 0, v1, vcc_lo
	v_cmp_ngt_f32_e32 vcc_lo, 0xc2b17218, v0
	v_cndmask_b32_e32 v0, 0x7f800000, v1, vcc_lo
	s_delay_alu instid0(VALU_DEP_1) | instskip(NEXT) | instid1(VALU_DEP_1)
	v_add_f32_e32 v2, 1.0, v0
	v_div_scale_f32 v3, null, v2, v2, 1.0
	v_div_scale_f32 v5, vcc_lo, 1.0, v2, 1.0
	s_delay_alu instid0(VALU_DEP_2) | instskip(SKIP_2) | instid1(VALU_DEP_1)
	v_rcp_f32_e32 v4, v3
	s_waitcnt_depctr 0xfff
	v_fma_f32 v0, -v3, v4, 1.0
	v_fmac_f32_e32 v4, v0, v4
	v_add_nc_u32_e32 v0, s4, v8
	s_delay_alu instid0(VALU_DEP_2) | instskip(NEXT) | instid1(VALU_DEP_1)
	v_mul_f32_e32 v6, v5, v4
	v_fma_f32 v1, -v3, v6, v5
	s_delay_alu instid0(VALU_DEP_1) | instskip(NEXT) | instid1(VALU_DEP_4)
	v_fmac_f32_e32 v6, v1, v4
	v_ashrrev_i32_e32 v1, 31, v0
	s_delay_alu instid0(VALU_DEP_2) | instskip(NEXT) | instid1(VALU_DEP_2)
	v_fma_f32 v3, -v3, v6, v5
	v_lshlrev_b64 v[0:1], 2, v[0:1]
	s_delay_alu instid0(VALU_DEP_2) | instskip(NEXT) | instid1(VALU_DEP_2)
	v_div_fmas_f32 v3, v3, v4, v6
	v_add_co_u32 v11, vcc_lo, s2, v0
	s_delay_alu instid0(VALU_DEP_3) | instskip(NEXT) | instid1(VALU_DEP_3)
	v_add_co_ci_u32_e32 v12, vcc_lo, s3, v1, vcc_lo
	v_div_fixup_f32 v13, v3, v2, 1.0
	s_clause 0x1
	global_load_b128 v[4:7], v[9:10], off offset:16
	global_load_b128 v[0:3], v[9:10], off
	global_store_b32 v[11:12], v13, off
	global_load_b32 v13, v[9:10], off offset:36
	s_waitcnt vmcnt(0)
	v_mul_f32_e32 v14, 0xbfb8aa3b, v13
	v_cmp_nlt_f32_e32 vcc_lo, 0x42ce8ed0, v13
	s_delay_alu instid0(VALU_DEP_2) | instskip(SKIP_1) | instid1(VALU_DEP_2)
	v_fma_f32 v18, 0xbfb8aa3b, v13, -v14
	v_rndne_f32_e32 v19, v14
	v_fmac_f32_e32 v18, 0xb2a5705f, v13
	s_delay_alu instid0(VALU_DEP_2) | instskip(NEXT) | instid1(VALU_DEP_1)
	v_sub_f32_e32 v14, v14, v19
	v_add_f32_e32 v14, v14, v18
	v_cvt_i32_f32_e32 v18, v19
	s_delay_alu instid0(VALU_DEP_2) | instskip(SKIP_2) | instid1(VALU_DEP_1)
	v_exp_f32_e32 v14, v14
	s_waitcnt_depctr 0xfff
	v_ldexp_f32 v14, v14, v18
	v_cndmask_b32_e32 v14, 0, v14, vcc_lo
	v_cmp_ngt_f32_e32 vcc_lo, 0xc2b17218, v13
	s_delay_alu instid0(VALU_DEP_2) | instskip(NEXT) | instid1(VALU_DEP_1)
	v_cndmask_b32_e32 v13, 0x7f800000, v14, vcc_lo
	v_add_f32_e32 v13, 1.0, v13
	s_delay_alu instid0(VALU_DEP_1) | instskip(SKIP_1) | instid1(VALU_DEP_2)
	v_div_scale_f32 v14, null, v13, v13, 1.0
	v_div_scale_f32 v20, vcc_lo, 1.0, v13, 1.0
	v_rcp_f32_e32 v18, v14
	s_waitcnt_depctr 0xfff
	v_fma_f32 v19, -v14, v18, 1.0
	s_delay_alu instid0(VALU_DEP_1) | instskip(NEXT) | instid1(VALU_DEP_1)
	v_fmac_f32_e32 v18, v19, v18
	v_mul_f32_e32 v19, v20, v18
	s_delay_alu instid0(VALU_DEP_1) | instskip(NEXT) | instid1(VALU_DEP_1)
	v_fma_f32 v21, -v14, v19, v20
	v_fmac_f32_e32 v19, v21, v18
	s_delay_alu instid0(VALU_DEP_1) | instskip(NEXT) | instid1(VALU_DEP_1)
	v_fma_f32 v14, -v14, v19, v20
	v_div_fmas_f32 v14, v14, v18, v19
	s_delay_alu instid0(VALU_DEP_1)
	v_div_fixup_f32 v13, v14, v13, 1.0
	global_store_b32 v[11:12], v13, off offset:4
	global_load_b32 v13, v[9:10], off offset:40
	s_waitcnt vmcnt(0)
	v_mul_f32_e32 v14, 0xbfb8aa3b, v13
	v_cmp_nlt_f32_e32 vcc_lo, 0x42ce8ed0, v13
	s_delay_alu instid0(VALU_DEP_2) | instskip(SKIP_1) | instid1(VALU_DEP_2)
	v_fma_f32 v18, 0xbfb8aa3b, v13, -v14
	v_rndne_f32_e32 v19, v14
	v_fmac_f32_e32 v18, 0xb2a5705f, v13
	s_delay_alu instid0(VALU_DEP_2) | instskip(NEXT) | instid1(VALU_DEP_1)
	v_sub_f32_e32 v14, v14, v19
	v_add_f32_e32 v14, v14, v18
	v_cvt_i32_f32_e32 v18, v19
	s_delay_alu instid0(VALU_DEP_2) | instskip(SKIP_2) | instid1(VALU_DEP_1)
	v_exp_f32_e32 v14, v14
	s_waitcnt_depctr 0xfff
	v_ldexp_f32 v14, v14, v18
	v_cndmask_b32_e32 v14, 0, v14, vcc_lo
	v_cmp_ngt_f32_e32 vcc_lo, 0xc2b17218, v13
	s_delay_alu instid0(VALU_DEP_2) | instskip(NEXT) | instid1(VALU_DEP_1)
	v_cndmask_b32_e32 v13, 0x7f800000, v14, vcc_lo
	v_add_f32_e32 v13, 1.0, v13
	s_delay_alu instid0(VALU_DEP_1) | instskip(SKIP_1) | instid1(VALU_DEP_2)
	v_div_scale_f32 v14, null, v13, v13, 1.0
	v_div_scale_f32 v20, vcc_lo, 1.0, v13, 1.0
	v_rcp_f32_e32 v18, v14
	s_waitcnt_depctr 0xfff
	v_fma_f32 v19, -v14, v18, 1.0
	s_delay_alu instid0(VALU_DEP_1) | instskip(NEXT) | instid1(VALU_DEP_1)
	v_fmac_f32_e32 v18, v19, v18
	v_mul_f32_e32 v19, v20, v18
	s_delay_alu instid0(VALU_DEP_1) | instskip(NEXT) | instid1(VALU_DEP_1)
	v_fma_f32 v21, -v14, v19, v20
	v_fmac_f32_e32 v19, v21, v18
	s_delay_alu instid0(VALU_DEP_1) | instskip(NEXT) | instid1(VALU_DEP_1)
	v_fma_f32 v14, -v14, v19, v20
	v_div_fmas_f32 v14, v14, v18, v19
	s_delay_alu instid0(VALU_DEP_1)
	v_div_fixup_f32 v13, v14, v13, 1.0
	global_store_b32 v[11:12], v13, off offset:8
	global_load_b32 v9, v[9:10], off offset:44
	s_waitcnt vmcnt(0)
	v_mul_f32_e32 v10, 0xbfb8aa3b, v9
	v_cmp_nlt_f32_e32 vcc_lo, 0x42ce8ed0, v9
	s_delay_alu instid0(VALU_DEP_2) | instskip(SKIP_1) | instid1(VALU_DEP_1)
	v_fma_f32 v13, 0xbfb8aa3b, v9, -v10
	v_rndne_f32_e32 v14, v10
	v_dual_fmac_f32 v13, 0xb2a5705f, v9 :: v_dual_sub_f32 v10, v10, v14
	s_delay_alu instid0(VALU_DEP_1) | instskip(SKIP_1) | instid1(VALU_DEP_2)
	v_add_f32_e32 v10, v10, v13
	v_cvt_i32_f32_e32 v13, v14
	v_exp_f32_e32 v10, v10
	s_waitcnt_depctr 0xfff
	v_ldexp_f32 v10, v10, v13
	s_delay_alu instid0(VALU_DEP_1) | instskip(SKIP_1) | instid1(VALU_DEP_2)
	v_cndmask_b32_e32 v10, 0, v10, vcc_lo
	v_cmp_ngt_f32_e32 vcc_lo, 0xc2b17218, v9
	v_cndmask_b32_e32 v9, 0x7f800000, v10, vcc_lo
	s_delay_alu instid0(VALU_DEP_1) | instskip(NEXT) | instid1(VALU_DEP_1)
	v_add_f32_e32 v9, 1.0, v9
	v_div_scale_f32 v10, null, v9, v9, 1.0
	v_div_scale_f32 v18, vcc_lo, 1.0, v9, 1.0
	s_delay_alu instid0(VALU_DEP_2) | instskip(SKIP_2) | instid1(VALU_DEP_1)
	v_rcp_f32_e32 v13, v10
	s_waitcnt_depctr 0xfff
	v_fma_f32 v14, -v10, v13, 1.0
	v_fmac_f32_e32 v13, v14, v13
	s_delay_alu instid0(VALU_DEP_1) | instskip(NEXT) | instid1(VALU_DEP_1)
	v_mul_f32_e32 v14, v18, v13
	v_fma_f32 v19, -v10, v14, v18
	s_delay_alu instid0(VALU_DEP_1) | instskip(NEXT) | instid1(VALU_DEP_1)
	v_dual_fmac_f32 v14, v19, v13 :: v_dual_mov_b32 v19, 0
	v_fma_f32 v10, -v10, v14, v18
	s_delay_alu instid0(VALU_DEP_1) | instskip(NEXT) | instid1(VALU_DEP_1)
	v_div_fmas_f32 v10, v10, v13, v14
	v_div_fixup_f32 v9, v10, v9, 1.0
	global_store_b32 v[11:12], v9, off offset:12
	s_cbranch_scc1 .LBB37_8
; %bb.5:
	v_cmp_lt_f32_e32 vcc_lo, v0, v1
	v_mul_lo_u32 v11, v17, s8
	s_load_b128 s[8:11], s[0:1], 0x20
	v_mul_lo_u32 v13, v17, s4
	v_cndmask_b32_e32 v10, v0, v1, vcc_lo
	v_cndmask_b32_e64 v9, 0, 1, vcc_lo
	s_delay_alu instid0(VALU_DEP_2) | instskip(SKIP_1) | instid1(VALU_DEP_3)
	v_cmp_lt_f32_e32 vcc_lo, v10, v2
	v_cndmask_b32_e32 v10, v10, v2, vcc_lo
	v_cndmask_b32_e64 v9, v9, 2, vcc_lo
	s_delay_alu instid0(VALU_DEP_2) | instskip(SKIP_1) | instid1(VALU_DEP_3)
	v_cmp_lt_f32_e32 vcc_lo, v10, v3
	;; [unrolled: 4-line block ×6, first 2 shown]
	v_cndmask_b32_e32 v18, v10, v7, vcc_lo
	v_cndmask_b32_e64 v24, v9, 7, vcc_lo
	s_delay_alu instid0(VALU_DEP_2) | instskip(NEXT) | instid1(VALU_DEP_2)
	v_sub_f32_e32 v19, v18, v18
	v_cmp_gt_i32_e64 s0, s6, v24
	v_subrev_nc_u32_e32 v22, s5, v24
	s_delay_alu instid0(VALU_DEP_3) | instskip(NEXT) | instid1(VALU_DEP_1)
	v_mul_f32_e32 v9, 0x3fb8aa3b, v19
	v_fma_f32 v10, 0x3fb8aa3b, v19, -v9
	v_rndne_f32_e32 v20, v9
	s_delay_alu instid0(VALU_DEP_2) | instskip(NEXT) | instid1(VALU_DEP_2)
	v_fmac_f32_e32 v10, 0x32a5705f, v19
	v_sub_f32_e32 v12, v9, v20
	v_ashrrev_i32_e32 v9, 31, v8
	v_cvt_i32_f32_e32 v20, v20
	s_delay_alu instid0(VALU_DEP_3) | instskip(NEXT) | instid1(VALU_DEP_3)
	v_add_f32_e32 v14, v12, v10
	v_lshlrev_b64 v[9:10], 2, v[8:9]
	v_ashrrev_i32_e32 v12, 31, v11
	s_delay_alu instid0(VALU_DEP_3) | instskip(SKIP_1) | instid1(VALU_DEP_3)
	v_exp_f32_e32 v21, v14
	v_ashrrev_i32_e32 v14, 31, v13
	v_add_co_u32 v9, vcc_lo, s2, v9
	s_delay_alu instid0(VALU_DEP_4) | instskip(SKIP_3) | instid1(TRANS32_DEP_1)
	v_add_co_ci_u32_e32 v10, vcc_lo, s3, v10, vcc_lo
	v_cmp_le_i32_e32 vcc_lo, s5, v24
	v_lshlrev_b64 v[11:12], 2, v[11:12]
	v_lshlrev_b64 v[13:14], 2, v[13:14]
	v_ldexp_f32 v20, v21, v20
	s_and_b32 s0, vcc_lo, s0
	v_cmp_ngt_f32_e32 vcc_lo, 0xc2ce8ed0, v19
	s_delay_alu instid0(VALU_DEP_2)
	v_cndmask_b32_e32 v23, 0, v20, vcc_lo
	s_waitcnt lgkmcnt(0)
	v_add_co_u32 v20, vcc_lo, s8, v11
	v_add_co_ci_u32_e32 v21, vcc_lo, s9, v12, vcc_lo
	s_and_b32 vcc_lo, s13, s0
	s_cmp_eq_u32 s4, 1
	v_cndmask_b32_e32 v25, 8, v22, vcc_lo
	v_cmp_nlt_f32_e32 vcc_lo, 0x42b17218, v19
	v_cndmask_b32_e32 v19, 0x7f800000, v23, vcc_lo
	v_add_co_u32 v22, vcc_lo, s10, v13
	v_add_co_ci_u32_e32 v23, vcc_lo, s11, v14, vcc_lo
	global_store_b32 v[20:21], v25, off
	global_store_b32 v[9:10], v19, off
	;; [unrolled: 1-line block ×3, first 2 shown]
	s_cbranch_scc1 .LBB37_8
; %bb.6:
	v_cmp_ne_u32_e32 vcc_lo, 7, v24
	s_add_i32 s14, s14, s12
	v_cndmask_b32_e32 v7, 0xff800000, v7, vcc_lo
	v_cmp_ne_u32_e32 vcc_lo, 6, v24
	v_cndmask_b32_e32 v6, 0xff800000, v6, vcc_lo
	v_cmp_ne_u32_e32 vcc_lo, 5, v24
	;; [unrolled: 2-line block ×7, first 2 shown]
	v_cndmask_b32_e32 v24, 0xff800000, v0, vcc_lo
	v_add_co_u32 v0, vcc_lo, v13, s10
	v_add_co_ci_u32_e32 v1, vcc_lo, s11, v14, vcc_lo
	v_add_co_u32 v2, vcc_lo, v11, s8
	v_add_co_ci_u32_e32 v3, vcc_lo, s9, v12, vcc_lo
	s_delay_alu instid0(VALU_DEP_4) | instskip(NEXT) | instid1(VALU_DEP_4)
	v_add_co_u32 v0, vcc_lo, v0, 4
	v_add_co_ci_u32_e32 v1, vcc_lo, 0, v1, vcc_lo
	s_delay_alu instid0(VALU_DEP_4) | instskip(NEXT) | instid1(VALU_DEP_4)
	v_add_co_u32 v2, vcc_lo, v2, 4
	v_add_co_ci_u32_e32 v3, vcc_lo, 0, v3, vcc_lo
	v_add_co_u32 v4, vcc_lo, v9, 4
	v_add_co_ci_u32_e32 v5, vcc_lo, 0, v10, vcc_lo
	v_add3_u32 v9, s14, v16, v15
	s_add_i32 s8, s4, -1
.LBB37_7:                               ; =>This Inner Loop Header: Depth=1
	v_cmp_gt_f32_e32 vcc_lo, v23, v24
	s_add_i32 s8, s8, -1
	v_cndmask_b32_e32 v10, v24, v23, vcc_lo
	v_cndmask_b32_e64 v11, 0, 1, vcc_lo
	s_delay_alu instid0(VALU_DEP_2) | instskip(SKIP_1) | instid1(VALU_DEP_3)
	v_cmp_gt_f32_e32 vcc_lo, v22, v10
	v_cndmask_b32_e32 v10, v10, v22, vcc_lo
	v_cndmask_b32_e64 v11, v11, 2, vcc_lo
	s_delay_alu instid0(VALU_DEP_2) | instskip(SKIP_1) | instid1(VALU_DEP_3)
	v_cmp_gt_f32_e32 vcc_lo, v21, v10
	;; [unrolled: 4-line block ×5, first 2 shown]
	v_cndmask_b32_e32 v10, v10, v6, vcc_lo
	v_cndmask_b32_e64 v11, v11, 6, vcc_lo
	s_delay_alu instid0(VALU_DEP_2) | instskip(NEXT) | instid1(VALU_DEP_2)
	v_cmp_gt_f32_e32 vcc_lo, v7, v10
	v_cndmask_b32_e64 v11, v11, 7, vcc_lo
	v_cndmask_b32_e32 v10, v10, v7, vcc_lo
	s_delay_alu instid0(VALU_DEP_2) | instskip(NEXT) | instid1(VALU_DEP_2)
	v_cmp_ne_u32_e64 s1, 7, v11
	v_sub_f32_e32 v10, v10, v18
	v_cmp_le_i32_e32 vcc_lo, s5, v11
	v_cmp_gt_i32_e64 s0, s6, v11
	v_subrev_nc_u32_e32 v13, s5, v11
	v_cndmask_b32_e64 v7, 0xff800000, v7, s1
	v_cmp_ne_u32_e64 s1, 6, v11
	v_mul_f32_e32 v12, 0x3fb8aa3b, v10
	s_and_b32 s0, vcc_lo, s0
	s_delay_alu instid0(SALU_CYCLE_1) | instskip(NEXT) | instid1(VALU_DEP_2)
	s_and_b32 vcc_lo, s13, s0
	v_cndmask_b32_e64 v6, 0xff800000, v6, s1
	v_cmp_ne_u32_e64 s1, 5, v11
	v_rndne_f32_e32 v14, v12
	v_cndmask_b32_e32 v13, 8, v13, vcc_lo
	global_store_b32 v[2:3], v13, off
	global_store_b32 v[0:1], v9, off
	v_add_nc_u32_e32 v9, s12, v9
	v_cndmask_b32_e64 v17, 0xff800000, v17, s1
	v_cmp_ne_u32_e64 s1, 4, v11
	v_add_co_u32 v0, vcc_lo, v0, 4
	v_add_co_ci_u32_e32 v1, vcc_lo, 0, v1, vcc_lo
	s_delay_alu instid0(VALU_DEP_3) | instskip(SKIP_3) | instid1(VALU_DEP_3)
	v_cndmask_b32_e64 v20, 0xff800000, v20, s1
	v_cmp_ne_u32_e64 s1, 3, v11
	v_add_co_u32 v2, vcc_lo, v2, 4
	v_add_co_ci_u32_e32 v3, vcc_lo, 0, v3, vcc_lo
	v_cndmask_b32_e64 v21, 0xff800000, v21, s1
	v_cmp_ne_u32_e64 s1, 2, v11
	v_cmp_ngt_f32_e32 vcc_lo, 0xc2ce8ed0, v10
	s_cmp_eq_u32 s8, 0
	s_delay_alu instid0(VALU_DEP_2) | instskip(SKIP_1) | instid1(VALU_DEP_1)
	v_cndmask_b32_e64 v22, 0xff800000, v22, s1
	v_cmp_ne_u32_e64 s1, 1, v11
	v_cndmask_b32_e64 v23, 0xff800000, v23, s1
	v_cmp_ne_u32_e64 s1, 0, v11
	v_fma_f32 v11, 0x3fb8aa3b, v10, -v12
	v_sub_f32_e32 v12, v12, v14
	v_cvt_i32_f32_e32 v14, v14
	s_delay_alu instid0(VALU_DEP_4) | instskip(NEXT) | instid1(VALU_DEP_4)
	v_cndmask_b32_e64 v24, 0xff800000, v24, s1
	v_fmac_f32_e32 v11, 0x32a5705f, v10
	s_delay_alu instid0(VALU_DEP_1) | instskip(NEXT) | instid1(VALU_DEP_1)
	v_add_f32_e32 v11, v12, v11
	v_exp_f32_e32 v11, v11
	s_waitcnt_depctr 0xfff
	v_ldexp_f32 v11, v11, v14
	s_delay_alu instid0(VALU_DEP_1) | instskip(SKIP_1) | instid1(VALU_DEP_2)
	v_cndmask_b32_e32 v11, 0, v11, vcc_lo
	v_cmp_nlt_f32_e32 vcc_lo, 0x42b17218, v10
	v_cndmask_b32_e32 v10, 0x7f800000, v11, vcc_lo
	global_store_b32 v[4:5], v10, off
	v_add_co_u32 v4, vcc_lo, v4, 4
	v_add_f32_e32 v19, v19, v10
	v_add_co_ci_u32_e32 v5, vcc_lo, 0, v5, vcc_lo
	s_cbranch_scc0 .LBB37_7
.LBB37_8:
	s_delay_alu instid0(VALU_DEP_2)
	v_cmp_neq_f32_e32 vcc_lo, 0, v19
	s_and_b32 exec_lo, exec_lo, vcc_lo
	s_cbranch_execz .LBB37_12
; %bb.9:
	s_and_not1_b32 vcc_lo, exec_lo, s7
	s_cbranch_vccnz .LBB37_12
; %bb.10:
	v_div_scale_f32 v0, null, v19, v19, 1.0
	v_div_scale_f32 v3, vcc_lo, 1.0, v19, 1.0
	v_ashrrev_i32_e32 v9, 31, v8
	s_delay_alu instid0(VALU_DEP_3) | instskip(SKIP_2) | instid1(VALU_DEP_1)
	v_rcp_f32_e32 v1, v0
	s_waitcnt_depctr 0xfff
	v_fma_f32 v2, -v0, v1, 1.0
	v_fmac_f32_e32 v1, v2, v1
	s_delay_alu instid0(VALU_DEP_1) | instskip(NEXT) | instid1(VALU_DEP_1)
	v_mul_f32_e32 v2, v3, v1
	v_fma_f32 v4, -v0, v2, v3
	s_delay_alu instid0(VALU_DEP_1) | instskip(NEXT) | instid1(VALU_DEP_1)
	v_fmac_f32_e32 v2, v4, v1
	v_fma_f32 v0, -v0, v2, v3
	s_delay_alu instid0(VALU_DEP_1) | instskip(SKIP_1) | instid1(VALU_DEP_2)
	v_div_fmas_f32 v2, v0, v1, v2
	v_lshlrev_b64 v[0:1], 2, v[8:9]
	v_div_fixup_f32 v2, v2, v19, 1.0
	s_delay_alu instid0(VALU_DEP_2) | instskip(NEXT) | instid1(VALU_DEP_3)
	v_add_co_u32 v0, vcc_lo, s2, v0
	v_add_co_ci_u32_e32 v1, vcc_lo, s3, v1, vcc_lo
.LBB37_11:                              ; =>This Inner Loop Header: Depth=1
	global_load_b32 v3, v[0:1], off
	s_add_i32 s4, s4, -1
	s_delay_alu instid0(SALU_CYCLE_1)
	s_cmp_lg_u32 s4, 0
	s_waitcnt vmcnt(0)
	v_mul_f32_e32 v3, v2, v3
	global_store_b32 v[0:1], v3, off
	v_add_co_u32 v0, vcc_lo, v0, 4
	v_add_co_ci_u32_e32 v1, vcc_lo, 0, v1, vcc_lo
	s_cbranch_scc1 .LBB37_11
.LBB37_12:
	s_nop 0
	s_sendmsg sendmsg(MSG_DEALLOC_VGPRS)
	s_endpgm
	.section	.rodata,"a",@progbits
	.p2align	6, 0x0
	.amdhsa_kernel _ZN4vllm3moe17topkGatingSoftmaxIfLi8ELi8ELi8ELi32ELb1ELi4ELNS0_23SharedExpertScoringFuncE1EEEvPKT_PKbPfiPiS9_iiiiii
		.amdhsa_group_segment_fixed_size 0
		.amdhsa_private_segment_fixed_size 0
		.amdhsa_kernarg_size 72
		.amdhsa_user_sgpr_count 15
		.amdhsa_user_sgpr_dispatch_ptr 0
		.amdhsa_user_sgpr_queue_ptr 0
		.amdhsa_user_sgpr_kernarg_segment_ptr 1
		.amdhsa_user_sgpr_dispatch_id 0
		.amdhsa_user_sgpr_private_segment_size 0
		.amdhsa_wavefront_size32 1
		.amdhsa_uses_dynamic_stack 0
		.amdhsa_enable_private_segment 0
		.amdhsa_system_sgpr_workgroup_id_x 1
		.amdhsa_system_sgpr_workgroup_id_y 0
		.amdhsa_system_sgpr_workgroup_id_z 0
		.amdhsa_system_sgpr_workgroup_info 0
		.amdhsa_system_vgpr_workitem_id 1
		.amdhsa_next_free_vgpr 26
		.amdhsa_next_free_sgpr 16
		.amdhsa_reserve_vcc 1
		.amdhsa_float_round_mode_32 0
		.amdhsa_float_round_mode_16_64 0
		.amdhsa_float_denorm_mode_32 3
		.amdhsa_float_denorm_mode_16_64 3
		.amdhsa_dx10_clamp 1
		.amdhsa_ieee_mode 1
		.amdhsa_fp16_overflow 0
		.amdhsa_workgroup_processor_mode 1
		.amdhsa_memory_ordered 1
		.amdhsa_forward_progress 0
		.amdhsa_shared_vgpr_count 0
		.amdhsa_exception_fp_ieee_invalid_op 0
		.amdhsa_exception_fp_denorm_src 0
		.amdhsa_exception_fp_ieee_div_zero 0
		.amdhsa_exception_fp_ieee_overflow 0
		.amdhsa_exception_fp_ieee_underflow 0
		.amdhsa_exception_fp_ieee_inexact 0
		.amdhsa_exception_int_div_zero 0
	.end_amdhsa_kernel
	.section	.text._ZN4vllm3moe17topkGatingSoftmaxIfLi8ELi8ELi8ELi32ELb1ELi4ELNS0_23SharedExpertScoringFuncE1EEEvPKT_PKbPfiPiS9_iiiiii,"axG",@progbits,_ZN4vllm3moe17topkGatingSoftmaxIfLi8ELi8ELi8ELi32ELb1ELi4ELNS0_23SharedExpertScoringFuncE1EEEvPKT_PKbPfiPiS9_iiiiii,comdat
.Lfunc_end37:
	.size	_ZN4vllm3moe17topkGatingSoftmaxIfLi8ELi8ELi8ELi32ELb1ELi4ELNS0_23SharedExpertScoringFuncE1EEEvPKT_PKbPfiPiS9_iiiiii, .Lfunc_end37-_ZN4vllm3moe17topkGatingSoftmaxIfLi8ELi8ELi8ELi32ELb1ELi4ELNS0_23SharedExpertScoringFuncE1EEEvPKT_PKbPfiPiS9_iiiiii
                                        ; -- End function
	.section	.AMDGPU.csdata,"",@progbits
; Kernel info:
; codeLenInByte = 2520
; NumSgprs: 18
; NumVgprs: 26
; ScratchSize: 0
; MemoryBound: 0
; FloatMode: 240
; IeeeMode: 1
; LDSByteSize: 0 bytes/workgroup (compile time only)
; SGPRBlocks: 2
; VGPRBlocks: 3
; NumSGPRsForWavesPerEU: 18
; NumVGPRsForWavesPerEU: 26
; Occupancy: 16
; WaveLimiterHint : 0
; COMPUTE_PGM_RSRC2:SCRATCH_EN: 0
; COMPUTE_PGM_RSRC2:USER_SGPR: 15
; COMPUTE_PGM_RSRC2:TRAP_HANDLER: 0
; COMPUTE_PGM_RSRC2:TGID_X_EN: 1
; COMPUTE_PGM_RSRC2:TGID_Y_EN: 0
; COMPUTE_PGM_RSRC2:TGID_Z_EN: 0
; COMPUTE_PGM_RSRC2:TIDIG_COMP_CNT: 1
	.section	.text._ZN4vllm3moe17topkGatingSoftmaxIfLi8ELi8ELi8ELi32ELb0ELi4ELNS0_23SharedExpertScoringFuncE1EEEvPKT_PKbPfiPiS9_iiiiii,"axG",@progbits,_ZN4vllm3moe17topkGatingSoftmaxIfLi8ELi8ELi8ELi32ELb0ELi4ELNS0_23SharedExpertScoringFuncE1EEEvPKT_PKbPfiPiS9_iiiiii,comdat
	.protected	_ZN4vllm3moe17topkGatingSoftmaxIfLi8ELi8ELi8ELi32ELb0ELi4ELNS0_23SharedExpertScoringFuncE1EEEvPKT_PKbPfiPiS9_iiiiii ; -- Begin function _ZN4vllm3moe17topkGatingSoftmaxIfLi8ELi8ELi8ELi32ELb0ELi4ELNS0_23SharedExpertScoringFuncE1EEEvPKT_PKbPfiPiS9_iiiiii
	.globl	_ZN4vllm3moe17topkGatingSoftmaxIfLi8ELi8ELi8ELi32ELb0ELi4ELNS0_23SharedExpertScoringFuncE1EEEvPKT_PKbPfiPiS9_iiiiii
	.p2align	8
	.type	_ZN4vllm3moe17topkGatingSoftmaxIfLi8ELi8ELi8ELi32ELb0ELi4ELNS0_23SharedExpertScoringFuncE1EEEvPKT_PKbPfiPiS9_iiiiii,@function
_ZN4vllm3moe17topkGatingSoftmaxIfLi8ELi8ELi8ELi32ELb0ELi4ELNS0_23SharedExpertScoringFuncE1EEEvPKT_PKbPfiPiS9_iiiiii: ; @_ZN4vllm3moe17topkGatingSoftmaxIfLi8ELi8ELi8ELi32ELb0ELi4ELNS0_23SharedExpertScoringFuncE1EEEvPKT_PKbPfiPiS9_iiiiii
; %bb.0:
	s_load_b32 s16, s[0:1], 0x18
	v_bfe_u32 v1, v0, 10, 10
	v_and_b32_e32 v18, 0x3ff, v0
	s_lshl_b32 s18, s15, 8
	s_mov_b32 s2, exec_lo
	s_delay_alu instid0(VALU_DEP_2) | instskip(NEXT) | instid1(VALU_DEP_1)
	v_lshlrev_b32_e32 v17, 5, v1
	v_add3_u32 v19, v17, v18, s18
	s_waitcnt lgkmcnt(0)
	s_delay_alu instid0(VALU_DEP_1)
	v_cmpx_gt_i32_e64 s16, v19
	s_cbranch_execz .LBB38_12
; %bb.1:
	s_clause 0x1
	s_load_b128 s[4:7], s[0:1], 0x0
	s_load_b64 s[12:13], s[0:1], 0x10
	s_waitcnt lgkmcnt(0)
	s_cmp_eq_u64 s[6:7], 0
	s_cbranch_scc1 .LBB38_3
; %bb.2:
	v_ashrrev_i32_e32 v1, 31, v19
	v_add_co_u32 v0, vcc_lo, s6, v19
	s_delay_alu instid0(VALU_DEP_2) | instskip(SKIP_3) | instid1(VALU_DEP_1)
	v_add_co_ci_u32_e32 v1, vcc_lo, s7, v1, vcc_lo
	global_load_u8 v0, v[0:1], off
	s_waitcnt vmcnt(0)
	v_and_b32_e32 v0, 1, v0
	v_cmp_eq_u32_e32 vcc_lo, 1, v0
	s_xor_b32 s2, vcc_lo, -1
	s_delay_alu instid0(SALU_CYCLE_1)
	s_or_not1_b32 s17, s2, exec_lo
	s_branch .LBB38_4
.LBB38_3:
	s_mov_b32 s17, -1
.LBB38_4:
	s_clause 0x1
	s_load_b64 s[14:15], s[0:1], 0x40
	s_load_b128 s[8:11], s[0:1], 0x30
	s_waitcnt lgkmcnt(0)
	v_mul_lo_u32 v0, v19, s15
	v_mul_lo_u32 v8, v19, s11
	s_cmp_gt_i32 s8, 0
	s_cselect_b32 s11, -1, 0
	s_cmp_lt_i32 s8, 1
	s_delay_alu instid0(VALU_DEP_2) | instskip(NEXT) | instid1(VALU_DEP_1)
	v_ashrrev_i32_e32 v1, 31, v0
	v_lshlrev_b64 v[0:1], 2, v[0:1]
	s_delay_alu instid0(VALU_DEP_1) | instskip(NEXT) | instid1(VALU_DEP_2)
	v_add_co_u32 v9, vcc_lo, s4, v0
	v_add_co_ci_u32_e32 v10, vcc_lo, s5, v1, vcc_lo
	global_load_b32 v0, v[9:10], off offset:32
	s_waitcnt vmcnt(0)
	v_mul_f32_e32 v1, 0xbfb8aa3b, v0
	v_cmp_nlt_f32_e32 vcc_lo, 0x42ce8ed0, v0
	s_delay_alu instid0(VALU_DEP_2) | instskip(SKIP_1) | instid1(VALU_DEP_1)
	v_fma_f32 v2, 0xbfb8aa3b, v0, -v1
	v_rndne_f32_e32 v3, v1
	v_dual_fmac_f32 v2, 0xb2a5705f, v0 :: v_dual_sub_f32 v1, v1, v3
	s_delay_alu instid0(VALU_DEP_1) | instskip(SKIP_1) | instid1(VALU_DEP_2)
	v_add_f32_e32 v1, v1, v2
	v_cvt_i32_f32_e32 v2, v3
	v_exp_f32_e32 v1, v1
	s_waitcnt_depctr 0xfff
	v_ldexp_f32 v1, v1, v2
	s_delay_alu instid0(VALU_DEP_1) | instskip(SKIP_1) | instid1(VALU_DEP_2)
	v_cndmask_b32_e32 v1, 0, v1, vcc_lo
	v_cmp_ngt_f32_e32 vcc_lo, 0xc2b17218, v0
	v_cndmask_b32_e32 v0, 0x7f800000, v1, vcc_lo
	s_delay_alu instid0(VALU_DEP_1) | instskip(NEXT) | instid1(VALU_DEP_1)
	v_add_f32_e32 v2, 1.0, v0
	v_div_scale_f32 v3, null, v2, v2, 1.0
	v_div_scale_f32 v5, vcc_lo, 1.0, v2, 1.0
	s_delay_alu instid0(VALU_DEP_2) | instskip(SKIP_2) | instid1(VALU_DEP_1)
	v_rcp_f32_e32 v4, v3
	s_waitcnt_depctr 0xfff
	v_fma_f32 v0, -v3, v4, 1.0
	v_fmac_f32_e32 v4, v0, v4
	v_add_nc_u32_e32 v0, s8, v8
	s_delay_alu instid0(VALU_DEP_2) | instskip(NEXT) | instid1(VALU_DEP_1)
	v_mul_f32_e32 v6, v5, v4
	v_fma_f32 v1, -v3, v6, v5
	s_delay_alu instid0(VALU_DEP_1) | instskip(NEXT) | instid1(VALU_DEP_4)
	v_fmac_f32_e32 v6, v1, v4
	v_ashrrev_i32_e32 v1, 31, v0
	s_delay_alu instid0(VALU_DEP_2) | instskip(NEXT) | instid1(VALU_DEP_2)
	v_fma_f32 v3, -v3, v6, v5
	v_lshlrev_b64 v[0:1], 2, v[0:1]
	s_delay_alu instid0(VALU_DEP_2) | instskip(NEXT) | instid1(VALU_DEP_2)
	v_div_fmas_f32 v3, v3, v4, v6
	v_add_co_u32 v11, vcc_lo, s12, v0
	s_delay_alu instid0(VALU_DEP_3) | instskip(NEXT) | instid1(VALU_DEP_3)
	v_add_co_ci_u32_e32 v12, vcc_lo, s13, v1, vcc_lo
	v_div_fixup_f32 v13, v3, v2, 1.0
	s_clause 0x1
	global_load_b128 v[0:3], v[9:10], off offset:16
	global_load_b128 v[4:7], v[9:10], off
	global_store_b32 v[11:12], v13, off
	global_load_b32 v13, v[9:10], off offset:36
	s_waitcnt vmcnt(1)
	v_cmp_lt_f32_e64 s7, v4, v5
	s_waitcnt vmcnt(0)
	v_mul_f32_e32 v14, 0xbfb8aa3b, v13
	v_cmp_nlt_f32_e32 vcc_lo, 0x42ce8ed0, v13
	s_delay_alu instid0(VALU_DEP_2) | instskip(SKIP_1) | instid1(VALU_DEP_1)
	v_fma_f32 v15, 0xbfb8aa3b, v13, -v14
	v_rndne_f32_e32 v16, v14
	v_dual_fmac_f32 v15, 0xb2a5705f, v13 :: v_dual_sub_f32 v14, v14, v16
	s_delay_alu instid0(VALU_DEP_1) | instskip(SKIP_1) | instid1(VALU_DEP_2)
	v_add_f32_e32 v14, v14, v15
	v_cvt_i32_f32_e32 v15, v16
	v_exp_f32_e32 v14, v14
	s_waitcnt_depctr 0xfff
	v_ldexp_f32 v14, v14, v15
	s_delay_alu instid0(VALU_DEP_1) | instskip(SKIP_1) | instid1(VALU_DEP_2)
	v_cndmask_b32_e32 v14, 0, v14, vcc_lo
	v_cmp_ngt_f32_e32 vcc_lo, 0xc2b17218, v13
	v_cndmask_b32_e32 v13, 0x7f800000, v14, vcc_lo
	s_delay_alu instid0(VALU_DEP_1) | instskip(NEXT) | instid1(VALU_DEP_1)
	v_add_f32_e32 v13, 1.0, v13
	v_div_scale_f32 v14, null, v13, v13, 1.0
	v_div_scale_f32 v20, vcc_lo, 1.0, v13, 1.0
	s_delay_alu instid0(VALU_DEP_2) | instskip(SKIP_2) | instid1(VALU_DEP_1)
	v_rcp_f32_e32 v15, v14
	s_waitcnt_depctr 0xfff
	v_fma_f32 v16, -v14, v15, 1.0
	v_fmac_f32_e32 v15, v16, v15
	s_delay_alu instid0(VALU_DEP_1) | instskip(NEXT) | instid1(VALU_DEP_1)
	v_mul_f32_e32 v16, v20, v15
	v_fma_f32 v21, -v14, v16, v20
	s_delay_alu instid0(VALU_DEP_1) | instskip(NEXT) | instid1(VALU_DEP_1)
	v_fmac_f32_e32 v16, v21, v15
	v_fma_f32 v14, -v14, v16, v20
	s_delay_alu instid0(VALU_DEP_1) | instskip(NEXT) | instid1(VALU_DEP_1)
	v_div_fmas_f32 v14, v14, v15, v16
	v_div_fixup_f32 v13, v14, v13, 1.0
	global_store_b32 v[11:12], v13, off offset:4
	global_load_b32 v13, v[9:10], off offset:40
	s_waitcnt vmcnt(0)
	v_mul_f32_e32 v14, 0xbfb8aa3b, v13
	v_cmp_nlt_f32_e32 vcc_lo, 0x42ce8ed0, v13
	s_delay_alu instid0(VALU_DEP_2) | instskip(SKIP_1) | instid1(VALU_DEP_1)
	v_fma_f32 v15, 0xbfb8aa3b, v13, -v14
	v_rndne_f32_e32 v16, v14
	v_dual_fmac_f32 v15, 0xb2a5705f, v13 :: v_dual_sub_f32 v14, v14, v16
	s_delay_alu instid0(VALU_DEP_1) | instskip(SKIP_1) | instid1(VALU_DEP_2)
	v_add_f32_e32 v14, v14, v15
	v_cvt_i32_f32_e32 v15, v16
	v_exp_f32_e32 v14, v14
	s_waitcnt_depctr 0xfff
	v_ldexp_f32 v14, v14, v15
	s_delay_alu instid0(VALU_DEP_1) | instskip(SKIP_1) | instid1(VALU_DEP_2)
	v_cndmask_b32_e32 v14, 0, v14, vcc_lo
	v_cmp_ngt_f32_e32 vcc_lo, 0xc2b17218, v13
	v_cndmask_b32_e32 v13, 0x7f800000, v14, vcc_lo
	s_delay_alu instid0(VALU_DEP_1) | instskip(NEXT) | instid1(VALU_DEP_1)
	v_add_f32_e32 v13, 1.0, v13
	v_div_scale_f32 v14, null, v13, v13, 1.0
	v_div_scale_f32 v20, vcc_lo, 1.0, v13, 1.0
	s_delay_alu instid0(VALU_DEP_2) | instskip(SKIP_2) | instid1(VALU_DEP_1)
	v_rcp_f32_e32 v15, v14
	s_waitcnt_depctr 0xfff
	v_fma_f32 v16, -v14, v15, 1.0
	v_fmac_f32_e32 v15, v16, v15
	s_delay_alu instid0(VALU_DEP_1) | instskip(NEXT) | instid1(VALU_DEP_1)
	v_mul_f32_e32 v16, v20, v15
	v_fma_f32 v21, -v14, v16, v20
	s_delay_alu instid0(VALU_DEP_1) | instskip(NEXT) | instid1(VALU_DEP_1)
	v_fmac_f32_e32 v16, v21, v15
	v_fma_f32 v14, -v14, v16, v20
	s_delay_alu instid0(VALU_DEP_1) | instskip(SKIP_1) | instid1(VALU_DEP_2)
	v_div_fmas_f32 v14, v14, v15, v16
	v_cndmask_b32_e64 v15, v4, v5, s7
	v_div_fixup_f32 v13, v14, v13, 1.0
	s_delay_alu instid0(VALU_DEP_2)
	v_cmp_lt_f32_e64 s5, v15, v6
	global_store_b32 v[11:12], v13, off offset:8
	global_load_b32 v9, v[9:10], off offset:44
	s_waitcnt vmcnt(0)
	v_mul_f32_e32 v10, 0xbfb8aa3b, v9
	v_cmp_nlt_f32_e32 vcc_lo, 0x42ce8ed0, v9
	s_delay_alu instid0(VALU_DEP_2) | instskip(SKIP_1) | instid1(VALU_DEP_1)
	v_fma_f32 v13, 0xbfb8aa3b, v9, -v10
	v_rndne_f32_e32 v14, v10
	v_dual_fmac_f32 v13, 0xb2a5705f, v9 :: v_dual_sub_f32 v10, v10, v14
	s_delay_alu instid0(VALU_DEP_1) | instskip(SKIP_1) | instid1(VALU_DEP_2)
	v_add_f32_e32 v10, v10, v13
	v_cvt_i32_f32_e32 v13, v14
	v_exp_f32_e32 v10, v10
	s_waitcnt_depctr 0xfff
	v_ldexp_f32 v10, v10, v13
	s_delay_alu instid0(VALU_DEP_1) | instskip(SKIP_1) | instid1(VALU_DEP_2)
	v_cndmask_b32_e32 v10, 0, v10, vcc_lo
	v_cmp_ngt_f32_e32 vcc_lo, 0xc2b17218, v9
	v_cndmask_b32_e32 v9, 0x7f800000, v10, vcc_lo
	s_delay_alu instid0(VALU_DEP_1) | instskip(NEXT) | instid1(VALU_DEP_1)
	v_add_f32_e32 v9, 1.0, v9
	v_div_scale_f32 v10, null, v9, v9, 1.0
	v_div_scale_f32 v16, vcc_lo, 1.0, v9, 1.0
	s_delay_alu instid0(VALU_DEP_2) | instskip(SKIP_2) | instid1(VALU_DEP_1)
	v_rcp_f32_e32 v13, v10
	s_waitcnt_depctr 0xfff
	v_fma_f32 v14, -v10, v13, 1.0
	v_fmac_f32_e32 v13, v14, v13
	v_cndmask_b32_e64 v14, v15, v6, s5
	s_delay_alu instid0(VALU_DEP_2) | instskip(NEXT) | instid1(VALU_DEP_2)
	v_mul_f32_e32 v15, v16, v13
	v_cmp_lt_f32_e64 s6, v14, v7
	s_delay_alu instid0(VALU_DEP_2) | instskip(NEXT) | instid1(VALU_DEP_2)
	v_fma_f32 v20, -v10, v15, v16
	v_cndmask_b32_e64 v14, v14, v7, s6
	s_delay_alu instid0(VALU_DEP_2) | instskip(NEXT) | instid1(VALU_DEP_2)
	v_fmac_f32_e32 v15, v20, v13
	v_cmp_lt_f32_e64 s4, v14, v0
	s_delay_alu instid0(VALU_DEP_2) | instskip(NEXT) | instid1(VALU_DEP_2)
	v_fma_f32 v10, -v10, v15, v16
	v_cndmask_b32_e64 v14, v14, v0, s4
	v_mov_b32_e32 v16, 0
	s_delay_alu instid0(VALU_DEP_3) | instskip(NEXT) | instid1(VALU_DEP_3)
	v_div_fmas_f32 v10, v10, v13, v15
	v_cmp_lt_f32_e64 s3, v14, v1
	s_delay_alu instid0(VALU_DEP_2) | instskip(NEXT) | instid1(VALU_DEP_2)
	v_div_fixup_f32 v9, v10, v9, 1.0
	v_cndmask_b32_e64 v14, v14, v1, s3
	global_store_b32 v[11:12], v9, off offset:12
	v_cmp_lt_f32_e64 s2, v14, v2
	s_delay_alu instid0(VALU_DEP_1) | instskip(NEXT) | instid1(VALU_DEP_1)
	v_cndmask_b32_e64 v14, v14, v2, s2
	v_cmp_lt_f32_e32 vcc_lo, v14, v3
	v_cndmask_b32_e32 v15, v14, v3, vcc_lo
	s_cbranch_scc1 .LBB38_8
; %bb.5:
	v_cndmask_b32_e64 v9, 0, 1, s7
	s_delay_alu instid0(VALU_DEP_2) | instskip(SKIP_2) | instid1(VALU_DEP_4)
	v_sub_f32_e32 v16, v15, v15
	v_mul_lo_u32 v10, v19, s14
	v_mul_lo_u32 v20, v19, s8
	v_cndmask_b32_e64 v9, v9, 2, s5
	s_delay_alu instid0(VALU_DEP_4) | instskip(NEXT) | instid1(VALU_DEP_2)
	v_mul_f32_e32 v11, 0x3fb8aa3b, v16
	v_cndmask_b32_e64 v9, v9, 3, s6
	s_delay_alu instid0(VALU_DEP_2) | instskip(SKIP_1) | instid1(VALU_DEP_3)
	v_rndne_f32_e32 v12, v11
	v_fma_f32 v13, 0x3fb8aa3b, v16, -v11
	v_cndmask_b32_e64 v14, v9, 4, s4
	s_delay_alu instid0(VALU_DEP_3) | instskip(NEXT) | instid1(VALU_DEP_3)
	v_sub_f32_e32 v11, v11, v12
	v_fmac_f32_e32 v13, 0x32a5705f, v16
	v_ashrrev_i32_e32 v9, 31, v8
	s_load_b128 s[4:7], s[0:1], 0x20
	v_cndmask_b32_e64 v21, v14, 5, s3
	v_cvt_i32_f32_e32 v12, v12
	v_add_f32_e32 v22, v11, v13
	v_lshlrev_b64 v[13:14], 2, v[8:9]
	v_ashrrev_i32_e32 v11, 31, v10
	v_cndmask_b32_e64 v9, v21, 6, s2
	v_ashrrev_i32_e32 v21, 31, v20
	v_exp_f32_e32 v22, v22
	s_delay_alu instid0(VALU_DEP_2) | instskip(SKIP_2) | instid1(VALU_DEP_3)
	v_cndmask_b32_e64 v24, v9, 7, vcc_lo
	v_add_co_u32 v13, vcc_lo, s12, v13
	v_add_co_ci_u32_e32 v14, vcc_lo, s13, v14, vcc_lo
	v_cmp_le_i32_e32 vcc_lo, s9, v24
	v_cmp_gt_i32_e64 s0, s10, v24
	v_lshlrev_b64 v[9:10], 2, v[10:11]
	s_delay_alu instid0(TRANS32_DEP_1)
	v_ldexp_f32 v22, v22, v12
	v_lshlrev_b64 v[11:12], 2, v[20:21]
	v_subrev_nc_u32_e32 v23, s9, v24
	s_and_b32 s0, vcc_lo, s0
	v_cmp_ngt_f32_e32 vcc_lo, 0xc2ce8ed0, v16
	v_cndmask_b32_e32 v22, 0, v22, vcc_lo
	s_waitcnt lgkmcnt(0)
	v_add_co_u32 v20, vcc_lo, s4, v9
	v_add_co_ci_u32_e32 v21, vcc_lo, s5, v10, vcc_lo
	s_and_b32 vcc_lo, s17, s0
	s_cmp_eq_u32 s8, 1
	v_cndmask_b32_e32 v25, 8, v23, vcc_lo
	v_cmp_nlt_f32_e32 vcc_lo, 0x42b17218, v16
	v_cndmask_b32_e32 v16, 0x7f800000, v22, vcc_lo
	v_add_co_u32 v22, vcc_lo, s6, v11
	v_add_co_ci_u32_e32 v23, vcc_lo, s7, v12, vcc_lo
	v_cmp_ne_u32_e32 vcc_lo, 7, v24
	global_store_b32 v[13:14], v16, off
	global_store_b32 v[20:21], v25, off
	;; [unrolled: 1-line block ×3, first 2 shown]
	v_cndmask_b32_e32 v3, 0xff800000, v3, vcc_lo
	v_cmp_ne_u32_e32 vcc_lo, 6, v24
	v_cndmask_b32_e32 v2, 0xff800000, v2, vcc_lo
	v_cmp_ne_u32_e32 vcc_lo, 5, v24
	;; [unrolled: 2-line block ×7, first 2 shown]
	v_cndmask_b32_e32 v4, 0xff800000, v4, vcc_lo
	s_cbranch_scc1 .LBB38_8
; %bb.6:
	v_add_co_u32 v11, vcc_lo, v11, s6
	v_add_co_ci_u32_e32 v12, vcc_lo, s7, v12, vcc_lo
	v_add_co_u32 v19, vcc_lo, v9, s4
	v_add_co_ci_u32_e32 v20, vcc_lo, s5, v10, vcc_lo
	s_delay_alu instid0(VALU_DEP_4) | instskip(NEXT) | instid1(VALU_DEP_4)
	v_add_co_u32 v9, vcc_lo, v11, 4
	v_add_co_ci_u32_e32 v10, vcc_lo, 0, v12, vcc_lo
	s_delay_alu instid0(VALU_DEP_4) | instskip(NEXT) | instid1(VALU_DEP_4)
	v_add_co_u32 v11, vcc_lo, v19, 4
	v_add_co_ci_u32_e32 v12, vcc_lo, 0, v20, vcc_lo
	s_add_i32 s18, s18, s16
	v_add_co_u32 v13, vcc_lo, v13, 4
	v_add_co_ci_u32_e32 v14, vcc_lo, 0, v14, vcc_lo
	v_add3_u32 v17, s18, v18, v17
	s_add_i32 s2, s8, -1
.LBB38_7:                               ; =>This Inner Loop Header: Depth=1
	v_cmp_gt_f32_e32 vcc_lo, v5, v4
	s_add_i32 s2, s2, -1
	v_cndmask_b32_e32 v18, v4, v5, vcc_lo
	v_cndmask_b32_e64 v19, 0, 1, vcc_lo
	s_delay_alu instid0(VALU_DEP_2) | instskip(SKIP_1) | instid1(VALU_DEP_3)
	v_cmp_gt_f32_e32 vcc_lo, v6, v18
	v_cndmask_b32_e32 v18, v18, v6, vcc_lo
	v_cndmask_b32_e64 v19, v19, 2, vcc_lo
	s_delay_alu instid0(VALU_DEP_2) | instskip(SKIP_1) | instid1(VALU_DEP_3)
	v_cmp_gt_f32_e32 vcc_lo, v7, v18
	;; [unrolled: 4-line block ×5, first 2 shown]
	v_cndmask_b32_e32 v18, v18, v2, vcc_lo
	v_cndmask_b32_e64 v19, v19, 6, vcc_lo
	s_delay_alu instid0(VALU_DEP_2) | instskip(NEXT) | instid1(VALU_DEP_2)
	v_cmp_gt_f32_e32 vcc_lo, v3, v18
	v_cndmask_b32_e64 v19, v19, 7, vcc_lo
	v_cndmask_b32_e32 v18, v18, v3, vcc_lo
	s_delay_alu instid0(VALU_DEP_2) | instskip(NEXT) | instid1(VALU_DEP_2)
	v_cmp_ne_u32_e64 s1, 7, v19
	v_sub_f32_e32 v18, v18, v15
	v_cmp_le_i32_e32 vcc_lo, s9, v19
	v_cmp_gt_i32_e64 s0, s10, v19
	v_subrev_nc_u32_e32 v21, s9, v19
	v_cndmask_b32_e64 v3, 0xff800000, v3, s1
	v_cmp_ne_u32_e64 s1, 6, v19
	v_mul_f32_e32 v20, 0x3fb8aa3b, v18
	s_and_b32 s0, vcc_lo, s0
	s_delay_alu instid0(SALU_CYCLE_1) | instskip(NEXT) | instid1(VALU_DEP_2)
	s_and_b32 vcc_lo, s17, s0
	v_cndmask_b32_e64 v2, 0xff800000, v2, s1
	v_cmp_ne_u32_e64 s1, 5, v19
	v_rndne_f32_e32 v22, v20
	v_cndmask_b32_e32 v21, 8, v21, vcc_lo
	global_store_b32 v[11:12], v21, off
	global_store_b32 v[9:10], v17, off
	v_cndmask_b32_e64 v1, 0xff800000, v1, s1
	v_cmp_ne_u32_e64 s1, 4, v19
	v_add_co_u32 v9, vcc_lo, v9, 4
	v_add_co_ci_u32_e32 v10, vcc_lo, 0, v10, vcc_lo
	s_delay_alu instid0(VALU_DEP_3) | instskip(SKIP_3) | instid1(VALU_DEP_3)
	v_cndmask_b32_e64 v0, 0xff800000, v0, s1
	v_cmp_ne_u32_e64 s1, 3, v19
	v_add_co_u32 v11, vcc_lo, v11, 4
	v_add_co_ci_u32_e32 v12, vcc_lo, 0, v12, vcc_lo
	v_cndmask_b32_e64 v7, 0xff800000, v7, s1
	v_cmp_ne_u32_e64 s1, 2, v19
	v_cmp_ngt_f32_e32 vcc_lo, 0xc2ce8ed0, v18
	v_add_nc_u32_e32 v17, s16, v17
	s_cmp_eq_u32 s2, 0
	s_delay_alu instid0(VALU_DEP_3) | instskip(SKIP_1) | instid1(VALU_DEP_1)
	v_cndmask_b32_e64 v6, 0xff800000, v6, s1
	v_cmp_ne_u32_e64 s1, 1, v19
	v_cndmask_b32_e64 v5, 0xff800000, v5, s1
	v_cmp_ne_u32_e64 s1, 0, v19
	v_fma_f32 v19, 0x3fb8aa3b, v18, -v20
	v_sub_f32_e32 v20, v20, v22
	v_cvt_i32_f32_e32 v22, v22
	s_delay_alu instid0(VALU_DEP_4) | instskip(NEXT) | instid1(VALU_DEP_4)
	v_cndmask_b32_e64 v4, 0xff800000, v4, s1
	v_fmac_f32_e32 v19, 0x32a5705f, v18
	s_delay_alu instid0(VALU_DEP_1) | instskip(NEXT) | instid1(VALU_DEP_1)
	v_add_f32_e32 v19, v20, v19
	v_exp_f32_e32 v19, v19
	s_waitcnt_depctr 0xfff
	v_ldexp_f32 v19, v19, v22
	s_delay_alu instid0(VALU_DEP_1) | instskip(SKIP_1) | instid1(VALU_DEP_2)
	v_cndmask_b32_e32 v19, 0, v19, vcc_lo
	v_cmp_nlt_f32_e32 vcc_lo, 0x42b17218, v18
	v_cndmask_b32_e32 v18, 0x7f800000, v19, vcc_lo
	global_store_b32 v[13:14], v18, off
	v_add_co_u32 v13, vcc_lo, v13, 4
	v_add_f32_e32 v16, v16, v18
	v_add_co_ci_u32_e32 v14, vcc_lo, 0, v14, vcc_lo
	s_cbranch_scc0 .LBB38_7
.LBB38_8:
	s_delay_alu instid0(VALU_DEP_1) | instskip(NEXT) | instid1(VALU_DEP_2)
	v_sub_f32_e32 v6, v6, v15
	v_sub_f32_e32 v4, v4, v15
	;; [unrolled: 1-line block ×4, first 2 shown]
	s_delay_alu instid0(VALU_DEP_4) | instskip(NEXT) | instid1(VALU_DEP_3)
	v_dual_sub_f32 v0, v0, v15 :: v_dual_mul_f32 v11, 0x3fb8aa3b, v6
	v_dual_mul_f32 v9, 0x3fb8aa3b, v4 :: v_dual_mul_f32 v10, 0x3fb8aa3b, v5
	v_cmp_ngt_f32_e32 vcc_lo, 0xc2ce8ed0, v4
	v_sub_f32_e32 v2, v2, v15
	s_delay_alu instid0(VALU_DEP_4) | instskip(NEXT) | instid1(VALU_DEP_4)
	v_rndne_f32_e32 v20, v11
	v_rndne_f32_e32 v14, v9
	v_mul_f32_e32 v12, 0x3fb8aa3b, v7
	v_fma_f32 v13, 0x3fb8aa3b, v4, -v9
	v_fma_f32 v17, 0x3fb8aa3b, v5, -v10
	v_rndne_f32_e32 v18, v10
	v_sub_f32_e32 v9, v9, v14
	v_rndne_f32_e32 v22, v12
	v_fma_f32 v21, 0x3fb8aa3b, v7, -v12
	v_fma_f32 v19, 0x3fb8aa3b, v6, -v11
	v_dual_sub_f32 v10, v10, v18 :: v_dual_fmac_f32 v17, 0x32a5705f, v5
	s_delay_alu instid0(VALU_DEP_4) | instskip(NEXT) | instid1(VALU_DEP_2)
	v_dual_sub_f32 v12, v12, v22 :: v_dual_fmac_f32 v13, 0x32a5705f, v4
	v_add_f32_e32 v10, v10, v17
	s_delay_alu instid0(VALU_DEP_2) | instskip(SKIP_2) | instid1(VALU_DEP_4)
	v_add_f32_e32 v9, v9, v13
	v_cvt_i32_f32_e32 v13, v14
	v_cvt_i32_f32_e32 v14, v18
	v_exp_f32_e32 v10, v10
	s_delay_alu instid0(VALU_DEP_3) | instskip(SKIP_4) | instid1(VALU_DEP_2)
	v_exp_f32_e32 v9, v9
	s_waitcnt_depctr 0xfff
	v_ldexp_f32 v10, v10, v14
	v_ldexp_f32 v9, v9, v13
	v_cvt_i32_f32_e32 v13, v20
	v_cndmask_b32_e32 v9, 0, v9, vcc_lo
	v_cmp_ngt_f32_e32 vcc_lo, 0xc2ce8ed0, v5
	v_cndmask_b32_e32 v10, 0, v10, vcc_lo
	v_cmp_nlt_f32_e32 vcc_lo, 0x42b17218, v4
	s_delay_alu instid0(VALU_DEP_4) | instskip(SKIP_1) | instid1(VALU_DEP_4)
	v_dual_sub_f32 v11, v11, v20 :: v_dual_cndmask_b32 v4, 0x7f800000, v9
	v_cmp_nlt_f32_e32 vcc_lo, 0x42b17218, v5
	v_cndmask_b32_e32 v5, 0x7f800000, v10, vcc_lo
	v_fmac_f32_e32 v21, 0x32a5705f, v7
	v_cmp_ngt_f32_e32 vcc_lo, 0xc2ce8ed0, v6
	v_cvt_i32_f32_e32 v10, v22
	s_delay_alu instid0(VALU_DEP_4) | instskip(NEXT) | instid1(VALU_DEP_1)
	v_dual_add_f32 v4, v4, v5 :: v_dual_fmac_f32 v19, 0x32a5705f, v6
	v_dual_add_f32 v12, v12, v21 :: v_dual_add_f32 v11, v11, v19
	s_delay_alu instid0(VALU_DEP_1) | instskip(NEXT) | instid1(VALU_DEP_1)
	v_exp_f32_e32 v12, v12
	v_exp_f32_e32 v11, v11
	s_waitcnt_depctr 0xfff
	v_ldexp_f32 v11, v11, v13
	s_delay_alu instid0(VALU_DEP_1) | instskip(SKIP_2) | instid1(VALU_DEP_3)
	v_cndmask_b32_e32 v9, 0, v11, vcc_lo
	v_cmp_nlt_f32_e32 vcc_lo, 0x42b17218, v6
	v_dual_mul_f32 v6, 0x3fb8aa3b, v0 :: v_dual_mul_f32 v11, 0x3fb8aa3b, v2
	v_cndmask_b32_e32 v5, 0x7f800000, v9, vcc_lo
	v_ldexp_f32 v9, v12, v10
	s_delay_alu instid0(VALU_DEP_3) | instskip(NEXT) | instid1(VALU_DEP_4)
	v_rndne_f32_e32 v10, v6
	v_fma_f32 v12, 0x3fb8aa3b, v2, -v11
	s_delay_alu instid0(VALU_DEP_4) | instskip(SKIP_1) | instid1(VALU_DEP_4)
	v_dual_sub_f32 v1, v1, v15 :: v_dual_add_f32 v4, v4, v5
	v_fma_f32 v5, 0x3fb8aa3b, v0, -v6
	v_sub_f32_e32 v6, v6, v10
	s_delay_alu instid0(VALU_DEP_4)
	v_fmac_f32_e32 v12, 0x32a5705f, v2
	v_cmp_ngt_f32_e32 vcc_lo, 0xc2ce8ed0, v7
	v_cvt_i32_f32_e32 v10, v10
	v_fmac_f32_e32 v5, 0x32a5705f, v0
	v_cndmask_b32_e32 v9, 0, v9, vcc_lo
	v_cmp_nlt_f32_e32 vcc_lo, 0x42b17218, v7
	s_delay_alu instid0(VALU_DEP_3) | instskip(NEXT) | instid1(VALU_DEP_3)
	v_add_f32_e32 v5, v6, v5
	v_cndmask_b32_e32 v7, 0x7f800000, v9, vcc_lo
	s_delay_alu instid0(VALU_DEP_2) | instskip(SKIP_1) | instid1(VALU_DEP_2)
	v_exp_f32_e32 v5, v5
	v_cmp_ngt_f32_e32 vcc_lo, 0xc2ce8ed0, v0
	v_add_f32_e32 v4, v4, v7
	s_waitcnt_depctr 0xfff
	v_ldexp_f32 v5, v5, v10
	s_delay_alu instid0(VALU_DEP_1) | instskip(SKIP_1) | instid1(VALU_DEP_2)
	v_cndmask_b32_e32 v5, 0, v5, vcc_lo
	v_cmp_nlt_f32_e32 vcc_lo, 0x42b17218, v0
	v_dual_sub_f32 v3, v3, v15 :: v_dual_cndmask_b32 v0, 0x7f800000, v5
	s_delay_alu instid0(VALU_DEP_1) | instskip(SKIP_1) | instid1(VALU_DEP_3)
	v_dual_mul_f32 v9, 0x3fb8aa3b, v1 :: v_dual_mul_f32 v14, 0x3fb8aa3b, v3
	v_cmp_ngt_f32_e32 vcc_lo, 0xc2ce8ed0, v1
	v_add_f32_e32 v0, v4, v0
	s_delay_alu instid0(VALU_DEP_3) | instskip(SKIP_2) | instid1(VALU_DEP_2)
	v_fma_f32 v6, 0x3fb8aa3b, v1, -v9
	v_rndne_f32_e32 v7, v9
	v_rndne_f32_e32 v15, v14
	v_dual_fmac_f32 v6, 0x32a5705f, v1 :: v_dual_sub_f32 v9, v9, v7
	v_cvt_i32_f32_e32 v7, v7
	s_delay_alu instid0(VALU_DEP_3) | instskip(SKIP_1) | instid1(VALU_DEP_1)
	v_sub_f32_e32 v10, v14, v15
	v_rndne_f32_e32 v13, v11
	v_dual_add_f32 v6, v9, v6 :: v_dual_sub_f32 v9, v11, v13
	v_fma_f32 v11, 0x3fb8aa3b, v3, -v14
	s_delay_alu instid0(VALU_DEP_2) | instskip(SKIP_3) | instid1(VALU_DEP_1)
	v_exp_f32_e32 v6, v6
	v_cvt_i32_f32_e32 v5, v13
	s_waitcnt_depctr 0xfff
	v_ldexp_f32 v6, v6, v7
	v_cndmask_b32_e32 v6, 0, v6, vcc_lo
	v_cmp_nlt_f32_e32 vcc_lo, 0x42b17218, v1
	s_delay_alu instid0(VALU_DEP_2) | instskip(SKIP_1) | instid1(VALU_DEP_2)
	v_cndmask_b32_e32 v1, 0x7f800000, v6, vcc_lo
	v_cmp_ngt_f32_e32 vcc_lo, 0xc2ce8ed0, v2
	v_dual_fmac_f32 v11, 0x32a5705f, v3 :: v_dual_add_f32 v0, v0, v1
	s_delay_alu instid0(VALU_DEP_1) | instskip(NEXT) | instid1(VALU_DEP_1)
	v_dual_add_f32 v10, v10, v11 :: v_dual_add_f32 v9, v9, v12
	v_exp_f32_e32 v7, v10
	s_delay_alu instid0(VALU_DEP_1) | instskip(SKIP_3) | instid1(VALU_DEP_2)
	v_exp_f32_e32 v9, v9
	s_waitcnt_depctr 0xfff
	v_ldexp_f32 v4, v9, v5
	v_cvt_i32_f32_e32 v5, v15
	v_cndmask_b32_e32 v4, 0, v4, vcc_lo
	v_cmp_nlt_f32_e32 vcc_lo, 0x42b17218, v2
	s_delay_alu instid0(VALU_DEP_3) | instskip(NEXT) | instid1(VALU_DEP_3)
	v_ldexp_f32 v5, v7, v5
	v_cndmask_b32_e32 v1, 0x7f800000, v4, vcc_lo
	v_cmp_ngt_f32_e32 vcc_lo, 0xc2ce8ed0, v3
	s_delay_alu instid0(VALU_DEP_3) | instskip(SKIP_1) | instid1(VALU_DEP_2)
	v_cndmask_b32_e32 v2, 0, v5, vcc_lo
	v_cmp_nlt_f32_e32 vcc_lo, 0x42b17218, v3
	v_dual_add_f32 v0, v0, v1 :: v_dual_cndmask_b32 v1, 0x7f800000, v2
	s_delay_alu instid0(VALU_DEP_1) | instskip(NEXT) | instid1(VALU_DEP_1)
	v_add_f32_e32 v0, v0, v1
	v_add_f32_e32 v0, v16, v0
	s_delay_alu instid0(VALU_DEP_1)
	v_cmp_neq_f32_e32 vcc_lo, 0, v0
	s_and_b32 exec_lo, exec_lo, vcc_lo
	s_cbranch_execz .LBB38_12
; %bb.9:
	s_and_not1_b32 vcc_lo, exec_lo, s11
	s_cbranch_vccnz .LBB38_12
; %bb.10:
	v_div_scale_f32 v1, null, v0, v0, 1.0
	v_div_scale_f32 v4, vcc_lo, 1.0, v0, 1.0
	v_ashrrev_i32_e32 v9, 31, v8
	s_delay_alu instid0(VALU_DEP_3) | instskip(SKIP_2) | instid1(VALU_DEP_1)
	v_rcp_f32_e32 v2, v1
	s_waitcnt_depctr 0xfff
	v_fma_f32 v3, -v1, v2, 1.0
	v_fmac_f32_e32 v2, v3, v2
	s_delay_alu instid0(VALU_DEP_1) | instskip(NEXT) | instid1(VALU_DEP_1)
	v_mul_f32_e32 v3, v4, v2
	v_fma_f32 v5, -v1, v3, v4
	s_delay_alu instid0(VALU_DEP_1) | instskip(NEXT) | instid1(VALU_DEP_1)
	v_fmac_f32_e32 v3, v5, v2
	v_fma_f32 v1, -v1, v3, v4
	s_delay_alu instid0(VALU_DEP_1) | instskip(SKIP_1) | instid1(VALU_DEP_2)
	v_div_fmas_f32 v1, v1, v2, v3
	v_lshlrev_b64 v[3:4], 2, v[8:9]
	v_div_fixup_f32 v2, v1, v0, 1.0
	s_delay_alu instid0(VALU_DEP_2) | instskip(NEXT) | instid1(VALU_DEP_3)
	v_add_co_u32 v0, vcc_lo, s12, v3
	v_add_co_ci_u32_e32 v1, vcc_lo, s13, v4, vcc_lo
.LBB38_11:                              ; =>This Inner Loop Header: Depth=1
	global_load_b32 v3, v[0:1], off
	s_add_i32 s8, s8, -1
	s_delay_alu instid0(SALU_CYCLE_1)
	s_cmp_lg_u32 s8, 0
	s_waitcnt vmcnt(0)
	v_mul_f32_e32 v3, v2, v3
	global_store_b32 v[0:1], v3, off
	v_add_co_u32 v0, vcc_lo, v0, 4
	v_add_co_ci_u32_e32 v1, vcc_lo, 0, v1, vcc_lo
	s_cbranch_scc1 .LBB38_11
.LBB38_12:
	s_nop 0
	s_sendmsg sendmsg(MSG_DEALLOC_VGPRS)
	s_endpgm
	.section	.rodata,"a",@progbits
	.p2align	6, 0x0
	.amdhsa_kernel _ZN4vllm3moe17topkGatingSoftmaxIfLi8ELi8ELi8ELi32ELb0ELi4ELNS0_23SharedExpertScoringFuncE1EEEvPKT_PKbPfiPiS9_iiiiii
		.amdhsa_group_segment_fixed_size 0
		.amdhsa_private_segment_fixed_size 0
		.amdhsa_kernarg_size 72
		.amdhsa_user_sgpr_count 15
		.amdhsa_user_sgpr_dispatch_ptr 0
		.amdhsa_user_sgpr_queue_ptr 0
		.amdhsa_user_sgpr_kernarg_segment_ptr 1
		.amdhsa_user_sgpr_dispatch_id 0
		.amdhsa_user_sgpr_private_segment_size 0
		.amdhsa_wavefront_size32 1
		.amdhsa_uses_dynamic_stack 0
		.amdhsa_enable_private_segment 0
		.amdhsa_system_sgpr_workgroup_id_x 1
		.amdhsa_system_sgpr_workgroup_id_y 0
		.amdhsa_system_sgpr_workgroup_id_z 0
		.amdhsa_system_sgpr_workgroup_info 0
		.amdhsa_system_vgpr_workitem_id 1
		.amdhsa_next_free_vgpr 26
		.amdhsa_next_free_sgpr 19
		.amdhsa_reserve_vcc 1
		.amdhsa_float_round_mode_32 0
		.amdhsa_float_round_mode_16_64 0
		.amdhsa_float_denorm_mode_32 3
		.amdhsa_float_denorm_mode_16_64 3
		.amdhsa_dx10_clamp 1
		.amdhsa_ieee_mode 1
		.amdhsa_fp16_overflow 0
		.amdhsa_workgroup_processor_mode 1
		.amdhsa_memory_ordered 1
		.amdhsa_forward_progress 0
		.amdhsa_shared_vgpr_count 0
		.amdhsa_exception_fp_ieee_invalid_op 0
		.amdhsa_exception_fp_denorm_src 0
		.amdhsa_exception_fp_ieee_div_zero 0
		.amdhsa_exception_fp_ieee_overflow 0
		.amdhsa_exception_fp_ieee_underflow 0
		.amdhsa_exception_fp_ieee_inexact 0
		.amdhsa_exception_int_div_zero 0
	.end_amdhsa_kernel
	.section	.text._ZN4vllm3moe17topkGatingSoftmaxIfLi8ELi8ELi8ELi32ELb0ELi4ELNS0_23SharedExpertScoringFuncE1EEEvPKT_PKbPfiPiS9_iiiiii,"axG",@progbits,_ZN4vllm3moe17topkGatingSoftmaxIfLi8ELi8ELi8ELi32ELb0ELi4ELNS0_23SharedExpertScoringFuncE1EEEvPKT_PKbPfiPiS9_iiiiii,comdat
.Lfunc_end38:
	.size	_ZN4vllm3moe17topkGatingSoftmaxIfLi8ELi8ELi8ELi32ELb0ELi4ELNS0_23SharedExpertScoringFuncE1EEEvPKT_PKbPfiPiS9_iiiiii, .Lfunc_end38-_ZN4vllm3moe17topkGatingSoftmaxIfLi8ELi8ELi8ELi32ELb0ELi4ELNS0_23SharedExpertScoringFuncE1EEEvPKT_PKbPfiPiS9_iiiiii
                                        ; -- End function
	.section	.AMDGPU.csdata,"",@progbits
; Kernel info:
; codeLenInByte = 3404
; NumSgprs: 21
; NumVgprs: 26
; ScratchSize: 0
; MemoryBound: 0
; FloatMode: 240
; IeeeMode: 1
; LDSByteSize: 0 bytes/workgroup (compile time only)
; SGPRBlocks: 2
; VGPRBlocks: 3
; NumSGPRsForWavesPerEU: 21
; NumVGPRsForWavesPerEU: 26
; Occupancy: 16
; WaveLimiterHint : 0
; COMPUTE_PGM_RSRC2:SCRATCH_EN: 0
; COMPUTE_PGM_RSRC2:USER_SGPR: 15
; COMPUTE_PGM_RSRC2:TRAP_HANDLER: 0
; COMPUTE_PGM_RSRC2:TGID_X_EN: 1
; COMPUTE_PGM_RSRC2:TGID_Y_EN: 0
; COMPUTE_PGM_RSRC2:TGID_Z_EN: 0
; COMPUTE_PGM_RSRC2:TIDIG_COMP_CNT: 1
	.section	.text._ZN4vllm3moe17topkGatingSoftmaxIfLi8ELi8ELi8ELi32ELb1ELi8ELNS0_23SharedExpertScoringFuncE1EEEvPKT_PKbPfiPiS9_iiiiii,"axG",@progbits,_ZN4vllm3moe17topkGatingSoftmaxIfLi8ELi8ELi8ELi32ELb1ELi8ELNS0_23SharedExpertScoringFuncE1EEEvPKT_PKbPfiPiS9_iiiiii,comdat
	.protected	_ZN4vllm3moe17topkGatingSoftmaxIfLi8ELi8ELi8ELi32ELb1ELi8ELNS0_23SharedExpertScoringFuncE1EEEvPKT_PKbPfiPiS9_iiiiii ; -- Begin function _ZN4vllm3moe17topkGatingSoftmaxIfLi8ELi8ELi8ELi32ELb1ELi8ELNS0_23SharedExpertScoringFuncE1EEEvPKT_PKbPfiPiS9_iiiiii
	.globl	_ZN4vllm3moe17topkGatingSoftmaxIfLi8ELi8ELi8ELi32ELb1ELi8ELNS0_23SharedExpertScoringFuncE1EEEvPKT_PKbPfiPiS9_iiiiii
	.p2align	8
	.type	_ZN4vllm3moe17topkGatingSoftmaxIfLi8ELi8ELi8ELi32ELb1ELi8ELNS0_23SharedExpertScoringFuncE1EEEvPKT_PKbPfiPiS9_iiiiii,@function
_ZN4vllm3moe17topkGatingSoftmaxIfLi8ELi8ELi8ELi32ELb1ELi8ELNS0_23SharedExpertScoringFuncE1EEEvPKT_PKbPfiPiS9_iiiiii: ; @_ZN4vllm3moe17topkGatingSoftmaxIfLi8ELi8ELi8ELi32ELb1ELi8ELNS0_23SharedExpertScoringFuncE1EEEvPKT_PKbPfiPiS9_iiiiii
; %bb.0:
	s_load_b32 s12, s[0:1], 0x18
	v_bfe_u32 v1, v0, 10, 10
	v_and_b32_e32 v16, 0x3ff, v0
	s_lshl_b32 s14, s15, 8
	s_mov_b32 s2, exec_lo
	s_delay_alu instid0(VALU_DEP_2) | instskip(NEXT) | instid1(VALU_DEP_1)
	v_lshlrev_b32_e32 v15, 5, v1
	v_add3_u32 v17, v15, v16, s14
	s_waitcnt lgkmcnt(0)
	s_delay_alu instid0(VALU_DEP_1)
	v_cmpx_gt_i32_e64 s12, v17
	s_cbranch_execz .LBB39_12
; %bb.1:
	s_clause 0x1
	s_load_b128 s[4:7], s[0:1], 0x0
	s_load_b64 s[2:3], s[0:1], 0x10
	s_waitcnt lgkmcnt(0)
	s_cmp_eq_u64 s[6:7], 0
	s_cbranch_scc1 .LBB39_3
; %bb.2:
	v_ashrrev_i32_e32 v1, 31, v17
	v_add_co_u32 v0, vcc_lo, s6, v17
	s_delay_alu instid0(VALU_DEP_2) | instskip(SKIP_3) | instid1(VALU_DEP_1)
	v_add_co_ci_u32_e32 v1, vcc_lo, s7, v1, vcc_lo
	global_load_u8 v0, v[0:1], off
	s_waitcnt vmcnt(0)
	v_and_b32_e32 v0, 1, v0
	v_cmp_eq_u32_e32 vcc_lo, 1, v0
	s_xor_b32 s6, vcc_lo, -1
	s_delay_alu instid0(SALU_CYCLE_1)
	s_or_not1_b32 s13, s6, exec_lo
	s_branch .LBB39_4
.LBB39_3:
	s_mov_b32 s13, -1
.LBB39_4:
	s_load_b64 s[8:9], s[0:1], 0x40
	s_waitcnt lgkmcnt(0)
	v_mul_lo_u32 v0, v17, s9
	s_delay_alu instid0(VALU_DEP_1) | instskip(NEXT) | instid1(VALU_DEP_1)
	v_ashrrev_i32_e32 v1, 31, v0
	v_lshlrev_b64 v[0:1], 2, v[0:1]
	s_delay_alu instid0(VALU_DEP_1) | instskip(NEXT) | instid1(VALU_DEP_2)
	v_add_co_u32 v9, vcc_lo, s4, v0
	v_add_co_ci_u32_e32 v10, vcc_lo, s5, v1, vcc_lo
	s_load_b128 s[4:7], s[0:1], 0x30
	global_load_b32 v0, v[9:10], off offset:32
	s_waitcnt lgkmcnt(0)
	v_mul_lo_u32 v8, v17, s7
	s_cmp_gt_i32 s4, 0
	s_cselect_b32 s7, -1, 0
	s_cmp_lt_i32 s4, 1
	s_waitcnt vmcnt(0)
	v_mul_f32_e32 v1, 0xbfb8aa3b, v0
	v_cmp_nlt_f32_e32 vcc_lo, 0x42ce8ed0, v0
	s_delay_alu instid0(VALU_DEP_2) | instskip(SKIP_1) | instid1(VALU_DEP_1)
	v_fma_f32 v2, 0xbfb8aa3b, v0, -v1
	v_rndne_f32_e32 v3, v1
	v_dual_fmac_f32 v2, 0xb2a5705f, v0 :: v_dual_sub_f32 v1, v1, v3
	s_delay_alu instid0(VALU_DEP_1) | instskip(SKIP_1) | instid1(VALU_DEP_2)
	v_add_f32_e32 v1, v1, v2
	v_cvt_i32_f32_e32 v2, v3
	v_exp_f32_e32 v1, v1
	s_waitcnt_depctr 0xfff
	v_ldexp_f32 v1, v1, v2
	s_delay_alu instid0(VALU_DEP_1) | instskip(SKIP_1) | instid1(VALU_DEP_2)
	v_cndmask_b32_e32 v1, 0, v1, vcc_lo
	v_cmp_ngt_f32_e32 vcc_lo, 0xc2b17218, v0
	v_cndmask_b32_e32 v0, 0x7f800000, v1, vcc_lo
	s_delay_alu instid0(VALU_DEP_1) | instskip(NEXT) | instid1(VALU_DEP_1)
	v_add_f32_e32 v2, 1.0, v0
	v_div_scale_f32 v3, null, v2, v2, 1.0
	v_div_scale_f32 v5, vcc_lo, 1.0, v2, 1.0
	s_delay_alu instid0(VALU_DEP_2) | instskip(SKIP_2) | instid1(VALU_DEP_1)
	v_rcp_f32_e32 v4, v3
	s_waitcnt_depctr 0xfff
	v_fma_f32 v0, -v3, v4, 1.0
	v_fmac_f32_e32 v4, v0, v4
	v_add_nc_u32_e32 v0, s4, v8
	s_delay_alu instid0(VALU_DEP_2) | instskip(NEXT) | instid1(VALU_DEP_1)
	v_mul_f32_e32 v6, v5, v4
	v_fma_f32 v1, -v3, v6, v5
	s_delay_alu instid0(VALU_DEP_1) | instskip(NEXT) | instid1(VALU_DEP_4)
	v_fmac_f32_e32 v6, v1, v4
	v_ashrrev_i32_e32 v1, 31, v0
	s_delay_alu instid0(VALU_DEP_2) | instskip(NEXT) | instid1(VALU_DEP_2)
	v_fma_f32 v3, -v3, v6, v5
	v_lshlrev_b64 v[0:1], 2, v[0:1]
	s_delay_alu instid0(VALU_DEP_2) | instskip(NEXT) | instid1(VALU_DEP_2)
	v_div_fmas_f32 v3, v3, v4, v6
	v_add_co_u32 v11, vcc_lo, s2, v0
	s_delay_alu instid0(VALU_DEP_3) | instskip(NEXT) | instid1(VALU_DEP_3)
	v_add_co_ci_u32_e32 v12, vcc_lo, s3, v1, vcc_lo
	v_div_fixup_f32 v13, v3, v2, 1.0
	s_clause 0x1
	global_load_b128 v[4:7], v[9:10], off offset:16
	global_load_b128 v[0:3], v[9:10], off
	global_store_b32 v[11:12], v13, off
	global_load_b32 v13, v[9:10], off offset:36
	s_waitcnt vmcnt(0)
	v_mul_f32_e32 v14, 0xbfb8aa3b, v13
	v_cmp_nlt_f32_e32 vcc_lo, 0x42ce8ed0, v13
	s_delay_alu instid0(VALU_DEP_2) | instskip(SKIP_1) | instid1(VALU_DEP_2)
	v_fma_f32 v18, 0xbfb8aa3b, v13, -v14
	v_rndne_f32_e32 v19, v14
	v_fmac_f32_e32 v18, 0xb2a5705f, v13
	s_delay_alu instid0(VALU_DEP_2) | instskip(NEXT) | instid1(VALU_DEP_1)
	v_sub_f32_e32 v14, v14, v19
	v_add_f32_e32 v14, v14, v18
	v_cvt_i32_f32_e32 v18, v19
	s_delay_alu instid0(VALU_DEP_2) | instskip(SKIP_2) | instid1(VALU_DEP_1)
	v_exp_f32_e32 v14, v14
	s_waitcnt_depctr 0xfff
	v_ldexp_f32 v14, v14, v18
	v_cndmask_b32_e32 v14, 0, v14, vcc_lo
	v_cmp_ngt_f32_e32 vcc_lo, 0xc2b17218, v13
	s_delay_alu instid0(VALU_DEP_2) | instskip(NEXT) | instid1(VALU_DEP_1)
	v_cndmask_b32_e32 v13, 0x7f800000, v14, vcc_lo
	v_add_f32_e32 v13, 1.0, v13
	s_delay_alu instid0(VALU_DEP_1) | instskip(SKIP_1) | instid1(VALU_DEP_2)
	v_div_scale_f32 v14, null, v13, v13, 1.0
	v_div_scale_f32 v20, vcc_lo, 1.0, v13, 1.0
	v_rcp_f32_e32 v18, v14
	s_waitcnt_depctr 0xfff
	v_fma_f32 v19, -v14, v18, 1.0
	s_delay_alu instid0(VALU_DEP_1) | instskip(NEXT) | instid1(VALU_DEP_1)
	v_fmac_f32_e32 v18, v19, v18
	v_mul_f32_e32 v19, v20, v18
	s_delay_alu instid0(VALU_DEP_1) | instskip(NEXT) | instid1(VALU_DEP_1)
	v_fma_f32 v21, -v14, v19, v20
	v_fmac_f32_e32 v19, v21, v18
	s_delay_alu instid0(VALU_DEP_1) | instskip(NEXT) | instid1(VALU_DEP_1)
	v_fma_f32 v14, -v14, v19, v20
	v_div_fmas_f32 v14, v14, v18, v19
	s_delay_alu instid0(VALU_DEP_1)
	v_div_fixup_f32 v13, v14, v13, 1.0
	global_store_b32 v[11:12], v13, off offset:4
	global_load_b32 v13, v[9:10], off offset:40
	s_waitcnt vmcnt(0)
	v_mul_f32_e32 v14, 0xbfb8aa3b, v13
	v_cmp_nlt_f32_e32 vcc_lo, 0x42ce8ed0, v13
	s_delay_alu instid0(VALU_DEP_2) | instskip(SKIP_1) | instid1(VALU_DEP_2)
	v_fma_f32 v18, 0xbfb8aa3b, v13, -v14
	v_rndne_f32_e32 v19, v14
	v_fmac_f32_e32 v18, 0xb2a5705f, v13
	s_delay_alu instid0(VALU_DEP_2) | instskip(NEXT) | instid1(VALU_DEP_1)
	v_sub_f32_e32 v14, v14, v19
	v_add_f32_e32 v14, v14, v18
	v_cvt_i32_f32_e32 v18, v19
	s_delay_alu instid0(VALU_DEP_2) | instskip(SKIP_2) | instid1(VALU_DEP_1)
	v_exp_f32_e32 v14, v14
	s_waitcnt_depctr 0xfff
	v_ldexp_f32 v14, v14, v18
	v_cndmask_b32_e32 v14, 0, v14, vcc_lo
	v_cmp_ngt_f32_e32 vcc_lo, 0xc2b17218, v13
	s_delay_alu instid0(VALU_DEP_2) | instskip(NEXT) | instid1(VALU_DEP_1)
	v_cndmask_b32_e32 v13, 0x7f800000, v14, vcc_lo
	v_add_f32_e32 v13, 1.0, v13
	s_delay_alu instid0(VALU_DEP_1) | instskip(SKIP_1) | instid1(VALU_DEP_2)
	v_div_scale_f32 v14, null, v13, v13, 1.0
	v_div_scale_f32 v20, vcc_lo, 1.0, v13, 1.0
	v_rcp_f32_e32 v18, v14
	s_waitcnt_depctr 0xfff
	v_fma_f32 v19, -v14, v18, 1.0
	s_delay_alu instid0(VALU_DEP_1) | instskip(NEXT) | instid1(VALU_DEP_1)
	v_fmac_f32_e32 v18, v19, v18
	v_mul_f32_e32 v19, v20, v18
	s_delay_alu instid0(VALU_DEP_1) | instskip(NEXT) | instid1(VALU_DEP_1)
	v_fma_f32 v21, -v14, v19, v20
	v_fmac_f32_e32 v19, v21, v18
	s_delay_alu instid0(VALU_DEP_1) | instskip(NEXT) | instid1(VALU_DEP_1)
	v_fma_f32 v14, -v14, v19, v20
	v_div_fmas_f32 v14, v14, v18, v19
	s_delay_alu instid0(VALU_DEP_1)
	v_div_fixup_f32 v13, v14, v13, 1.0
	global_store_b32 v[11:12], v13, off offset:8
	;; [unrolled: 39-line block ×6, first 2 shown]
	global_load_b32 v9, v[9:10], off offset:60
	s_waitcnt vmcnt(0)
	v_mul_f32_e32 v10, 0xbfb8aa3b, v9
	v_cmp_nlt_f32_e32 vcc_lo, 0x42ce8ed0, v9
	s_delay_alu instid0(VALU_DEP_2) | instskip(SKIP_1) | instid1(VALU_DEP_1)
	v_fma_f32 v13, 0xbfb8aa3b, v9, -v10
	v_rndne_f32_e32 v14, v10
	v_dual_fmac_f32 v13, 0xb2a5705f, v9 :: v_dual_sub_f32 v10, v10, v14
	s_delay_alu instid0(VALU_DEP_1) | instskip(SKIP_1) | instid1(VALU_DEP_2)
	v_add_f32_e32 v10, v10, v13
	v_cvt_i32_f32_e32 v13, v14
	v_exp_f32_e32 v10, v10
	s_waitcnt_depctr 0xfff
	v_ldexp_f32 v10, v10, v13
	s_delay_alu instid0(VALU_DEP_1) | instskip(SKIP_1) | instid1(VALU_DEP_2)
	v_cndmask_b32_e32 v10, 0, v10, vcc_lo
	v_cmp_ngt_f32_e32 vcc_lo, 0xc2b17218, v9
	v_cndmask_b32_e32 v9, 0x7f800000, v10, vcc_lo
	s_delay_alu instid0(VALU_DEP_1) | instskip(NEXT) | instid1(VALU_DEP_1)
	v_add_f32_e32 v9, 1.0, v9
	v_div_scale_f32 v10, null, v9, v9, 1.0
	v_div_scale_f32 v18, vcc_lo, 1.0, v9, 1.0
	s_delay_alu instid0(VALU_DEP_2) | instskip(SKIP_2) | instid1(VALU_DEP_1)
	v_rcp_f32_e32 v13, v10
	s_waitcnt_depctr 0xfff
	v_fma_f32 v14, -v10, v13, 1.0
	v_fmac_f32_e32 v13, v14, v13
	s_delay_alu instid0(VALU_DEP_1) | instskip(NEXT) | instid1(VALU_DEP_1)
	v_mul_f32_e32 v14, v18, v13
	v_fma_f32 v19, -v10, v14, v18
	s_delay_alu instid0(VALU_DEP_1) | instskip(NEXT) | instid1(VALU_DEP_1)
	v_dual_fmac_f32 v14, v19, v13 :: v_dual_mov_b32 v19, 0
	v_fma_f32 v10, -v10, v14, v18
	s_delay_alu instid0(VALU_DEP_1) | instskip(NEXT) | instid1(VALU_DEP_1)
	v_div_fmas_f32 v10, v10, v13, v14
	v_div_fixup_f32 v9, v10, v9, 1.0
	global_store_b32 v[11:12], v9, off offset:28
	s_cbranch_scc1 .LBB39_8
; %bb.5:
	v_cmp_lt_f32_e32 vcc_lo, v0, v1
	v_mul_lo_u32 v11, v17, s8
	s_load_b128 s[8:11], s[0:1], 0x20
	v_mul_lo_u32 v13, v17, s4
	v_cndmask_b32_e32 v10, v0, v1, vcc_lo
	v_cndmask_b32_e64 v9, 0, 1, vcc_lo
	s_delay_alu instid0(VALU_DEP_2) | instskip(SKIP_1) | instid1(VALU_DEP_3)
	v_cmp_lt_f32_e32 vcc_lo, v10, v2
	v_cndmask_b32_e32 v10, v10, v2, vcc_lo
	v_cndmask_b32_e64 v9, v9, 2, vcc_lo
	s_delay_alu instid0(VALU_DEP_2) | instskip(SKIP_1) | instid1(VALU_DEP_3)
	v_cmp_lt_f32_e32 vcc_lo, v10, v3
	;; [unrolled: 4-line block ×6, first 2 shown]
	v_cndmask_b32_e32 v18, v10, v7, vcc_lo
	v_cndmask_b32_e64 v24, v9, 7, vcc_lo
	s_delay_alu instid0(VALU_DEP_2) | instskip(NEXT) | instid1(VALU_DEP_2)
	v_sub_f32_e32 v19, v18, v18
	v_cmp_gt_i32_e64 s0, s6, v24
	v_subrev_nc_u32_e32 v22, s5, v24
	s_delay_alu instid0(VALU_DEP_3) | instskip(NEXT) | instid1(VALU_DEP_1)
	v_mul_f32_e32 v9, 0x3fb8aa3b, v19
	v_fma_f32 v10, 0x3fb8aa3b, v19, -v9
	v_rndne_f32_e32 v20, v9
	s_delay_alu instid0(VALU_DEP_2) | instskip(NEXT) | instid1(VALU_DEP_2)
	v_fmac_f32_e32 v10, 0x32a5705f, v19
	v_sub_f32_e32 v12, v9, v20
	v_ashrrev_i32_e32 v9, 31, v8
	v_cvt_i32_f32_e32 v20, v20
	s_delay_alu instid0(VALU_DEP_3) | instskip(NEXT) | instid1(VALU_DEP_3)
	v_add_f32_e32 v14, v12, v10
	v_lshlrev_b64 v[9:10], 2, v[8:9]
	v_ashrrev_i32_e32 v12, 31, v11
	s_delay_alu instid0(VALU_DEP_3) | instskip(SKIP_1) | instid1(VALU_DEP_3)
	v_exp_f32_e32 v21, v14
	v_ashrrev_i32_e32 v14, 31, v13
	v_add_co_u32 v9, vcc_lo, s2, v9
	s_delay_alu instid0(VALU_DEP_4) | instskip(SKIP_3) | instid1(TRANS32_DEP_1)
	v_add_co_ci_u32_e32 v10, vcc_lo, s3, v10, vcc_lo
	v_cmp_le_i32_e32 vcc_lo, s5, v24
	v_lshlrev_b64 v[11:12], 2, v[11:12]
	v_lshlrev_b64 v[13:14], 2, v[13:14]
	v_ldexp_f32 v20, v21, v20
	s_and_b32 s0, vcc_lo, s0
	v_cmp_ngt_f32_e32 vcc_lo, 0xc2ce8ed0, v19
	s_delay_alu instid0(VALU_DEP_2)
	v_cndmask_b32_e32 v23, 0, v20, vcc_lo
	s_waitcnt lgkmcnt(0)
	v_add_co_u32 v20, vcc_lo, s8, v11
	v_add_co_ci_u32_e32 v21, vcc_lo, s9, v12, vcc_lo
	s_and_b32 vcc_lo, s13, s0
	s_cmp_eq_u32 s4, 1
	v_cndmask_b32_e32 v25, 8, v22, vcc_lo
	v_cmp_nlt_f32_e32 vcc_lo, 0x42b17218, v19
	v_cndmask_b32_e32 v19, 0x7f800000, v23, vcc_lo
	v_add_co_u32 v22, vcc_lo, s10, v13
	v_add_co_ci_u32_e32 v23, vcc_lo, s11, v14, vcc_lo
	global_store_b32 v[20:21], v25, off
	global_store_b32 v[9:10], v19, off
	global_store_b32 v[22:23], v17, off
	s_cbranch_scc1 .LBB39_8
; %bb.6:
	v_cmp_ne_u32_e32 vcc_lo, 7, v24
	s_add_i32 s14, s14, s12
	v_cndmask_b32_e32 v7, 0xff800000, v7, vcc_lo
	v_cmp_ne_u32_e32 vcc_lo, 6, v24
	v_cndmask_b32_e32 v6, 0xff800000, v6, vcc_lo
	v_cmp_ne_u32_e32 vcc_lo, 5, v24
	;; [unrolled: 2-line block ×7, first 2 shown]
	v_cndmask_b32_e32 v24, 0xff800000, v0, vcc_lo
	v_add_co_u32 v0, vcc_lo, v13, s10
	v_add_co_ci_u32_e32 v1, vcc_lo, s11, v14, vcc_lo
	v_add_co_u32 v2, vcc_lo, v11, s8
	v_add_co_ci_u32_e32 v3, vcc_lo, s9, v12, vcc_lo
	s_delay_alu instid0(VALU_DEP_4) | instskip(NEXT) | instid1(VALU_DEP_4)
	v_add_co_u32 v0, vcc_lo, v0, 4
	v_add_co_ci_u32_e32 v1, vcc_lo, 0, v1, vcc_lo
	s_delay_alu instid0(VALU_DEP_4) | instskip(NEXT) | instid1(VALU_DEP_4)
	v_add_co_u32 v2, vcc_lo, v2, 4
	v_add_co_ci_u32_e32 v3, vcc_lo, 0, v3, vcc_lo
	v_add_co_u32 v4, vcc_lo, v9, 4
	v_add_co_ci_u32_e32 v5, vcc_lo, 0, v10, vcc_lo
	v_add3_u32 v9, s14, v16, v15
	s_add_i32 s8, s4, -1
.LBB39_7:                               ; =>This Inner Loop Header: Depth=1
	v_cmp_gt_f32_e32 vcc_lo, v23, v24
	s_add_i32 s8, s8, -1
	v_cndmask_b32_e32 v10, v24, v23, vcc_lo
	v_cndmask_b32_e64 v11, 0, 1, vcc_lo
	s_delay_alu instid0(VALU_DEP_2) | instskip(SKIP_1) | instid1(VALU_DEP_3)
	v_cmp_gt_f32_e32 vcc_lo, v22, v10
	v_cndmask_b32_e32 v10, v10, v22, vcc_lo
	v_cndmask_b32_e64 v11, v11, 2, vcc_lo
	s_delay_alu instid0(VALU_DEP_2) | instskip(SKIP_1) | instid1(VALU_DEP_3)
	v_cmp_gt_f32_e32 vcc_lo, v21, v10
	v_cndmask_b32_e32 v10, v10, v21, vcc_lo
	v_cndmask_b32_e64 v11, v11, 3, vcc_lo
	s_delay_alu instid0(VALU_DEP_2) | instskip(SKIP_1) | instid1(VALU_DEP_3)
	v_cmp_gt_f32_e32 vcc_lo, v20, v10
	v_cndmask_b32_e32 v10, v10, v20, vcc_lo
	v_cndmask_b32_e64 v11, v11, 4, vcc_lo
	s_delay_alu instid0(VALU_DEP_2) | instskip(SKIP_1) | instid1(VALU_DEP_3)
	v_cmp_gt_f32_e32 vcc_lo, v17, v10
	v_cndmask_b32_e32 v10, v10, v17, vcc_lo
	v_cndmask_b32_e64 v11, v11, 5, vcc_lo
	s_delay_alu instid0(VALU_DEP_2) | instskip(SKIP_1) | instid1(VALU_DEP_3)
	v_cmp_gt_f32_e32 vcc_lo, v6, v10
	v_cndmask_b32_e32 v10, v10, v6, vcc_lo
	v_cndmask_b32_e64 v11, v11, 6, vcc_lo
	s_delay_alu instid0(VALU_DEP_2) | instskip(NEXT) | instid1(VALU_DEP_2)
	v_cmp_gt_f32_e32 vcc_lo, v7, v10
	v_cndmask_b32_e64 v11, v11, 7, vcc_lo
	v_cndmask_b32_e32 v10, v10, v7, vcc_lo
	s_delay_alu instid0(VALU_DEP_2) | instskip(NEXT) | instid1(VALU_DEP_2)
	v_cmp_ne_u32_e64 s1, 7, v11
	v_sub_f32_e32 v10, v10, v18
	v_cmp_le_i32_e32 vcc_lo, s5, v11
	v_cmp_gt_i32_e64 s0, s6, v11
	v_subrev_nc_u32_e32 v13, s5, v11
	v_cndmask_b32_e64 v7, 0xff800000, v7, s1
	v_cmp_ne_u32_e64 s1, 6, v11
	v_mul_f32_e32 v12, 0x3fb8aa3b, v10
	s_and_b32 s0, vcc_lo, s0
	s_delay_alu instid0(SALU_CYCLE_1) | instskip(NEXT) | instid1(VALU_DEP_2)
	s_and_b32 vcc_lo, s13, s0
	v_cndmask_b32_e64 v6, 0xff800000, v6, s1
	v_cmp_ne_u32_e64 s1, 5, v11
	v_rndne_f32_e32 v14, v12
	v_cndmask_b32_e32 v13, 8, v13, vcc_lo
	global_store_b32 v[2:3], v13, off
	global_store_b32 v[0:1], v9, off
	v_add_nc_u32_e32 v9, s12, v9
	v_cndmask_b32_e64 v17, 0xff800000, v17, s1
	v_cmp_ne_u32_e64 s1, 4, v11
	v_add_co_u32 v0, vcc_lo, v0, 4
	v_add_co_ci_u32_e32 v1, vcc_lo, 0, v1, vcc_lo
	s_delay_alu instid0(VALU_DEP_3) | instskip(SKIP_3) | instid1(VALU_DEP_3)
	v_cndmask_b32_e64 v20, 0xff800000, v20, s1
	v_cmp_ne_u32_e64 s1, 3, v11
	v_add_co_u32 v2, vcc_lo, v2, 4
	v_add_co_ci_u32_e32 v3, vcc_lo, 0, v3, vcc_lo
	v_cndmask_b32_e64 v21, 0xff800000, v21, s1
	v_cmp_ne_u32_e64 s1, 2, v11
	v_cmp_ngt_f32_e32 vcc_lo, 0xc2ce8ed0, v10
	s_cmp_eq_u32 s8, 0
	s_delay_alu instid0(VALU_DEP_2) | instskip(SKIP_1) | instid1(VALU_DEP_1)
	v_cndmask_b32_e64 v22, 0xff800000, v22, s1
	v_cmp_ne_u32_e64 s1, 1, v11
	v_cndmask_b32_e64 v23, 0xff800000, v23, s1
	v_cmp_ne_u32_e64 s1, 0, v11
	v_fma_f32 v11, 0x3fb8aa3b, v10, -v12
	v_sub_f32_e32 v12, v12, v14
	v_cvt_i32_f32_e32 v14, v14
	s_delay_alu instid0(VALU_DEP_4) | instskip(NEXT) | instid1(VALU_DEP_4)
	v_cndmask_b32_e64 v24, 0xff800000, v24, s1
	v_fmac_f32_e32 v11, 0x32a5705f, v10
	s_delay_alu instid0(VALU_DEP_1) | instskip(NEXT) | instid1(VALU_DEP_1)
	v_add_f32_e32 v11, v12, v11
	v_exp_f32_e32 v11, v11
	s_waitcnt_depctr 0xfff
	v_ldexp_f32 v11, v11, v14
	s_delay_alu instid0(VALU_DEP_1) | instskip(SKIP_1) | instid1(VALU_DEP_2)
	v_cndmask_b32_e32 v11, 0, v11, vcc_lo
	v_cmp_nlt_f32_e32 vcc_lo, 0x42b17218, v10
	v_cndmask_b32_e32 v10, 0x7f800000, v11, vcc_lo
	global_store_b32 v[4:5], v10, off
	v_add_co_u32 v4, vcc_lo, v4, 4
	v_add_f32_e32 v19, v19, v10
	v_add_co_ci_u32_e32 v5, vcc_lo, 0, v5, vcc_lo
	s_cbranch_scc0 .LBB39_7
.LBB39_8:
	s_delay_alu instid0(VALU_DEP_2)
	v_cmp_neq_f32_e32 vcc_lo, 0, v19
	s_and_b32 exec_lo, exec_lo, vcc_lo
	s_cbranch_execz .LBB39_12
; %bb.9:
	s_and_not1_b32 vcc_lo, exec_lo, s7
	s_cbranch_vccnz .LBB39_12
; %bb.10:
	v_div_scale_f32 v0, null, v19, v19, 1.0
	v_div_scale_f32 v3, vcc_lo, 1.0, v19, 1.0
	v_ashrrev_i32_e32 v9, 31, v8
	s_delay_alu instid0(VALU_DEP_3) | instskip(SKIP_2) | instid1(VALU_DEP_1)
	v_rcp_f32_e32 v1, v0
	s_waitcnt_depctr 0xfff
	v_fma_f32 v2, -v0, v1, 1.0
	v_fmac_f32_e32 v1, v2, v1
	s_delay_alu instid0(VALU_DEP_1) | instskip(NEXT) | instid1(VALU_DEP_1)
	v_mul_f32_e32 v2, v3, v1
	v_fma_f32 v4, -v0, v2, v3
	s_delay_alu instid0(VALU_DEP_1) | instskip(NEXT) | instid1(VALU_DEP_1)
	v_fmac_f32_e32 v2, v4, v1
	v_fma_f32 v0, -v0, v2, v3
	s_delay_alu instid0(VALU_DEP_1) | instskip(SKIP_1) | instid1(VALU_DEP_2)
	v_div_fmas_f32 v2, v0, v1, v2
	v_lshlrev_b64 v[0:1], 2, v[8:9]
	v_div_fixup_f32 v2, v2, v19, 1.0
	s_delay_alu instid0(VALU_DEP_2) | instskip(NEXT) | instid1(VALU_DEP_3)
	v_add_co_u32 v0, vcc_lo, s2, v0
	v_add_co_ci_u32_e32 v1, vcc_lo, s3, v1, vcc_lo
.LBB39_11:                              ; =>This Inner Loop Header: Depth=1
	global_load_b32 v3, v[0:1], off
	s_add_i32 s4, s4, -1
	s_delay_alu instid0(SALU_CYCLE_1)
	s_cmp_lg_u32 s4, 0
	s_waitcnt vmcnt(0)
	v_mul_f32_e32 v3, v2, v3
	global_store_b32 v[0:1], v3, off
	v_add_co_u32 v0, vcc_lo, v0, 4
	v_add_co_ci_u32_e32 v1, vcc_lo, 0, v1, vcc_lo
	s_cbranch_scc1 .LBB39_11
.LBB39_12:
	s_nop 0
	s_sendmsg sendmsg(MSG_DEALLOC_VGPRS)
	s_endpgm
	.section	.rodata,"a",@progbits
	.p2align	6, 0x0
	.amdhsa_kernel _ZN4vllm3moe17topkGatingSoftmaxIfLi8ELi8ELi8ELi32ELb1ELi8ELNS0_23SharedExpertScoringFuncE1EEEvPKT_PKbPfiPiS9_iiiiii
		.amdhsa_group_segment_fixed_size 0
		.amdhsa_private_segment_fixed_size 0
		.amdhsa_kernarg_size 72
		.amdhsa_user_sgpr_count 15
		.amdhsa_user_sgpr_dispatch_ptr 0
		.amdhsa_user_sgpr_queue_ptr 0
		.amdhsa_user_sgpr_kernarg_segment_ptr 1
		.amdhsa_user_sgpr_dispatch_id 0
		.amdhsa_user_sgpr_private_segment_size 0
		.amdhsa_wavefront_size32 1
		.amdhsa_uses_dynamic_stack 0
		.amdhsa_enable_private_segment 0
		.amdhsa_system_sgpr_workgroup_id_x 1
		.amdhsa_system_sgpr_workgroup_id_y 0
		.amdhsa_system_sgpr_workgroup_id_z 0
		.amdhsa_system_sgpr_workgroup_info 0
		.amdhsa_system_vgpr_workitem_id 1
		.amdhsa_next_free_vgpr 26
		.amdhsa_next_free_sgpr 16
		.amdhsa_reserve_vcc 1
		.amdhsa_float_round_mode_32 0
		.amdhsa_float_round_mode_16_64 0
		.amdhsa_float_denorm_mode_32 3
		.amdhsa_float_denorm_mode_16_64 3
		.amdhsa_dx10_clamp 1
		.amdhsa_ieee_mode 1
		.amdhsa_fp16_overflow 0
		.amdhsa_workgroup_processor_mode 1
		.amdhsa_memory_ordered 1
		.amdhsa_forward_progress 0
		.amdhsa_shared_vgpr_count 0
		.amdhsa_exception_fp_ieee_invalid_op 0
		.amdhsa_exception_fp_denorm_src 0
		.amdhsa_exception_fp_ieee_div_zero 0
		.amdhsa_exception_fp_ieee_overflow 0
		.amdhsa_exception_fp_ieee_underflow 0
		.amdhsa_exception_fp_ieee_inexact 0
		.amdhsa_exception_int_div_zero 0
	.end_amdhsa_kernel
	.section	.text._ZN4vllm3moe17topkGatingSoftmaxIfLi8ELi8ELi8ELi32ELb1ELi8ELNS0_23SharedExpertScoringFuncE1EEEvPKT_PKbPfiPiS9_iiiiii,"axG",@progbits,_ZN4vllm3moe17topkGatingSoftmaxIfLi8ELi8ELi8ELi32ELb1ELi8ELNS0_23SharedExpertScoringFuncE1EEEvPKT_PKbPfiPiS9_iiiiii,comdat
.Lfunc_end39:
	.size	_ZN4vllm3moe17topkGatingSoftmaxIfLi8ELi8ELi8ELi32ELb1ELi8ELNS0_23SharedExpertScoringFuncE1EEEvPKT_PKbPfiPiS9_iiiiii, .Lfunc_end39-_ZN4vllm3moe17topkGatingSoftmaxIfLi8ELi8ELi8ELi32ELb1ELi8ELNS0_23SharedExpertScoringFuncE1EEEvPKT_PKbPfiPiS9_iiiiii
                                        ; -- End function
	.section	.AMDGPU.csdata,"",@progbits
; Kernel info:
; codeLenInByte = 3416
; NumSgprs: 18
; NumVgprs: 26
; ScratchSize: 0
; MemoryBound: 0
; FloatMode: 240
; IeeeMode: 1
; LDSByteSize: 0 bytes/workgroup (compile time only)
; SGPRBlocks: 2
; VGPRBlocks: 3
; NumSGPRsForWavesPerEU: 18
; NumVGPRsForWavesPerEU: 26
; Occupancy: 16
; WaveLimiterHint : 0
; COMPUTE_PGM_RSRC2:SCRATCH_EN: 0
; COMPUTE_PGM_RSRC2:USER_SGPR: 15
; COMPUTE_PGM_RSRC2:TRAP_HANDLER: 0
; COMPUTE_PGM_RSRC2:TGID_X_EN: 1
; COMPUTE_PGM_RSRC2:TGID_Y_EN: 0
; COMPUTE_PGM_RSRC2:TGID_Z_EN: 0
; COMPUTE_PGM_RSRC2:TIDIG_COMP_CNT: 1
	.section	.text._ZN4vllm3moe17topkGatingSoftmaxIfLi8ELi8ELi8ELi32ELb0ELi8ELNS0_23SharedExpertScoringFuncE1EEEvPKT_PKbPfiPiS9_iiiiii,"axG",@progbits,_ZN4vllm3moe17topkGatingSoftmaxIfLi8ELi8ELi8ELi32ELb0ELi8ELNS0_23SharedExpertScoringFuncE1EEEvPKT_PKbPfiPiS9_iiiiii,comdat
	.protected	_ZN4vllm3moe17topkGatingSoftmaxIfLi8ELi8ELi8ELi32ELb0ELi8ELNS0_23SharedExpertScoringFuncE1EEEvPKT_PKbPfiPiS9_iiiiii ; -- Begin function _ZN4vllm3moe17topkGatingSoftmaxIfLi8ELi8ELi8ELi32ELb0ELi8ELNS0_23SharedExpertScoringFuncE1EEEvPKT_PKbPfiPiS9_iiiiii
	.globl	_ZN4vllm3moe17topkGatingSoftmaxIfLi8ELi8ELi8ELi32ELb0ELi8ELNS0_23SharedExpertScoringFuncE1EEEvPKT_PKbPfiPiS9_iiiiii
	.p2align	8
	.type	_ZN4vllm3moe17topkGatingSoftmaxIfLi8ELi8ELi8ELi32ELb0ELi8ELNS0_23SharedExpertScoringFuncE1EEEvPKT_PKbPfiPiS9_iiiiii,@function
_ZN4vllm3moe17topkGatingSoftmaxIfLi8ELi8ELi8ELi32ELb0ELi8ELNS0_23SharedExpertScoringFuncE1EEEvPKT_PKbPfiPiS9_iiiiii: ; @_ZN4vllm3moe17topkGatingSoftmaxIfLi8ELi8ELi8ELi32ELb0ELi8ELNS0_23SharedExpertScoringFuncE1EEEvPKT_PKbPfiPiS9_iiiiii
; %bb.0:
	s_load_b32 s16, s[0:1], 0x18
	v_bfe_u32 v1, v0, 10, 10
	v_and_b32_e32 v16, 0x3ff, v0
	s_lshl_b32 s18, s15, 8
	s_mov_b32 s2, exec_lo
	s_delay_alu instid0(VALU_DEP_2) | instskip(NEXT) | instid1(VALU_DEP_1)
	v_lshlrev_b32_e32 v15, 5, v1
	v_add3_u32 v18, v15, v16, s18
	s_waitcnt lgkmcnt(0)
	s_delay_alu instid0(VALU_DEP_1)
	v_cmpx_gt_i32_e64 s16, v18
	s_cbranch_execz .LBB40_12
; %bb.1:
	s_clause 0x1
	s_load_b128 s[4:7], s[0:1], 0x0
	s_load_b64 s[12:13], s[0:1], 0x10
	s_waitcnt lgkmcnt(0)
	s_cmp_eq_u64 s[6:7], 0
	s_cbranch_scc1 .LBB40_3
; %bb.2:
	v_ashrrev_i32_e32 v1, 31, v18
	v_add_co_u32 v0, vcc_lo, s6, v18
	s_delay_alu instid0(VALU_DEP_2) | instskip(SKIP_3) | instid1(VALU_DEP_1)
	v_add_co_ci_u32_e32 v1, vcc_lo, s7, v1, vcc_lo
	global_load_u8 v0, v[0:1], off
	s_waitcnt vmcnt(0)
	v_and_b32_e32 v0, 1, v0
	v_cmp_eq_u32_e32 vcc_lo, 1, v0
	s_xor_b32 s2, vcc_lo, -1
	s_delay_alu instid0(SALU_CYCLE_1)
	s_or_not1_b32 s17, s2, exec_lo
	s_branch .LBB40_4
.LBB40_3:
	s_mov_b32 s17, -1
.LBB40_4:
	s_clause 0x1
	s_load_b64 s[14:15], s[0:1], 0x40
	s_load_b128 s[8:11], s[0:1], 0x30
	s_waitcnt lgkmcnt(0)
	v_mul_lo_u32 v0, v18, s15
	v_mul_lo_u32 v8, v18, s11
	s_cmp_gt_i32 s8, 0
	s_cselect_b32 s11, -1, 0
	s_cmp_lt_i32 s8, 1
	s_delay_alu instid0(VALU_DEP_2) | instskip(NEXT) | instid1(VALU_DEP_1)
	v_ashrrev_i32_e32 v1, 31, v0
	v_lshlrev_b64 v[0:1], 2, v[0:1]
	s_delay_alu instid0(VALU_DEP_1) | instskip(NEXT) | instid1(VALU_DEP_2)
	v_add_co_u32 v9, vcc_lo, s4, v0
	v_add_co_ci_u32_e32 v10, vcc_lo, s5, v1, vcc_lo
	global_load_b32 v0, v[9:10], off offset:32
	s_waitcnt vmcnt(0)
	v_mul_f32_e32 v1, 0xbfb8aa3b, v0
	v_cmp_nlt_f32_e32 vcc_lo, 0x42ce8ed0, v0
	s_delay_alu instid0(VALU_DEP_2) | instskip(SKIP_1) | instid1(VALU_DEP_1)
	v_fma_f32 v2, 0xbfb8aa3b, v0, -v1
	v_rndne_f32_e32 v3, v1
	v_dual_fmac_f32 v2, 0xb2a5705f, v0 :: v_dual_sub_f32 v1, v1, v3
	s_delay_alu instid0(VALU_DEP_1) | instskip(SKIP_1) | instid1(VALU_DEP_2)
	v_add_f32_e32 v1, v1, v2
	v_cvt_i32_f32_e32 v2, v3
	v_exp_f32_e32 v1, v1
	s_waitcnt_depctr 0xfff
	v_ldexp_f32 v1, v1, v2
	s_delay_alu instid0(VALU_DEP_1) | instskip(SKIP_1) | instid1(VALU_DEP_2)
	v_cndmask_b32_e32 v1, 0, v1, vcc_lo
	v_cmp_ngt_f32_e32 vcc_lo, 0xc2b17218, v0
	v_cndmask_b32_e32 v0, 0x7f800000, v1, vcc_lo
	s_delay_alu instid0(VALU_DEP_1) | instskip(NEXT) | instid1(VALU_DEP_1)
	v_add_f32_e32 v2, 1.0, v0
	v_div_scale_f32 v3, null, v2, v2, 1.0
	v_div_scale_f32 v5, vcc_lo, 1.0, v2, 1.0
	s_delay_alu instid0(VALU_DEP_2) | instskip(SKIP_2) | instid1(VALU_DEP_1)
	v_rcp_f32_e32 v4, v3
	s_waitcnt_depctr 0xfff
	v_fma_f32 v0, -v3, v4, 1.0
	v_fmac_f32_e32 v4, v0, v4
	v_add_nc_u32_e32 v0, s8, v8
	s_delay_alu instid0(VALU_DEP_2) | instskip(NEXT) | instid1(VALU_DEP_1)
	v_mul_f32_e32 v6, v5, v4
	v_fma_f32 v1, -v3, v6, v5
	s_delay_alu instid0(VALU_DEP_1) | instskip(NEXT) | instid1(VALU_DEP_4)
	v_fmac_f32_e32 v6, v1, v4
	v_ashrrev_i32_e32 v1, 31, v0
	s_delay_alu instid0(VALU_DEP_2) | instskip(NEXT) | instid1(VALU_DEP_2)
	v_fma_f32 v3, -v3, v6, v5
	v_lshlrev_b64 v[0:1], 2, v[0:1]
	s_delay_alu instid0(VALU_DEP_2) | instskip(NEXT) | instid1(VALU_DEP_2)
	v_div_fmas_f32 v3, v3, v4, v6
	v_add_co_u32 v11, vcc_lo, s12, v0
	s_delay_alu instid0(VALU_DEP_3) | instskip(NEXT) | instid1(VALU_DEP_3)
	v_add_co_ci_u32_e32 v12, vcc_lo, s13, v1, vcc_lo
	v_div_fixup_f32 v13, v3, v2, 1.0
	s_clause 0x1
	global_load_b128 v[0:3], v[9:10], off offset:16
	global_load_b128 v[4:7], v[9:10], off
	global_store_b32 v[11:12], v13, off
	global_load_b32 v13, v[9:10], off offset:36
	s_waitcnt vmcnt(1)
	v_cmp_lt_f32_e64 s7, v4, v5
	s_waitcnt vmcnt(0)
	v_mul_f32_e32 v14, 0xbfb8aa3b, v13
	v_cmp_nlt_f32_e32 vcc_lo, 0x42ce8ed0, v13
	s_delay_alu instid0(VALU_DEP_2) | instskip(SKIP_1) | instid1(VALU_DEP_1)
	v_fma_f32 v17, 0xbfb8aa3b, v13, -v14
	v_rndne_f32_e32 v19, v14
	v_dual_fmac_f32 v17, 0xb2a5705f, v13 :: v_dual_sub_f32 v14, v14, v19
	s_delay_alu instid0(VALU_DEP_1) | instskip(SKIP_1) | instid1(VALU_DEP_2)
	v_add_f32_e32 v14, v14, v17
	v_cvt_i32_f32_e32 v17, v19
	v_exp_f32_e32 v14, v14
	s_waitcnt_depctr 0xfff
	v_ldexp_f32 v14, v14, v17
	s_delay_alu instid0(VALU_DEP_1) | instskip(SKIP_1) | instid1(VALU_DEP_2)
	v_cndmask_b32_e32 v14, 0, v14, vcc_lo
	v_cmp_ngt_f32_e32 vcc_lo, 0xc2b17218, v13
	v_cndmask_b32_e32 v13, 0x7f800000, v14, vcc_lo
	s_delay_alu instid0(VALU_DEP_1) | instskip(NEXT) | instid1(VALU_DEP_1)
	v_add_f32_e32 v13, 1.0, v13
	v_div_scale_f32 v14, null, v13, v13, 1.0
	v_div_scale_f32 v20, vcc_lo, 1.0, v13, 1.0
	s_delay_alu instid0(VALU_DEP_2) | instskip(SKIP_2) | instid1(VALU_DEP_1)
	v_rcp_f32_e32 v17, v14
	s_waitcnt_depctr 0xfff
	v_fma_f32 v19, -v14, v17, 1.0
	v_fmac_f32_e32 v17, v19, v17
	s_delay_alu instid0(VALU_DEP_1) | instskip(NEXT) | instid1(VALU_DEP_1)
	v_mul_f32_e32 v19, v20, v17
	v_fma_f32 v21, -v14, v19, v20
	s_delay_alu instid0(VALU_DEP_1) | instskip(NEXT) | instid1(VALU_DEP_1)
	v_fmac_f32_e32 v19, v21, v17
	v_fma_f32 v14, -v14, v19, v20
	s_delay_alu instid0(VALU_DEP_1) | instskip(NEXT) | instid1(VALU_DEP_1)
	v_div_fmas_f32 v14, v14, v17, v19
	v_div_fixup_f32 v13, v14, v13, 1.0
	global_store_b32 v[11:12], v13, off offset:4
	global_load_b32 v13, v[9:10], off offset:40
	s_waitcnt vmcnt(0)
	v_mul_f32_e32 v14, 0xbfb8aa3b, v13
	v_cmp_nlt_f32_e32 vcc_lo, 0x42ce8ed0, v13
	s_delay_alu instid0(VALU_DEP_2) | instskip(SKIP_1) | instid1(VALU_DEP_1)
	v_fma_f32 v17, 0xbfb8aa3b, v13, -v14
	v_rndne_f32_e32 v19, v14
	v_dual_fmac_f32 v17, 0xb2a5705f, v13 :: v_dual_sub_f32 v14, v14, v19
	s_delay_alu instid0(VALU_DEP_1) | instskip(SKIP_1) | instid1(VALU_DEP_2)
	v_add_f32_e32 v14, v14, v17
	v_cvt_i32_f32_e32 v17, v19
	v_exp_f32_e32 v14, v14
	s_waitcnt_depctr 0xfff
	v_ldexp_f32 v14, v14, v17
	s_delay_alu instid0(VALU_DEP_1) | instskip(SKIP_1) | instid1(VALU_DEP_2)
	v_cndmask_b32_e32 v14, 0, v14, vcc_lo
	v_cmp_ngt_f32_e32 vcc_lo, 0xc2b17218, v13
	v_cndmask_b32_e32 v13, 0x7f800000, v14, vcc_lo
	s_delay_alu instid0(VALU_DEP_1) | instskip(NEXT) | instid1(VALU_DEP_1)
	v_add_f32_e32 v13, 1.0, v13
	v_div_scale_f32 v14, null, v13, v13, 1.0
	v_div_scale_f32 v20, vcc_lo, 1.0, v13, 1.0
	s_delay_alu instid0(VALU_DEP_2) | instskip(SKIP_2) | instid1(VALU_DEP_1)
	v_rcp_f32_e32 v17, v14
	s_waitcnt_depctr 0xfff
	v_fma_f32 v19, -v14, v17, 1.0
	v_fmac_f32_e32 v17, v19, v17
	s_delay_alu instid0(VALU_DEP_1) | instskip(NEXT) | instid1(VALU_DEP_1)
	v_mul_f32_e32 v19, v20, v17
	v_fma_f32 v21, -v14, v19, v20
	s_delay_alu instid0(VALU_DEP_1) | instskip(NEXT) | instid1(VALU_DEP_1)
	v_fmac_f32_e32 v19, v21, v17
	v_fma_f32 v14, -v14, v19, v20
	s_delay_alu instid0(VALU_DEP_1) | instskip(NEXT) | instid1(VALU_DEP_1)
	v_div_fmas_f32 v14, v14, v17, v19
	v_div_fixup_f32 v13, v14, v13, 1.0
	global_store_b32 v[11:12], v13, off offset:8
	global_load_b32 v13, v[9:10], off offset:44
	;; [unrolled: 37-line block ×5, first 2 shown]
	s_waitcnt vmcnt(0)
	v_mul_f32_e32 v14, 0xbfb8aa3b, v13
	v_cmp_nlt_f32_e32 vcc_lo, 0x42ce8ed0, v13
	s_delay_alu instid0(VALU_DEP_2) | instskip(SKIP_1) | instid1(VALU_DEP_1)
	v_fma_f32 v17, 0xbfb8aa3b, v13, -v14
	v_rndne_f32_e32 v19, v14
	v_dual_fmac_f32 v17, 0xb2a5705f, v13 :: v_dual_sub_f32 v14, v14, v19
	s_delay_alu instid0(VALU_DEP_1) | instskip(SKIP_1) | instid1(VALU_DEP_2)
	v_add_f32_e32 v14, v14, v17
	v_cvt_i32_f32_e32 v17, v19
	v_exp_f32_e32 v14, v14
	s_waitcnt_depctr 0xfff
	v_ldexp_f32 v14, v14, v17
	s_delay_alu instid0(VALU_DEP_1) | instskip(SKIP_1) | instid1(VALU_DEP_2)
	v_cndmask_b32_e32 v14, 0, v14, vcc_lo
	v_cmp_ngt_f32_e32 vcc_lo, 0xc2b17218, v13
	v_cndmask_b32_e32 v13, 0x7f800000, v14, vcc_lo
	s_delay_alu instid0(VALU_DEP_1) | instskip(NEXT) | instid1(VALU_DEP_1)
	v_add_f32_e32 v13, 1.0, v13
	v_div_scale_f32 v14, null, v13, v13, 1.0
	v_div_scale_f32 v20, vcc_lo, 1.0, v13, 1.0
	s_delay_alu instid0(VALU_DEP_2) | instskip(SKIP_2) | instid1(VALU_DEP_1)
	v_rcp_f32_e32 v17, v14
	s_waitcnt_depctr 0xfff
	v_fma_f32 v19, -v14, v17, 1.0
	v_fmac_f32_e32 v17, v19, v17
	s_delay_alu instid0(VALU_DEP_1) | instskip(NEXT) | instid1(VALU_DEP_1)
	v_mul_f32_e32 v19, v20, v17
	v_fma_f32 v21, -v14, v19, v20
	s_delay_alu instid0(VALU_DEP_1) | instskip(NEXT) | instid1(VALU_DEP_1)
	v_fmac_f32_e32 v19, v21, v17
	v_fma_f32 v14, -v14, v19, v20
	s_delay_alu instid0(VALU_DEP_1) | instskip(SKIP_1) | instid1(VALU_DEP_2)
	v_div_fmas_f32 v14, v14, v17, v19
	v_cndmask_b32_e64 v17, v4, v5, s7
	v_div_fixup_f32 v13, v14, v13, 1.0
	s_delay_alu instid0(VALU_DEP_2)
	v_cmp_lt_f32_e64 s5, v17, v6
	global_store_b32 v[11:12], v13, off offset:24
	global_load_b32 v9, v[9:10], off offset:60
	s_waitcnt vmcnt(0)
	v_mul_f32_e32 v10, 0xbfb8aa3b, v9
	v_cmp_nlt_f32_e32 vcc_lo, 0x42ce8ed0, v9
	s_delay_alu instid0(VALU_DEP_2) | instskip(SKIP_1) | instid1(VALU_DEP_1)
	v_fma_f32 v13, 0xbfb8aa3b, v9, -v10
	v_rndne_f32_e32 v14, v10
	v_dual_fmac_f32 v13, 0xb2a5705f, v9 :: v_dual_sub_f32 v10, v10, v14
	s_delay_alu instid0(VALU_DEP_1) | instskip(SKIP_1) | instid1(VALU_DEP_2)
	v_add_f32_e32 v10, v10, v13
	v_cvt_i32_f32_e32 v13, v14
	v_exp_f32_e32 v10, v10
	s_waitcnt_depctr 0xfff
	v_ldexp_f32 v10, v10, v13
	s_delay_alu instid0(VALU_DEP_1) | instskip(SKIP_1) | instid1(VALU_DEP_2)
	v_cndmask_b32_e32 v10, 0, v10, vcc_lo
	v_cmp_ngt_f32_e32 vcc_lo, 0xc2b17218, v9
	v_cndmask_b32_e32 v9, 0x7f800000, v10, vcc_lo
	s_delay_alu instid0(VALU_DEP_1) | instskip(NEXT) | instid1(VALU_DEP_1)
	v_add_f32_e32 v9, 1.0, v9
	v_div_scale_f32 v10, null, v9, v9, 1.0
	v_div_scale_f32 v19, vcc_lo, 1.0, v9, 1.0
	s_delay_alu instid0(VALU_DEP_2) | instskip(SKIP_2) | instid1(VALU_DEP_1)
	v_rcp_f32_e32 v13, v10
	s_waitcnt_depctr 0xfff
	v_fma_f32 v14, -v10, v13, 1.0
	v_fmac_f32_e32 v13, v14, v13
	v_cndmask_b32_e64 v14, v17, v6, s5
	s_delay_alu instid0(VALU_DEP_2) | instskip(NEXT) | instid1(VALU_DEP_2)
	v_mul_f32_e32 v17, v19, v13
	v_cmp_lt_f32_e64 s6, v14, v7
	s_delay_alu instid0(VALU_DEP_2) | instskip(NEXT) | instid1(VALU_DEP_2)
	v_fma_f32 v20, -v10, v17, v19
	v_cndmask_b32_e64 v14, v14, v7, s6
	s_delay_alu instid0(VALU_DEP_2) | instskip(NEXT) | instid1(VALU_DEP_2)
	v_fmac_f32_e32 v17, v20, v13
	v_cmp_lt_f32_e64 s4, v14, v0
	s_delay_alu instid0(VALU_DEP_2) | instskip(NEXT) | instid1(VALU_DEP_2)
	v_fma_f32 v10, -v10, v17, v19
	v_cndmask_b32_e64 v14, v14, v0, s4
	v_mov_b32_e32 v19, 0
	s_delay_alu instid0(VALU_DEP_3) | instskip(NEXT) | instid1(VALU_DEP_3)
	v_div_fmas_f32 v10, v10, v13, v17
	v_cmp_lt_f32_e64 s3, v14, v1
	s_delay_alu instid0(VALU_DEP_2) | instskip(NEXT) | instid1(VALU_DEP_2)
	v_div_fixup_f32 v9, v10, v9, 1.0
	v_cndmask_b32_e64 v14, v14, v1, s3
	global_store_b32 v[11:12], v9, off offset:28
	v_cmp_lt_f32_e64 s2, v14, v2
	s_delay_alu instid0(VALU_DEP_1) | instskip(NEXT) | instid1(VALU_DEP_1)
	v_cndmask_b32_e64 v14, v14, v2, s2
	v_cmp_lt_f32_e32 vcc_lo, v14, v3
	v_cndmask_b32_e32 v17, v14, v3, vcc_lo
	s_cbranch_scc1 .LBB40_8
; %bb.5:
	v_cndmask_b32_e64 v9, 0, 1, s7
	s_delay_alu instid0(VALU_DEP_2) | instskip(SKIP_2) | instid1(VALU_DEP_4)
	v_sub_f32_e32 v22, v17, v17
	v_mul_lo_u32 v10, v18, s14
	v_mul_lo_u32 v19, v18, s8
	v_cndmask_b32_e64 v9, v9, 2, s5
	s_delay_alu instid0(VALU_DEP_4) | instskip(NEXT) | instid1(VALU_DEP_2)
	v_mul_f32_e32 v11, 0x3fb8aa3b, v22
	v_cndmask_b32_e64 v9, v9, 3, s6
	s_delay_alu instid0(VALU_DEP_2) | instskip(SKIP_1) | instid1(VALU_DEP_3)
	v_rndne_f32_e32 v12, v11
	v_fma_f32 v13, 0x3fb8aa3b, v22, -v11
	v_cndmask_b32_e64 v14, v9, 4, s4
	s_delay_alu instid0(VALU_DEP_3) | instskip(NEXT) | instid1(VALU_DEP_3)
	v_sub_f32_e32 v11, v11, v12
	v_fmac_f32_e32 v13, 0x32a5705f, v22
	v_ashrrev_i32_e32 v9, 31, v8
	s_load_b128 s[4:7], s[0:1], 0x20
	v_cndmask_b32_e64 v20, v14, 5, s3
	v_cvt_i32_f32_e32 v12, v12
	v_add_f32_e32 v21, v11, v13
	v_lshlrev_b64 v[13:14], 2, v[8:9]
	v_ashrrev_i32_e32 v11, 31, v10
	v_cndmask_b32_e64 v9, v20, 6, s2
	v_ashrrev_i32_e32 v20, 31, v19
	v_exp_f32_e32 v21, v21
	s_delay_alu instid0(VALU_DEP_2) | instskip(SKIP_2) | instid1(VALU_DEP_3)
	v_cndmask_b32_e64 v24, v9, 7, vcc_lo
	v_add_co_u32 v13, vcc_lo, s12, v13
	v_add_co_ci_u32_e32 v14, vcc_lo, s13, v14, vcc_lo
	v_cmp_le_i32_e32 vcc_lo, s9, v24
	v_cmp_gt_i32_e64 s0, s10, v24
	v_lshlrev_b64 v[9:10], 2, v[10:11]
	s_delay_alu instid0(TRANS32_DEP_1)
	v_ldexp_f32 v21, v21, v12
	v_lshlrev_b64 v[11:12], 2, v[19:20]
	v_subrev_nc_u32_e32 v19, s9, v24
	s_and_b32 s0, vcc_lo, s0
	v_cmp_ngt_f32_e32 vcc_lo, 0xc2ce8ed0, v22
	v_cndmask_b32_e32 v23, 0, v21, vcc_lo
	s_waitcnt lgkmcnt(0)
	v_add_co_u32 v20, vcc_lo, s4, v9
	v_add_co_ci_u32_e32 v21, vcc_lo, s5, v10, vcc_lo
	s_and_b32 vcc_lo, s17, s0
	s_cmp_eq_u32 s8, 1
	v_cndmask_b32_e32 v25, 8, v19, vcc_lo
	v_cmp_nlt_f32_e32 vcc_lo, 0x42b17218, v22
	v_cndmask_b32_e32 v19, 0x7f800000, v23, vcc_lo
	v_add_co_u32 v22, vcc_lo, s6, v11
	v_add_co_ci_u32_e32 v23, vcc_lo, s7, v12, vcc_lo
	v_cmp_ne_u32_e32 vcc_lo, 7, v24
	global_store_b32 v[13:14], v19, off
	global_store_b32 v[20:21], v25, off
	;; [unrolled: 1-line block ×3, first 2 shown]
	v_cndmask_b32_e32 v3, 0xff800000, v3, vcc_lo
	v_cmp_ne_u32_e32 vcc_lo, 6, v24
	v_cndmask_b32_e32 v2, 0xff800000, v2, vcc_lo
	v_cmp_ne_u32_e32 vcc_lo, 5, v24
	;; [unrolled: 2-line block ×7, first 2 shown]
	v_cndmask_b32_e32 v4, 0xff800000, v4, vcc_lo
	s_cbranch_scc1 .LBB40_8
; %bb.6:
	v_add_co_u32 v11, vcc_lo, v11, s6
	v_add_co_ci_u32_e32 v12, vcc_lo, s7, v12, vcc_lo
	v_add_co_u32 v18, vcc_lo, v9, s4
	v_add_co_ci_u32_e32 v20, vcc_lo, s5, v10, vcc_lo
	s_delay_alu instid0(VALU_DEP_4) | instskip(NEXT) | instid1(VALU_DEP_4)
	v_add_co_u32 v9, vcc_lo, v11, 4
	v_add_co_ci_u32_e32 v10, vcc_lo, 0, v12, vcc_lo
	s_delay_alu instid0(VALU_DEP_4) | instskip(NEXT) | instid1(VALU_DEP_4)
	v_add_co_u32 v11, vcc_lo, v18, 4
	v_add_co_ci_u32_e32 v12, vcc_lo, 0, v20, vcc_lo
	s_add_i32 s18, s18, s16
	v_add_co_u32 v13, vcc_lo, v13, 4
	v_add_co_ci_u32_e32 v14, vcc_lo, 0, v14, vcc_lo
	v_add3_u32 v15, s18, v16, v15
	s_add_i32 s2, s8, -1
.LBB40_7:                               ; =>This Inner Loop Header: Depth=1
	v_cmp_gt_f32_e32 vcc_lo, v5, v4
	s_add_i32 s2, s2, -1
	v_cndmask_b32_e32 v16, v4, v5, vcc_lo
	v_cndmask_b32_e64 v18, 0, 1, vcc_lo
	s_delay_alu instid0(VALU_DEP_2) | instskip(SKIP_1) | instid1(VALU_DEP_3)
	v_cmp_gt_f32_e32 vcc_lo, v6, v16
	v_cndmask_b32_e32 v16, v16, v6, vcc_lo
	v_cndmask_b32_e64 v18, v18, 2, vcc_lo
	s_delay_alu instid0(VALU_DEP_2) | instskip(SKIP_1) | instid1(VALU_DEP_3)
	v_cmp_gt_f32_e32 vcc_lo, v7, v16
	;; [unrolled: 4-line block ×5, first 2 shown]
	v_cndmask_b32_e32 v16, v16, v2, vcc_lo
	v_cndmask_b32_e64 v18, v18, 6, vcc_lo
	s_delay_alu instid0(VALU_DEP_2) | instskip(NEXT) | instid1(VALU_DEP_2)
	v_cmp_gt_f32_e32 vcc_lo, v3, v16
	v_cndmask_b32_e64 v18, v18, 7, vcc_lo
	v_cndmask_b32_e32 v16, v16, v3, vcc_lo
	s_delay_alu instid0(VALU_DEP_2) | instskip(NEXT) | instid1(VALU_DEP_2)
	v_cmp_ne_u32_e64 s1, 7, v18
	v_sub_f32_e32 v16, v16, v17
	v_cmp_le_i32_e32 vcc_lo, s9, v18
	v_cmp_gt_i32_e64 s0, s10, v18
	v_subrev_nc_u32_e32 v21, s9, v18
	v_cndmask_b32_e64 v3, 0xff800000, v3, s1
	v_cmp_ne_u32_e64 s1, 6, v18
	v_mul_f32_e32 v20, 0x3fb8aa3b, v16
	s_and_b32 s0, vcc_lo, s0
	s_delay_alu instid0(SALU_CYCLE_1) | instskip(NEXT) | instid1(VALU_DEP_2)
	s_and_b32 vcc_lo, s17, s0
	v_cndmask_b32_e64 v2, 0xff800000, v2, s1
	v_cndmask_b32_e32 v21, 8, v21, vcc_lo
	v_cmp_ne_u32_e64 s1, 5, v18
	v_rndne_f32_e32 v22, v20
	global_store_b32 v[11:12], v21, off
	global_store_b32 v[9:10], v15, off
	v_cndmask_b32_e64 v1, 0xff800000, v1, s1
	v_cmp_ne_u32_e64 s1, 4, v18
	v_add_co_u32 v9, vcc_lo, v9, 4
	v_add_co_ci_u32_e32 v10, vcc_lo, 0, v10, vcc_lo
	s_delay_alu instid0(VALU_DEP_3) | instskip(SKIP_3) | instid1(VALU_DEP_3)
	v_cndmask_b32_e64 v0, 0xff800000, v0, s1
	v_cmp_ne_u32_e64 s1, 3, v18
	v_add_co_u32 v11, vcc_lo, v11, 4
	v_add_co_ci_u32_e32 v12, vcc_lo, 0, v12, vcc_lo
	v_cndmask_b32_e64 v7, 0xff800000, v7, s1
	v_cmp_ne_u32_e64 s1, 2, v18
	v_cmp_ngt_f32_e32 vcc_lo, 0xc2ce8ed0, v16
	v_add_nc_u32_e32 v15, s16, v15
	s_cmp_eq_u32 s2, 0
	s_delay_alu instid0(VALU_DEP_3) | instskip(SKIP_1) | instid1(VALU_DEP_1)
	v_cndmask_b32_e64 v6, 0xff800000, v6, s1
	v_cmp_ne_u32_e64 s1, 1, v18
	v_cndmask_b32_e64 v5, 0xff800000, v5, s1
	v_cmp_ne_u32_e64 s1, 0, v18
	v_fma_f32 v18, 0x3fb8aa3b, v16, -v20
	v_sub_f32_e32 v20, v20, v22
	v_cvt_i32_f32_e32 v22, v22
	s_delay_alu instid0(VALU_DEP_4) | instskip(NEXT) | instid1(VALU_DEP_4)
	v_cndmask_b32_e64 v4, 0xff800000, v4, s1
	v_fmac_f32_e32 v18, 0x32a5705f, v16
	s_delay_alu instid0(VALU_DEP_1) | instskip(NEXT) | instid1(VALU_DEP_1)
	v_add_f32_e32 v18, v20, v18
	v_exp_f32_e32 v18, v18
	s_waitcnt_depctr 0xfff
	v_ldexp_f32 v18, v18, v22
	s_delay_alu instid0(VALU_DEP_1) | instskip(SKIP_1) | instid1(VALU_DEP_2)
	v_cndmask_b32_e32 v18, 0, v18, vcc_lo
	v_cmp_nlt_f32_e32 vcc_lo, 0x42b17218, v16
	v_cndmask_b32_e32 v16, 0x7f800000, v18, vcc_lo
	s_delay_alu instid0(VALU_DEP_1)
	v_add_f32_e32 v19, v19, v16
	global_store_b32 v[13:14], v16, off
	v_add_co_u32 v13, vcc_lo, v13, 4
	v_add_co_ci_u32_e32 v14, vcc_lo, 0, v14, vcc_lo
	s_cbranch_scc0 .LBB40_7
.LBB40_8:
	s_delay_alu instid0(VALU_DEP_1) | instskip(NEXT) | instid1(VALU_DEP_2)
	v_sub_f32_e32 v6, v6, v17
	v_sub_f32_e32 v4, v4, v17
	;; [unrolled: 1-line block ×4, first 2 shown]
	s_delay_alu instid0(VALU_DEP_4) | instskip(NEXT) | instid1(VALU_DEP_3)
	v_dual_sub_f32 v0, v0, v17 :: v_dual_mul_f32 v11, 0x3fb8aa3b, v6
	v_dual_mul_f32 v9, 0x3fb8aa3b, v4 :: v_dual_mul_f32 v12, 0x3fb8aa3b, v7
	v_cmp_ngt_f32_e32 vcc_lo, 0xc2ce8ed0, v4
	v_sub_f32_e32 v3, v3, v17
	s_delay_alu instid0(VALU_DEP_4) | instskip(NEXT) | instid1(VALU_DEP_4)
	v_fma_f32 v18, 0x3fb8aa3b, v6, -v11
	v_fma_f32 v13, 0x3fb8aa3b, v4, -v9
	v_rndne_f32_e32 v14, v9
	v_mul_f32_e32 v10, 0x3fb8aa3b, v5
	v_rndne_f32_e32 v22, v12
	s_delay_alu instid0(VALU_DEP_4) | instskip(NEXT) | instid1(VALU_DEP_4)
	v_dual_fmac_f32 v18, 0x32a5705f, v6 :: v_dual_fmac_f32 v13, 0x32a5705f, v4
	v_sub_f32_e32 v9, v9, v14
	s_delay_alu instid0(VALU_DEP_4) | instskip(SKIP_4) | instid1(VALU_DEP_4)
	v_fma_f32 v15, 0x3fb8aa3b, v5, -v10
	v_rndne_f32_e32 v16, v10
	v_rndne_f32_e32 v20, v11
	v_sub_f32_e32 v1, v1, v17
	v_sub_f32_e32 v2, v2, v17
	v_dual_fmac_f32 v15, 0x32a5705f, v5 :: v_dual_sub_f32 v10, v10, v16
	v_fma_f32 v21, 0x3fb8aa3b, v7, -v12
	v_dual_sub_f32 v12, v12, v22 :: v_dual_add_f32 v9, v9, v13
	v_cvt_i32_f32_e32 v13, v14
	s_delay_alu instid0(VALU_DEP_4) | instskip(SKIP_1) | instid1(VALU_DEP_4)
	v_add_f32_e32 v10, v10, v15
	v_cvt_i32_f32_e32 v14, v16
	v_exp_f32_e32 v9, v9
	s_delay_alu instid0(VALU_DEP_2) | instskip(SKIP_4) | instid1(VALU_DEP_3)
	v_exp_f32_e32 v10, v10
	s_waitcnt_depctr 0xfff
	v_ldexp_f32 v9, v9, v13
	v_cvt_i32_f32_e32 v13, v20
	v_ldexp_f32 v10, v10, v14
	v_dual_mul_f32 v14, 0x3fb8aa3b, v3 :: v_dual_cndmask_b32 v9, 0, v9
	v_cmp_ngt_f32_e32 vcc_lo, 0xc2ce8ed0, v5
	v_fmac_f32_e32 v21, 0x32a5705f, v7
	s_delay_alu instid0(VALU_DEP_3) | instskip(SKIP_1) | instid1(VALU_DEP_3)
	v_rndne_f32_e32 v15, v14
	v_dual_cndmask_b32 v10, 0, v10 :: v_dual_sub_f32 v11, v11, v20
	v_add_f32_e32 v12, v12, v21
	v_cmp_nlt_f32_e32 vcc_lo, 0x42b17218, v4
	s_delay_alu instid0(VALU_DEP_3) | instskip(NEXT) | instid1(VALU_DEP_3)
	v_add_f32_e32 v11, v11, v18
	v_exp_f32_e32 v12, v12
	v_cndmask_b32_e32 v4, 0x7f800000, v9, vcc_lo
	v_cmp_nlt_f32_e32 vcc_lo, 0x42b17218, v5
	s_delay_alu instid0(VALU_DEP_3) | instskip(SKIP_3) | instid1(VALU_DEP_3)
	v_exp_f32_e32 v11, v11
	v_cndmask_b32_e32 v5, 0x7f800000, v10, vcc_lo
	v_cmp_ngt_f32_e32 vcc_lo, 0xc2ce8ed0, v6
	v_cvt_i32_f32_e32 v10, v22
	v_add_f32_e32 v4, v4, v5
	s_waitcnt_depctr 0xfff
	v_ldexp_f32 v11, v11, v13
	s_delay_alu instid0(VALU_DEP_1) | instskip(SKIP_2) | instid1(VALU_DEP_3)
	v_cndmask_b32_e32 v9, 0, v11, vcc_lo
	v_cmp_nlt_f32_e32 vcc_lo, 0x42b17218, v6
	v_dual_mul_f32 v11, 0x3fb8aa3b, v2 :: v_dual_mul_f32 v6, 0x3fb8aa3b, v0
	v_cndmask_b32_e32 v5, 0x7f800000, v9, vcc_lo
	v_ldexp_f32 v9, v12, v10
	s_delay_alu instid0(VALU_DEP_3)
	v_rndne_f32_e32 v10, v6
	v_cmp_ngt_f32_e32 vcc_lo, 0xc2ce8ed0, v7
	v_fma_f32 v12, 0x3fb8aa3b, v2, -v11
	v_add_f32_e32 v4, v4, v5
	v_fma_f32 v5, 0x3fb8aa3b, v0, -v6
	v_sub_f32_e32 v6, v6, v10
	v_cvt_i32_f32_e32 v10, v10
	v_fmac_f32_e32 v12, 0x32a5705f, v2
	v_rndne_f32_e32 v13, v11
	v_fmac_f32_e32 v5, 0x32a5705f, v0
	v_cndmask_b32_e32 v9, 0, v9, vcc_lo
	v_cmp_nlt_f32_e32 vcc_lo, 0x42b17218, v7
	s_delay_alu instid0(VALU_DEP_3) | instskip(NEXT) | instid1(VALU_DEP_3)
	v_add_f32_e32 v5, v6, v5
	v_cndmask_b32_e32 v7, 0x7f800000, v9, vcc_lo
	v_mul_f32_e32 v9, 0x3fb8aa3b, v1
	v_cmp_ngt_f32_e32 vcc_lo, 0xc2ce8ed0, v0
	s_delay_alu instid0(VALU_DEP_4) | instskip(NEXT) | instid1(VALU_DEP_3)
	v_exp_f32_e32 v5, v5
	v_add_f32_e32 v4, v4, v7
	s_waitcnt_depctr 0xfff
	v_ldexp_f32 v5, v5, v10
	v_sub_f32_e32 v10, v14, v15
	v_fma_f32 v6, 0x3fb8aa3b, v1, -v9
	v_rndne_f32_e32 v7, v9
	s_delay_alu instid0(VALU_DEP_4) | instskip(SKIP_1) | instid1(VALU_DEP_3)
	v_cndmask_b32_e32 v5, 0, v5, vcc_lo
	v_cmp_nlt_f32_e32 vcc_lo, 0x42b17218, v0
	v_dual_fmac_f32 v6, 0x32a5705f, v1 :: v_dual_sub_f32 v9, v9, v7
	v_cvt_i32_f32_e32 v7, v7
	s_delay_alu instid0(VALU_DEP_4) | instskip(SKIP_1) | instid1(VALU_DEP_4)
	v_cndmask_b32_e32 v0, 0x7f800000, v5, vcc_lo
	v_cmp_ngt_f32_e32 vcc_lo, 0xc2ce8ed0, v1
	v_add_f32_e32 v6, v9, v6
	v_cvt_i32_f32_e32 v5, v13
	s_delay_alu instid0(VALU_DEP_4) | instskip(NEXT) | instid1(VALU_DEP_3)
	v_add_f32_e32 v0, v4, v0
	v_exp_f32_e32 v6, v6
	s_waitcnt_depctr 0xfff
	v_ldexp_f32 v6, v6, v7
	v_sub_f32_e32 v9, v11, v13
	v_fma_f32 v11, 0x3fb8aa3b, v3, -v14
	s_delay_alu instid0(VALU_DEP_3) | instskip(SKIP_1) | instid1(VALU_DEP_3)
	v_cndmask_b32_e32 v6, 0, v6, vcc_lo
	v_cmp_nlt_f32_e32 vcc_lo, 0x42b17218, v1
	v_fmac_f32_e32 v11, 0x32a5705f, v3
	s_delay_alu instid0(VALU_DEP_3) | instskip(NEXT) | instid1(VALU_DEP_2)
	v_cndmask_b32_e32 v1, 0x7f800000, v6, vcc_lo
	v_dual_add_f32 v9, v9, v12 :: v_dual_add_f32 v10, v10, v11
	v_cmp_ngt_f32_e32 vcc_lo, 0xc2ce8ed0, v2
	s_delay_alu instid0(VALU_DEP_3) | instskip(NEXT) | instid1(VALU_DEP_3)
	v_add_f32_e32 v0, v0, v1
	v_exp_f32_e32 v9, v9
	s_delay_alu instid0(VALU_DEP_3) | instskip(SKIP_3) | instid1(VALU_DEP_2)
	v_exp_f32_e32 v7, v10
	s_waitcnt_depctr 0xfff
	v_ldexp_f32 v4, v9, v5
	v_cvt_i32_f32_e32 v5, v15
	v_cndmask_b32_e32 v4, 0, v4, vcc_lo
	v_cmp_nlt_f32_e32 vcc_lo, 0x42b17218, v2
	s_delay_alu instid0(VALU_DEP_3) | instskip(NEXT) | instid1(VALU_DEP_3)
	v_ldexp_f32 v5, v7, v5
	v_cndmask_b32_e32 v1, 0x7f800000, v4, vcc_lo
	v_cmp_ngt_f32_e32 vcc_lo, 0xc2ce8ed0, v3
	s_delay_alu instid0(VALU_DEP_3) | instskip(SKIP_1) | instid1(VALU_DEP_2)
	v_cndmask_b32_e32 v2, 0, v5, vcc_lo
	v_cmp_nlt_f32_e32 vcc_lo, 0x42b17218, v3
	v_dual_add_f32 v0, v0, v1 :: v_dual_cndmask_b32 v1, 0x7f800000, v2
	s_delay_alu instid0(VALU_DEP_1) | instskip(NEXT) | instid1(VALU_DEP_1)
	v_add_f32_e32 v0, v0, v1
	v_add_f32_e32 v0, v19, v0
	s_delay_alu instid0(VALU_DEP_1)
	v_cmp_neq_f32_e32 vcc_lo, 0, v0
	s_and_b32 exec_lo, exec_lo, vcc_lo
	s_cbranch_execz .LBB40_12
; %bb.9:
	s_and_not1_b32 vcc_lo, exec_lo, s11
	s_cbranch_vccnz .LBB40_12
; %bb.10:
	v_div_scale_f32 v1, null, v0, v0, 1.0
	v_div_scale_f32 v4, vcc_lo, 1.0, v0, 1.0
	v_ashrrev_i32_e32 v9, 31, v8
	s_delay_alu instid0(VALU_DEP_3) | instskip(SKIP_2) | instid1(VALU_DEP_1)
	v_rcp_f32_e32 v2, v1
	s_waitcnt_depctr 0xfff
	v_fma_f32 v3, -v1, v2, 1.0
	v_fmac_f32_e32 v2, v3, v2
	s_delay_alu instid0(VALU_DEP_1) | instskip(NEXT) | instid1(VALU_DEP_1)
	v_mul_f32_e32 v3, v4, v2
	v_fma_f32 v5, -v1, v3, v4
	s_delay_alu instid0(VALU_DEP_1) | instskip(NEXT) | instid1(VALU_DEP_1)
	v_fmac_f32_e32 v3, v5, v2
	v_fma_f32 v1, -v1, v3, v4
	s_delay_alu instid0(VALU_DEP_1) | instskip(SKIP_1) | instid1(VALU_DEP_2)
	v_div_fmas_f32 v1, v1, v2, v3
	v_lshlrev_b64 v[3:4], 2, v[8:9]
	v_div_fixup_f32 v2, v1, v0, 1.0
	s_delay_alu instid0(VALU_DEP_2) | instskip(NEXT) | instid1(VALU_DEP_3)
	v_add_co_u32 v0, vcc_lo, s12, v3
	v_add_co_ci_u32_e32 v1, vcc_lo, s13, v4, vcc_lo
.LBB40_11:                              ; =>This Inner Loop Header: Depth=1
	global_load_b32 v3, v[0:1], off
	s_add_i32 s8, s8, -1
	s_delay_alu instid0(SALU_CYCLE_1)
	s_cmp_lg_u32 s8, 0
	s_waitcnt vmcnt(0)
	v_mul_f32_e32 v3, v2, v3
	global_store_b32 v[0:1], v3, off
	v_add_co_u32 v0, vcc_lo, v0, 4
	v_add_co_ci_u32_e32 v1, vcc_lo, 0, v1, vcc_lo
	s_cbranch_scc1 .LBB40_11
.LBB40_12:
	s_nop 0
	s_sendmsg sendmsg(MSG_DEALLOC_VGPRS)
	s_endpgm
	.section	.rodata,"a",@progbits
	.p2align	6, 0x0
	.amdhsa_kernel _ZN4vllm3moe17topkGatingSoftmaxIfLi8ELi8ELi8ELi32ELb0ELi8ELNS0_23SharedExpertScoringFuncE1EEEvPKT_PKbPfiPiS9_iiiiii
		.amdhsa_group_segment_fixed_size 0
		.amdhsa_private_segment_fixed_size 0
		.amdhsa_kernarg_size 72
		.amdhsa_user_sgpr_count 15
		.amdhsa_user_sgpr_dispatch_ptr 0
		.amdhsa_user_sgpr_queue_ptr 0
		.amdhsa_user_sgpr_kernarg_segment_ptr 1
		.amdhsa_user_sgpr_dispatch_id 0
		.amdhsa_user_sgpr_private_segment_size 0
		.amdhsa_wavefront_size32 1
		.amdhsa_uses_dynamic_stack 0
		.amdhsa_enable_private_segment 0
		.amdhsa_system_sgpr_workgroup_id_x 1
		.amdhsa_system_sgpr_workgroup_id_y 0
		.amdhsa_system_sgpr_workgroup_id_z 0
		.amdhsa_system_sgpr_workgroup_info 0
		.amdhsa_system_vgpr_workitem_id 1
		.amdhsa_next_free_vgpr 26
		.amdhsa_next_free_sgpr 19
		.amdhsa_reserve_vcc 1
		.amdhsa_float_round_mode_32 0
		.amdhsa_float_round_mode_16_64 0
		.amdhsa_float_denorm_mode_32 3
		.amdhsa_float_denorm_mode_16_64 3
		.amdhsa_dx10_clamp 1
		.amdhsa_ieee_mode 1
		.amdhsa_fp16_overflow 0
		.amdhsa_workgroup_processor_mode 1
		.amdhsa_memory_ordered 1
		.amdhsa_forward_progress 0
		.amdhsa_shared_vgpr_count 0
		.amdhsa_exception_fp_ieee_invalid_op 0
		.amdhsa_exception_fp_denorm_src 0
		.amdhsa_exception_fp_ieee_div_zero 0
		.amdhsa_exception_fp_ieee_overflow 0
		.amdhsa_exception_fp_ieee_underflow 0
		.amdhsa_exception_fp_ieee_inexact 0
		.amdhsa_exception_int_div_zero 0
	.end_amdhsa_kernel
	.section	.text._ZN4vllm3moe17topkGatingSoftmaxIfLi8ELi8ELi8ELi32ELb0ELi8ELNS0_23SharedExpertScoringFuncE1EEEvPKT_PKbPfiPiS9_iiiiii,"axG",@progbits,_ZN4vllm3moe17topkGatingSoftmaxIfLi8ELi8ELi8ELi32ELb0ELi8ELNS0_23SharedExpertScoringFuncE1EEEvPKT_PKbPfiPiS9_iiiiii,comdat
.Lfunc_end40:
	.size	_ZN4vllm3moe17topkGatingSoftmaxIfLi8ELi8ELi8ELi32ELb0ELi8ELNS0_23SharedExpertScoringFuncE1EEEvPKT_PKbPfiPiS9_iiiiii, .Lfunc_end40-_ZN4vllm3moe17topkGatingSoftmaxIfLi8ELi8ELi8ELi32ELb0ELi8ELNS0_23SharedExpertScoringFuncE1EEEvPKT_PKbPfiPiS9_iiiiii
                                        ; -- End function
	.section	.AMDGPU.csdata,"",@progbits
; Kernel info:
; codeLenInByte = 4280
; NumSgprs: 21
; NumVgprs: 26
; ScratchSize: 0
; MemoryBound: 0
; FloatMode: 240
; IeeeMode: 1
; LDSByteSize: 0 bytes/workgroup (compile time only)
; SGPRBlocks: 2
; VGPRBlocks: 3
; NumSGPRsForWavesPerEU: 21
; NumVGPRsForWavesPerEU: 26
; Occupancy: 16
; WaveLimiterHint : 0
; COMPUTE_PGM_RSRC2:SCRATCH_EN: 0
; COMPUTE_PGM_RSRC2:USER_SGPR: 15
; COMPUTE_PGM_RSRC2:TRAP_HANDLER: 0
; COMPUTE_PGM_RSRC2:TGID_X_EN: 1
; COMPUTE_PGM_RSRC2:TGID_Y_EN: 0
; COMPUTE_PGM_RSRC2:TGID_Z_EN: 0
; COMPUTE_PGM_RSRC2:TIDIG_COMP_CNT: 1
	.section	.text._ZN4vllm3moe17topkGatingSoftmaxIfLi8ELi16ELi8ELi32ELb1ELi0ELNS0_23SharedExpertScoringFuncE0EEEvPKT_PKbPfiPiS9_iiiiii,"axG",@progbits,_ZN4vllm3moe17topkGatingSoftmaxIfLi8ELi16ELi8ELi32ELb1ELi0ELNS0_23SharedExpertScoringFuncE0EEEvPKT_PKbPfiPiS9_iiiiii,comdat
	.protected	_ZN4vllm3moe17topkGatingSoftmaxIfLi8ELi16ELi8ELi32ELb1ELi0ELNS0_23SharedExpertScoringFuncE0EEEvPKT_PKbPfiPiS9_iiiiii ; -- Begin function _ZN4vllm3moe17topkGatingSoftmaxIfLi8ELi16ELi8ELi32ELb1ELi0ELNS0_23SharedExpertScoringFuncE0EEEvPKT_PKbPfiPiS9_iiiiii
	.globl	_ZN4vllm3moe17topkGatingSoftmaxIfLi8ELi16ELi8ELi32ELb1ELi0ELNS0_23SharedExpertScoringFuncE0EEEvPKT_PKbPfiPiS9_iiiiii
	.p2align	8
	.type	_ZN4vllm3moe17topkGatingSoftmaxIfLi8ELi16ELi8ELi32ELb1ELi0ELNS0_23SharedExpertScoringFuncE0EEEvPKT_PKbPfiPiS9_iiiiii,@function
_ZN4vllm3moe17topkGatingSoftmaxIfLi8ELi16ELi8ELi32ELb1ELi0ELNS0_23SharedExpertScoringFuncE0EEEvPKT_PKbPfiPiS9_iiiiii: ; @_ZN4vllm3moe17topkGatingSoftmaxIfLi8ELi16ELi8ELi32ELb1ELi0ELNS0_23SharedExpertScoringFuncE0EEEvPKT_PKbPfiPiS9_iiiiii
; %bb.0:
	s_load_b32 s3, s[0:1], 0x18
	v_bfe_u32 v1, v0, 10, 10
	v_and_b32_e32 v0, 0x3ff, v0
	s_lshl_b32 s17, s15, 7
	s_mov_b32 s2, exec_lo
	s_delay_alu instid0(VALU_DEP_2) | instskip(NEXT) | instid1(VALU_DEP_2)
	v_lshlrev_b32_e32 v26, 4, v1
	v_lshrrev_b32_e32 v27, 1, v0
	s_delay_alu instid0(VALU_DEP_1) | instskip(SKIP_1) | instid1(VALU_DEP_1)
	v_add3_u32 v15, s17, v26, v27
	s_waitcnt lgkmcnt(0)
	v_cmpx_gt_i32_e64 s3, v15
	s_cbranch_execz .LBB41_20
; %bb.1:
	s_clause 0x1
	s_load_b128 s[4:7], s[0:1], 0x0
	s_load_b64 s[12:13], s[0:1], 0x10
	s_waitcnt lgkmcnt(0)
	s_cmp_eq_u64 s[6:7], 0
	s_cbranch_scc1 .LBB41_3
; %bb.2:
	v_ashrrev_i32_e32 v2, 31, v15
	v_add_co_u32 v1, vcc_lo, s6, v15
	s_delay_alu instid0(VALU_DEP_2) | instskip(SKIP_3) | instid1(VALU_DEP_1)
	v_add_co_ci_u32_e32 v2, vcc_lo, s7, v2, vcc_lo
	global_load_u8 v1, v[1:2], off
	s_waitcnt vmcnt(0)
	v_and_b32_e32 v1, 1, v1
	v_cmp_eq_u32_e32 vcc_lo, 1, v1
	s_xor_b32 s2, vcc_lo, -1
	s_delay_alu instid0(SALU_CYCLE_1)
	s_or_not1_b32 s16, s2, exec_lo
	s_branch .LBB41_4
.LBB41_3:
	s_mov_b32 s16, -1
.LBB41_4:
	s_load_b64 s[14:15], s[0:1], 0x40
	v_and_b32_e32 v16, 1, v0
	v_mov_b32_e32 v14, 0
	s_waitcnt lgkmcnt(0)
	v_mul_lo_u32 v1, v15, s15
	s_delay_alu instid0(VALU_DEP_1) | instskip(NEXT) | instid1(VALU_DEP_1)
	v_ashrrev_i32_e32 v2, 31, v1
	v_lshlrev_b64 v[0:1], 2, v[1:2]
	v_lshlrev_b32_e32 v2, 5, v16
	s_delay_alu instid0(VALU_DEP_2) | instskip(NEXT) | instid1(VALU_DEP_3)
	v_add_co_u32 v0, vcc_lo, s4, v0
	v_add_co_ci_u32_e32 v1, vcc_lo, s5, v1, vcc_lo
	s_load_b128 s[4:7], s[0:1], 0x30
	s_delay_alu instid0(VALU_DEP_2) | instskip(NEXT) | instid1(VALU_DEP_2)
	v_add_co_u32 v4, vcc_lo, v0, v2
	v_add_co_ci_u32_e32 v5, vcc_lo, 0, v1, vcc_lo
	s_clause 0x1
	global_load_b128 v[0:3], v[4:5], off
	global_load_b128 v[4:7], v[4:5], off offset:16
	s_waitcnt lgkmcnt(0)
	s_cmp_gt_i32 s4, 0
	s_cselect_b32 s15, -1, 0
	s_cmp_lt_i32 s4, 1
	s_waitcnt vmcnt(1)
	v_cmp_lt_f32_e32 vcc_lo, v0, v1
	v_cndmask_b32_e32 v9, v0, v1, vcc_lo
	v_lshlrev_b32_e32 v17, 3, v16
	s_delay_alu instid0(VALU_DEP_1) | instskip(SKIP_1) | instid1(VALU_DEP_2)
	v_or_b32_e32 v18, 1, v17
	v_or_b32_e32 v19, 2, v17
	v_cndmask_b32_e32 v8, v17, v18, vcc_lo
	v_cmp_lt_f32_e32 vcc_lo, v9, v2
	s_delay_alu instid0(VALU_DEP_2)
	v_cndmask_b32_e32 v8, v8, v19, vcc_lo
	v_or_b32_e32 v20, 3, v17
	v_cndmask_b32_e32 v9, v9, v2, vcc_lo
	v_or_b32_e32 v21, 4, v17
	v_or_b32_e32 v22, 5, v17
	;; [unrolled: 1-line block ×4, first 2 shown]
	v_cmp_lt_f32_e32 vcc_lo, v9, v3
	v_dual_cndmask_b32 v8, v8, v20 :: v_dual_cndmask_b32 v9, v9, v3
	s_waitcnt vmcnt(0)
	s_delay_alu instid0(VALU_DEP_1) | instskip(NEXT) | instid1(VALU_DEP_2)
	v_cmp_lt_f32_e32 vcc_lo, v9, v4
	v_dual_cndmask_b32 v8, v8, v21 :: v_dual_cndmask_b32 v9, v9, v4
	s_delay_alu instid0(VALU_DEP_1) | instskip(NEXT) | instid1(VALU_DEP_2)
	v_cmp_lt_f32_e32 vcc_lo, v9, v5
	v_dual_cndmask_b32 v8, v8, v22 :: v_dual_cndmask_b32 v9, v9, v5
	;; [unrolled: 3-line block ×3, first 2 shown]
	s_delay_alu instid0(VALU_DEP_1) | instskip(NEXT) | instid1(VALU_DEP_2)
	v_cmp_lt_f32_e32 vcc_lo, v9, v7
	v_cndmask_b32_e32 v8, v8, v24, vcc_lo
	v_cndmask_b32_e32 v10, v9, v7, vcc_lo
	v_cmp_eq_u32_e32 vcc_lo, 0, v16
	s_delay_alu instid0(VALU_DEP_3) | instskip(NEXT) | instid1(VALU_DEP_3)
	v_mov_b32_dpp v12, v8 quad_perm:[1,0,3,2] row_mask:0xf bank_mask:0xf
	v_mov_b32_dpp v25, v10 quad_perm:[1,0,3,2] row_mask:0xf bank_mask:0xf
	s_cbranch_scc1 .LBB41_16
; %bb.5:
	s_load_b128 s[8:11], s[0:1], 0x20
	s_delay_alu instid0(VALU_DEP_1)
	v_cmp_eq_f32_e64 s0, v10, v25
	v_cmp_lt_i32_e64 s1, v12, v8
	v_cmp_lt_f32_e64 s2, v10, v25
	v_mul_lo_u32 v9, v15, s7
	v_mul_lo_u32 v11, v15, s14
	;; [unrolled: 1-line block ×3, first 2 shown]
	s_and_b32 s0, s0, s1
	v_mov_b32_e32 v14, 0
	s_or_b32 s0, s2, s0
	s_delay_alu instid0(SALU_CYCLE_1)
	v_cndmask_b32_e64 v8, v8, v12, s0
	v_cndmask_b32_e64 v25, v10, v25, s0
	s_and_saveexec_b32 s2, vcc_lo
	s_cbranch_execz .LBB41_7
; %bb.6:
	s_delay_alu instid0(VALU_DEP_1)
	v_sub_f32_e32 v34, v25, v25
	v_cmp_le_i32_e64 s0, s5, v8
	v_cmp_gt_i32_e64 s1, s6, v8
	v_subrev_nc_u32_e32 v35, s5, v8
	v_ashrrev_i32_e32 v14, 31, v13
	v_mul_f32_e32 v10, 0x3fb8aa3b, v34
	s_delay_alu instid0(VALU_DEP_4) | instskip(NEXT) | instid1(SALU_CYCLE_1)
	s_and_b32 s0, s0, s1
	s_and_b32 s0, s16, s0
	s_delay_alu instid0(VALU_DEP_1) | instskip(SKIP_2) | instid1(VALU_DEP_3)
	v_rndne_f32_e32 v30, v10
	v_fma_f32 v12, 0x3fb8aa3b, v34, -v10
	v_lshlrev_b64 v[32:33], 2, v[13:14]
	v_sub_f32_e32 v10, v10, v30
	s_delay_alu instid0(VALU_DEP_3) | instskip(NEXT) | instid1(VALU_DEP_1)
	v_fmamk_f32 v12, v34, 0x32a5705f, v12
	v_add_f32_e32 v12, v10, v12
	v_ashrrev_i32_e32 v10, 31, v9
	s_delay_alu instid0(VALU_DEP_2) | instskip(NEXT) | instid1(VALU_DEP_1)
	v_exp_f32_e32 v36, v12
	v_lshlrev_b64 v[28:29], 2, v[9:10]
	v_ashrrev_i32_e32 v12, 31, v11
	v_cvt_i32_f32_e32 v10, v30
	s_delay_alu instid0(VALU_DEP_2) | instskip(SKIP_2) | instid1(VALU_DEP_1)
	v_lshlrev_b64 v[30:31], 2, v[11:12]
	v_cndmask_b32_e64 v12, 16, v35, s0
	v_add_co_u32 v28, s0, s12, v28
	v_add_co_ci_u32_e64 v29, s0, s13, v29, s0
	s_delay_alu instid0(TRANS32_DEP_1) | instskip(SKIP_1) | instid1(VALU_DEP_1)
	v_ldexp_f32 v10, v36, v10
	v_cmp_ngt_f32_e64 s0, 0xc2ce8ed0, v34
	v_cndmask_b32_e64 v10, 0, v10, s0
	s_waitcnt lgkmcnt(0)
	v_add_co_u32 v30, s0, s8, v30
	s_delay_alu instid0(VALU_DEP_1) | instskip(SKIP_1) | instid1(VALU_DEP_1)
	v_add_co_ci_u32_e64 v31, s0, s9, v31, s0
	v_cmp_nlt_f32_e64 s0, 0x42b17218, v34
	v_cndmask_b32_e64 v14, 0x7f800000, v10, s0
	v_add_co_u32 v32, s0, s10, v32
	s_delay_alu instid0(VALU_DEP_1)
	v_add_co_ci_u32_e64 v33, s0, s11, v33, s0
	global_store_b32 v[30:31], v12, off
	global_store_b32 v[28:29], v14, off
	;; [unrolled: 1-line block ×3, first 2 shown]
.LBB41_7:
	s_or_b32 exec_lo, exec_lo, s2
	v_ashrrev_i32_e32 v12, 31, v8
	s_mov_b32 s1, exec_lo
	s_delay_alu instid0(VALU_DEP_1) | instskip(NEXT) | instid1(VALU_DEP_1)
	v_lshrrev_b32_e32 v10, 29, v12
	v_add_nc_u32_e32 v28, v8, v10
	s_delay_alu instid0(VALU_DEP_1) | instskip(SKIP_1) | instid1(VALU_DEP_1)
	v_ashrrev_i32_e32 v10, 3, v28
	v_lshrrev_b32_e32 v28, 31, v28
	v_add_nc_u32_e32 v28, v10, v28
	s_delay_alu instid0(VALU_DEP_1) | instskip(NEXT) | instid1(VALU_DEP_1)
	v_and_b32_e32 v28, -2, v28
	v_sub_nc_u32_e32 v28, v10, v28
	s_delay_alu instid0(VALU_DEP_1)
	v_cmpx_eq_u32_e64 v16, v28
	s_cbranch_execz .LBB41_9
; %bb.8:
	v_lshrrev_b32_e32 v12, 28, v12
	v_lshlrev_b32_e32 v10, 3, v10
	s_delay_alu instid0(VALU_DEP_2) | instskip(NEXT) | instid1(VALU_DEP_2)
	v_add_nc_u32_e32 v12, v8, v12
	v_sub_nc_u32_e32 v8, v8, v10
	s_delay_alu instid0(VALU_DEP_2) | instskip(NEXT) | instid1(VALU_DEP_1)
	v_ashrrev_i32_e32 v10, 4, v12
	v_lshl_add_u32 v8, v10, 3, v8
	s_delay_alu instid0(VALU_DEP_1) | instskip(NEXT) | instid1(VALU_DEP_1)
	v_cmp_ne_u32_e64 s0, 7, v8
	v_cndmask_b32_e64 v7, 0xff800000, v7, s0
	v_cmp_ne_u32_e64 s0, 6, v8
	s_delay_alu instid0(VALU_DEP_1) | instskip(SKIP_1) | instid1(VALU_DEP_1)
	v_cndmask_b32_e64 v6, 0xff800000, v6, s0
	v_cmp_ne_u32_e64 s0, 5, v8
	v_cndmask_b32_e64 v5, 0xff800000, v5, s0
	v_cmp_ne_u32_e64 s0, 4, v8
	s_delay_alu instid0(VALU_DEP_1) | instskip(SKIP_1) | instid1(VALU_DEP_1)
	v_cndmask_b32_e64 v4, 0xff800000, v4, s0
	;; [unrolled: 5-line block ×3, first 2 shown]
	v_cmp_ne_u32_e64 s0, 1, v8
	v_cndmask_b32_e64 v1, 0xff800000, v1, s0
	v_cmp_ne_u32_e64 s0, 0, v8
	s_delay_alu instid0(VALU_DEP_1)
	v_cndmask_b32_e64 v0, 0xff800000, v0, s0
.LBB41_9:
	s_or_b32 exec_lo, exec_lo, s1
	s_cmp_eq_u32 s4, 1
	s_cbranch_scc1 .LBB41_16
; %bb.10:
	s_add_i32 s17, s17, s3
	v_add_nc_u32_e32 v8, 1, v13
	v_add3_u32 v26, s17, v27, v26
	v_add_nc_u32_e32 v10, 1, v11
	v_add_nc_u32_e32 v12, 1, v9
	s_add_i32 s14, s4, -1
	s_branch .LBB41_12
.LBB41_11:                              ;   in Loop: Header=BB41_12 Depth=1
	s_or_b32 exec_lo, exec_lo, s1
	v_add_nc_u32_e32 v26, s3, v26
	v_add_nc_u32_e32 v8, 1, v8
	;; [unrolled: 1-line block ×4, first 2 shown]
	s_add_i32 s14, s14, -1
	s_delay_alu instid0(SALU_CYCLE_1)
	s_cmp_eq_u32 s14, 0
	s_cbranch_scc1 .LBB41_16
.LBB41_12:                              ; =>This Inner Loop Header: Depth=1
	v_cmp_gt_f32_e64 s0, v1, v0
	s_delay_alu instid0(VALU_DEP_1) | instskip(SKIP_1) | instid1(VALU_DEP_2)
	v_cndmask_b32_e64 v11, v0, v1, s0
	v_cndmask_b32_e64 v9, v17, v18, s0
	v_cmp_gt_f32_e64 s0, v2, v11
	s_delay_alu instid0(VALU_DEP_1) | instskip(NEXT) | instid1(VALU_DEP_3)
	v_cndmask_b32_e64 v11, v11, v2, s0
	v_cndmask_b32_e64 v9, v9, v19, s0
	s_delay_alu instid0(VALU_DEP_2) | instskip(NEXT) | instid1(VALU_DEP_1)
	v_cmp_gt_f32_e64 s0, v3, v11
	v_cndmask_b32_e64 v11, v11, v3, s0
	s_delay_alu instid0(VALU_DEP_3) | instskip(NEXT) | instid1(VALU_DEP_2)
	v_cndmask_b32_e64 v9, v9, v20, s0
	v_cmp_gt_f32_e64 s0, v4, v11
	s_delay_alu instid0(VALU_DEP_1) | instskip(NEXT) | instid1(VALU_DEP_3)
	v_cndmask_b32_e64 v11, v11, v4, s0
	v_cndmask_b32_e64 v9, v9, v21, s0
	s_delay_alu instid0(VALU_DEP_2) | instskip(NEXT) | instid1(VALU_DEP_1)
	v_cmp_gt_f32_e64 s0, v5, v11
	v_cndmask_b32_e64 v11, v11, v5, s0
	s_delay_alu instid0(VALU_DEP_3) | instskip(NEXT) | instid1(VALU_DEP_2)
	v_cndmask_b32_e64 v9, v9, v22, s0
	v_cmp_gt_f32_e64 s0, v6, v11
	s_delay_alu instid0(VALU_DEP_1) | instskip(NEXT) | instid1(VALU_DEP_3)
	v_cndmask_b32_e64 v11, v11, v6, s0
	v_cndmask_b32_e64 v9, v9, v23, s0
	s_delay_alu instid0(VALU_DEP_2) | instskip(NEXT) | instid1(VALU_DEP_1)
	v_cmp_gt_f32_e64 s0, v7, v11
	v_cndmask_b32_e64 v13, v9, v24, s0
	v_cndmask_b32_e64 v9, v11, v7, s0
	s_delay_alu instid0(VALU_DEP_2) | instskip(NEXT) | instid1(VALU_DEP_2)
	v_mov_b32_dpp v27, v13 quad_perm:[1,0,3,2] row_mask:0xf bank_mask:0xf
	v_mov_b32_dpp v11, v9 quad_perm:[1,0,3,2] row_mask:0xf bank_mask:0xf
	s_delay_alu instid0(VALU_DEP_2) | instskip(NEXT) | instid1(VALU_DEP_2)
	v_cmp_lt_i32_e64 s0, v27, v13
	v_cmp_eq_f32_e64 s1, v9, v11
	v_cmp_lt_f32_e64 s2, v9, v11
	s_delay_alu instid0(VALU_DEP_2)
	s_and_b32 s0, s1, s0
	s_delay_alu instid0(VALU_DEP_1) | instid1(SALU_CYCLE_1)
	s_or_b32 s0, s2, s0
	s_delay_alu instid0(SALU_CYCLE_1)
	v_cndmask_b32_e64 v27, v13, v27, s0
	s_and_saveexec_b32 s2, vcc_lo
	s_cbranch_execz .LBB41_14
; %bb.13:                               ;   in Loop: Header=BB41_12 Depth=1
	v_cndmask_b32_e64 v9, v9, v11, s0
	s_delay_alu instid0(VALU_DEP_2) | instskip(SKIP_4) | instid1(VALU_DEP_4)
	v_cmp_le_i32_e64 s0, s5, v27
	v_cmp_gt_i32_e64 s1, s6, v27
	v_ashrrev_i32_e32 v13, 31, v12
	v_subrev_nc_u32_e32 v35, s5, v27
	v_sub_f32_e32 v34, v9, v25
	s_and_b32 s0, s0, s1
	s_delay_alu instid0(SALU_CYCLE_1) | instskip(NEXT) | instid1(VALU_DEP_1)
	s_and_b32 s0, s16, s0
	v_mul_f32_e32 v9, 0x3fb8aa3b, v34
	s_delay_alu instid0(VALU_DEP_1) | instskip(SKIP_1) | instid1(VALU_DEP_2)
	v_fma_f32 v11, 0x3fb8aa3b, v34, -v9
	v_rndne_f32_e32 v28, v9
	v_fmac_f32_e32 v11, 0x32a5705f, v34
	s_delay_alu instid0(VALU_DEP_2) | instskip(SKIP_2) | instid1(VALU_DEP_3)
	v_sub_f32_e32 v9, v9, v28
	v_cvt_i32_f32_e32 v33, v28
	v_lshlrev_b64 v[28:29], 2, v[12:13]
	v_add_f32_e32 v9, v9, v11
	v_ashrrev_i32_e32 v11, 31, v10
	s_delay_alu instid0(VALU_DEP_2) | instskip(SKIP_1) | instid1(VALU_DEP_2)
	v_exp_f32_e32 v32, v9
	v_ashrrev_i32_e32 v9, 31, v8
	v_lshlrev_b64 v[30:31], 2, v[10:11]
	s_waitcnt_depctr 0xfff
	v_ldexp_f32 v11, v32, v33
	v_lshlrev_b64 v[32:33], 2, v[8:9]
	v_cndmask_b32_e64 v9, 16, v35, s0
	v_cmp_ngt_f32_e64 s0, 0xc2ce8ed0, v34
	s_delay_alu instid0(VALU_DEP_1) | instskip(SKIP_1) | instid1(VALU_DEP_1)
	v_cndmask_b32_e64 v11, 0, v11, s0
	v_add_co_u32 v28, s0, s12, v28
	v_add_co_ci_u32_e64 v29, s0, s13, v29, s0
	v_cmp_nlt_f32_e64 s0, 0x42b17218, v34
	s_delay_alu instid0(VALU_DEP_1) | instskip(SKIP_2) | instid1(VALU_DEP_1)
	v_cndmask_b32_e64 v11, 0x7f800000, v11, s0
	s_waitcnt lgkmcnt(0)
	v_add_co_u32 v30, s0, s8, v30
	v_add_co_ci_u32_e64 v31, s0, s9, v31, s0
	s_delay_alu instid0(VALU_DEP_3) | instskip(SKIP_1) | instid1(VALU_DEP_1)
	v_add_f32_e32 v14, v14, v11
	v_add_co_u32 v32, s0, s10, v32
	v_add_co_ci_u32_e64 v33, s0, s11, v33, s0
	global_store_b32 v[28:29], v11, off
	global_store_b32 v[30:31], v9, off
	;; [unrolled: 1-line block ×3, first 2 shown]
.LBB41_14:                              ;   in Loop: Header=BB41_12 Depth=1
	s_or_b32 exec_lo, exec_lo, s2
	s_delay_alu instid0(VALU_DEP_1) | instskip(SKIP_1) | instid1(VALU_DEP_1)
	v_ashrrev_i32_e32 v11, 31, v27
	s_mov_b32 s1, exec_lo
	v_lshrrev_b32_e32 v9, 29, v11
	s_delay_alu instid0(VALU_DEP_1) | instskip(NEXT) | instid1(VALU_DEP_1)
	v_add_nc_u32_e32 v13, v27, v9
	v_ashrrev_i32_e32 v9, 3, v13
	v_lshrrev_b32_e32 v13, 31, v13
	s_delay_alu instid0(VALU_DEP_1) | instskip(NEXT) | instid1(VALU_DEP_1)
	v_add_nc_u32_e32 v13, v9, v13
	v_and_b32_e32 v13, -2, v13
	s_delay_alu instid0(VALU_DEP_1) | instskip(NEXT) | instid1(VALU_DEP_1)
	v_sub_nc_u32_e32 v13, v9, v13
	v_cmpx_eq_u32_e64 v16, v13
	s_cbranch_execz .LBB41_11
; %bb.15:                               ;   in Loop: Header=BB41_12 Depth=1
	v_lshrrev_b32_e32 v11, 28, v11
	v_lshlrev_b32_e32 v9, 3, v9
	s_delay_alu instid0(VALU_DEP_2) | instskip(NEXT) | instid1(VALU_DEP_2)
	v_add_nc_u32_e32 v11, v27, v11
	v_sub_nc_u32_e32 v9, v27, v9
	s_delay_alu instid0(VALU_DEP_2) | instskip(NEXT) | instid1(VALU_DEP_1)
	v_ashrrev_i32_e32 v11, 4, v11
	v_lshl_add_u32 v9, v11, 3, v9
	s_delay_alu instid0(VALU_DEP_1) | instskip(NEXT) | instid1(VALU_DEP_1)
	v_cmp_ne_u32_e64 s0, 7, v9
	v_cndmask_b32_e64 v7, 0xff800000, v7, s0
	v_cmp_ne_u32_e64 s0, 6, v9
	s_delay_alu instid0(VALU_DEP_1) | instskip(SKIP_1) | instid1(VALU_DEP_1)
	v_cndmask_b32_e64 v6, 0xff800000, v6, s0
	v_cmp_ne_u32_e64 s0, 5, v9
	v_cndmask_b32_e64 v5, 0xff800000, v5, s0
	v_cmp_ne_u32_e64 s0, 4, v9
	s_delay_alu instid0(VALU_DEP_1) | instskip(SKIP_1) | instid1(VALU_DEP_1)
	v_cndmask_b32_e64 v4, 0xff800000, v4, s0
	;; [unrolled: 5-line block ×3, first 2 shown]
	v_cmp_ne_u32_e64 s0, 1, v9
	v_cndmask_b32_e64 v1, 0xff800000, v1, s0
	v_cmp_ne_u32_e64 s0, 0, v9
	s_delay_alu instid0(VALU_DEP_1)
	v_cndmask_b32_e64 v0, 0xff800000, v0, s0
	s_branch .LBB41_11
.LBB41_16:
	v_cmp_eq_u32_e32 vcc_lo, 0, v16
	v_cmp_neq_f32_e64 s0, 0, v14
	s_delay_alu instid0(VALU_DEP_1) | instskip(NEXT) | instid1(SALU_CYCLE_1)
	s_and_b32 s0, vcc_lo, s0
	s_and_b32 exec_lo, exec_lo, s0
	s_cbranch_execz .LBB41_20
; %bb.17:
	s_and_not1_b32 vcc_lo, exec_lo, s15
	s_cbranch_vccnz .LBB41_20
; %bb.18:
	v_div_scale_f32 v1, null, v14, v14, 1.0
	v_div_scale_f32 v3, vcc_lo, 1.0, v14, 1.0
	s_delay_alu instid0(VALU_DEP_2) | instskip(SKIP_2) | instid1(VALU_DEP_1)
	v_rcp_f32_e32 v2, v1
	s_waitcnt_depctr 0xfff
	v_fma_f32 v0, -v1, v2, 1.0
	v_fmac_f32_e32 v2, v0, v2
	v_mul_lo_u32 v0, v15, s7
	s_delay_alu instid0(VALU_DEP_2) | instskip(NEXT) | instid1(VALU_DEP_1)
	v_mul_f32_e32 v4, v3, v2
	v_fma_f32 v5, -v1, v4, v3
	s_delay_alu instid0(VALU_DEP_1) | instskip(NEXT) | instid1(VALU_DEP_1)
	v_fmac_f32_e32 v4, v5, v2
	v_fma_f32 v3, -v1, v4, v3
	v_ashrrev_i32_e32 v1, 31, v0
	s_delay_alu instid0(VALU_DEP_2) | instskip(NEXT) | instid1(VALU_DEP_2)
	v_div_fmas_f32 v2, v3, v2, v4
	v_lshlrev_b64 v[0:1], 2, v[0:1]
	s_delay_alu instid0(VALU_DEP_2) | instskip(NEXT) | instid1(VALU_DEP_2)
	v_div_fixup_f32 v2, v2, v14, 1.0
	v_add_co_u32 v0, vcc_lo, s12, v0
	s_delay_alu instid0(VALU_DEP_3)
	v_add_co_ci_u32_e32 v1, vcc_lo, s13, v1, vcc_lo
.LBB41_19:                              ; =>This Inner Loop Header: Depth=1
	global_load_b32 v3, v[0:1], off
	s_add_i32 s4, s4, -1
	s_delay_alu instid0(SALU_CYCLE_1)
	s_cmp_lg_u32 s4, 0
	s_waitcnt vmcnt(0)
	v_mul_f32_e32 v3, v2, v3
	global_store_b32 v[0:1], v3, off
	v_add_co_u32 v0, vcc_lo, v0, 4
	v_add_co_ci_u32_e32 v1, vcc_lo, 0, v1, vcc_lo
	s_cbranch_scc1 .LBB41_19
.LBB41_20:
	s_nop 0
	s_sendmsg sendmsg(MSG_DEALLOC_VGPRS)
	s_endpgm
	.section	.rodata,"a",@progbits
	.p2align	6, 0x0
	.amdhsa_kernel _ZN4vllm3moe17topkGatingSoftmaxIfLi8ELi16ELi8ELi32ELb1ELi0ELNS0_23SharedExpertScoringFuncE0EEEvPKT_PKbPfiPiS9_iiiiii
		.amdhsa_group_segment_fixed_size 0
		.amdhsa_private_segment_fixed_size 0
		.amdhsa_kernarg_size 72
		.amdhsa_user_sgpr_count 15
		.amdhsa_user_sgpr_dispatch_ptr 0
		.amdhsa_user_sgpr_queue_ptr 0
		.amdhsa_user_sgpr_kernarg_segment_ptr 1
		.amdhsa_user_sgpr_dispatch_id 0
		.amdhsa_user_sgpr_private_segment_size 0
		.amdhsa_wavefront_size32 1
		.amdhsa_uses_dynamic_stack 0
		.amdhsa_enable_private_segment 0
		.amdhsa_system_sgpr_workgroup_id_x 1
		.amdhsa_system_sgpr_workgroup_id_y 0
		.amdhsa_system_sgpr_workgroup_id_z 0
		.amdhsa_system_sgpr_workgroup_info 0
		.amdhsa_system_vgpr_workitem_id 1
		.amdhsa_next_free_vgpr 37
		.amdhsa_next_free_sgpr 18
		.amdhsa_reserve_vcc 1
		.amdhsa_float_round_mode_32 0
		.amdhsa_float_round_mode_16_64 0
		.amdhsa_float_denorm_mode_32 3
		.amdhsa_float_denorm_mode_16_64 3
		.amdhsa_dx10_clamp 1
		.amdhsa_ieee_mode 1
		.amdhsa_fp16_overflow 0
		.amdhsa_workgroup_processor_mode 1
		.amdhsa_memory_ordered 1
		.amdhsa_forward_progress 0
		.amdhsa_shared_vgpr_count 0
		.amdhsa_exception_fp_ieee_invalid_op 0
		.amdhsa_exception_fp_denorm_src 0
		.amdhsa_exception_fp_ieee_div_zero 0
		.amdhsa_exception_fp_ieee_overflow 0
		.amdhsa_exception_fp_ieee_underflow 0
		.amdhsa_exception_fp_ieee_inexact 0
		.amdhsa_exception_int_div_zero 0
	.end_amdhsa_kernel
	.section	.text._ZN4vllm3moe17topkGatingSoftmaxIfLi8ELi16ELi8ELi32ELb1ELi0ELNS0_23SharedExpertScoringFuncE0EEEvPKT_PKbPfiPiS9_iiiiii,"axG",@progbits,_ZN4vllm3moe17topkGatingSoftmaxIfLi8ELi16ELi8ELi32ELb1ELi0ELNS0_23SharedExpertScoringFuncE0EEEvPKT_PKbPfiPiS9_iiiiii,comdat
.Lfunc_end41:
	.size	_ZN4vllm3moe17topkGatingSoftmaxIfLi8ELi16ELi8ELi32ELb1ELi0ELNS0_23SharedExpertScoringFuncE0EEEvPKT_PKbPfiPiS9_iiiiii, .Lfunc_end41-_ZN4vllm3moe17topkGatingSoftmaxIfLi8ELi16ELi8ELi32ELb1ELi0ELNS0_23SharedExpertScoringFuncE0EEEvPKT_PKbPfiPiS9_iiiiii
                                        ; -- End function
	.section	.AMDGPU.csdata,"",@progbits
; Kernel info:
; codeLenInByte = 2324
; NumSgprs: 20
; NumVgprs: 37
; ScratchSize: 0
; MemoryBound: 0
; FloatMode: 240
; IeeeMode: 1
; LDSByteSize: 0 bytes/workgroup (compile time only)
; SGPRBlocks: 2
; VGPRBlocks: 4
; NumSGPRsForWavesPerEU: 20
; NumVGPRsForWavesPerEU: 37
; Occupancy: 16
; WaveLimiterHint : 0
; COMPUTE_PGM_RSRC2:SCRATCH_EN: 0
; COMPUTE_PGM_RSRC2:USER_SGPR: 15
; COMPUTE_PGM_RSRC2:TRAP_HANDLER: 0
; COMPUTE_PGM_RSRC2:TGID_X_EN: 1
; COMPUTE_PGM_RSRC2:TGID_Y_EN: 0
; COMPUTE_PGM_RSRC2:TGID_Z_EN: 0
; COMPUTE_PGM_RSRC2:TIDIG_COMP_CNT: 1
	.section	.text._ZN4vllm3moe17topkGatingSoftmaxIfLi8ELi16ELi8ELi32ELb0ELi0ELNS0_23SharedExpertScoringFuncE0EEEvPKT_PKbPfiPiS9_iiiiii,"axG",@progbits,_ZN4vllm3moe17topkGatingSoftmaxIfLi8ELi16ELi8ELi32ELb0ELi0ELNS0_23SharedExpertScoringFuncE0EEEvPKT_PKbPfiPiS9_iiiiii,comdat
	.protected	_ZN4vllm3moe17topkGatingSoftmaxIfLi8ELi16ELi8ELi32ELb0ELi0ELNS0_23SharedExpertScoringFuncE0EEEvPKT_PKbPfiPiS9_iiiiii ; -- Begin function _ZN4vllm3moe17topkGatingSoftmaxIfLi8ELi16ELi8ELi32ELb0ELi0ELNS0_23SharedExpertScoringFuncE0EEEvPKT_PKbPfiPiS9_iiiiii
	.globl	_ZN4vllm3moe17topkGatingSoftmaxIfLi8ELi16ELi8ELi32ELb0ELi0ELNS0_23SharedExpertScoringFuncE0EEEvPKT_PKbPfiPiS9_iiiiii
	.p2align	8
	.type	_ZN4vllm3moe17topkGatingSoftmaxIfLi8ELi16ELi8ELi32ELb0ELi0ELNS0_23SharedExpertScoringFuncE0EEEvPKT_PKbPfiPiS9_iiiiii,@function
_ZN4vllm3moe17topkGatingSoftmaxIfLi8ELi16ELi8ELi32ELb0ELi0ELNS0_23SharedExpertScoringFuncE0EEEvPKT_PKbPfiPiS9_iiiiii: ; @_ZN4vllm3moe17topkGatingSoftmaxIfLi8ELi16ELi8ELi32ELb0ELi0ELNS0_23SharedExpertScoringFuncE0EEEvPKT_PKbPfiPiS9_iiiiii
; %bb.0:
	s_load_b32 s16, s[0:1], 0x18
	v_bfe_u32 v1, v0, 10, 10
	v_and_b32_e32 v0, 0x3ff, v0
	s_lshl_b32 s18, s15, 7
	s_mov_b32 s2, exec_lo
	s_delay_alu instid0(VALU_DEP_2) | instskip(NEXT) | instid1(VALU_DEP_2)
	v_lshlrev_b32_e32 v26, 4, v1
	v_lshrrev_b32_e32 v27, 1, v0
	s_delay_alu instid0(VALU_DEP_1) | instskip(SKIP_1) | instid1(VALU_DEP_1)
	v_add3_u32 v15, s18, v26, v27
	s_waitcnt lgkmcnt(0)
	v_cmpx_gt_i32_e64 s16, v15
	s_cbranch_execz .LBB42_21
; %bb.1:
	s_clause 0x1
	s_load_b128 s[4:7], s[0:1], 0x0
	s_load_b64 s[12:13], s[0:1], 0x10
	s_waitcnt lgkmcnt(0)
	s_cmp_eq_u64 s[6:7], 0
	s_cbranch_scc1 .LBB42_3
; %bb.2:
	v_ashrrev_i32_e32 v2, 31, v15
	v_add_co_u32 v1, vcc_lo, s6, v15
	s_delay_alu instid0(VALU_DEP_2) | instskip(SKIP_3) | instid1(VALU_DEP_1)
	v_add_co_ci_u32_e32 v2, vcc_lo, s7, v2, vcc_lo
	global_load_u8 v1, v[1:2], off
	s_waitcnt vmcnt(0)
	v_and_b32_e32 v1, 1, v1
	v_cmp_eq_u32_e32 vcc_lo, 1, v1
	s_xor_b32 s2, vcc_lo, -1
	s_delay_alu instid0(SALU_CYCLE_1)
	s_or_not1_b32 s17, s2, exec_lo
	s_branch .LBB42_4
.LBB42_3:
	s_mov_b32 s17, -1
.LBB42_4:
	s_load_b64 s[14:15], s[0:1], 0x40
	v_and_b32_e32 v16, 1, v0
	v_mov_b32_e32 v14, 0
	s_waitcnt lgkmcnt(0)
	v_mul_lo_u32 v1, v15, s15
	s_delay_alu instid0(VALU_DEP_1) | instskip(NEXT) | instid1(VALU_DEP_1)
	v_ashrrev_i32_e32 v2, 31, v1
	v_lshlrev_b64 v[0:1], 2, v[1:2]
	v_lshlrev_b32_e32 v2, 5, v16
	s_delay_alu instid0(VALU_DEP_2) | instskip(NEXT) | instid1(VALU_DEP_3)
	v_add_co_u32 v0, vcc_lo, s4, v0
	v_add_co_ci_u32_e32 v1, vcc_lo, s5, v1, vcc_lo
	s_load_b128 s[4:7], s[0:1], 0x30
	s_delay_alu instid0(VALU_DEP_2) | instskip(NEXT) | instid1(VALU_DEP_2)
	v_add_co_u32 v0, vcc_lo, v0, v2
	v_add_co_ci_u32_e32 v1, vcc_lo, 0, v1, vcc_lo
	s_clause 0x1
	global_load_b128 v[4:7], v[0:1], off
	global_load_b128 v[0:3], v[0:1], off offset:16
	s_waitcnt vmcnt(1)
	v_cmp_lt_f32_e32 vcc_lo, v4, v5
	v_dual_cndmask_b32 v9, v4, v5 :: v_dual_lshlrev_b32 v18, 3, v16
	s_delay_alu instid0(VALU_DEP_1) | instskip(SKIP_1) | instid1(VALU_DEP_2)
	v_or_b32_e32 v19, 1, v18
	v_or_b32_e32 v20, 2, v18
	v_cndmask_b32_e32 v8, v18, v19, vcc_lo
	s_delay_alu instid0(VALU_DEP_4) | instskip(NEXT) | instid1(VALU_DEP_2)
	v_cmp_lt_f32_e32 vcc_lo, v9, v6
	v_dual_cndmask_b32 v9, v9, v6 :: v_dual_cndmask_b32 v8, v8, v20
	s_delay_alu instid0(VALU_DEP_1)
	v_cmp_lt_f32_e32 vcc_lo, v9, v7
	v_cndmask_b32_e32 v9, v9, v7, vcc_lo
	v_or_b32_e32 v21, 3, v18
	v_or_b32_e32 v22, 4, v18
	v_or_b32_e32 v23, 5, v18
	v_or_b32_e32 v24, 6, v18
	v_or_b32_e32 v25, 7, v18
	v_cndmask_b32_e32 v8, v8, v21, vcc_lo
	s_waitcnt vmcnt(0)
	v_cmp_lt_f32_e32 vcc_lo, v9, v0
	s_delay_alu instid0(VALU_DEP_2) | instskip(NEXT) | instid1(VALU_DEP_1)
	v_dual_cndmask_b32 v9, v9, v0 :: v_dual_cndmask_b32 v8, v8, v22
	v_cmp_lt_f32_e32 vcc_lo, v9, v1
	s_delay_alu instid0(VALU_DEP_2) | instskip(NEXT) | instid1(VALU_DEP_1)
	v_dual_cndmask_b32 v9, v9, v1 :: v_dual_cndmask_b32 v8, v8, v23
	;; [unrolled: 3-line block ×4, first 2 shown]
	v_mov_b32_dpp v11, v9 quad_perm:[1,0,3,2] row_mask:0xf bank_mask:0xf
	s_delay_alu instid0(VALU_DEP_2) | instskip(NEXT) | instid1(VALU_DEP_2)
	v_mov_b32_dpp v10, v8 quad_perm:[1,0,3,2] row_mask:0xf bank_mask:0xf
	v_cmp_eq_f32_e64 s2, v9, v11
	s_delay_alu instid0(VALU_DEP_2) | instskip(SKIP_1) | instid1(VALU_DEP_3)
	v_cmp_lt_i32_e32 vcc_lo, v10, v8
	v_cmp_lt_f32_e64 s3, v9, v11
	s_and_b32 s2, s2, vcc_lo
	v_cmp_eq_u32_e32 vcc_lo, 0, v16
	s_delay_alu instid0(VALU_DEP_2)
	s_or_b32 s2, s3, s2
	s_waitcnt lgkmcnt(0)
	s_cmp_gt_i32 s4, 0
	v_cndmask_b32_e64 v17, v9, v11, s2
	s_cselect_b32 s3, -1, 0
	s_cmp_lt_i32 s4, 1
	s_cbranch_scc1 .LBB42_16
; %bb.5:
	s_load_b128 s[8:11], s[0:1], 0x20
	v_mul_lo_u32 v9, v15, s7
	v_mul_lo_u32 v11, v15, s14
	;; [unrolled: 1-line block ×3, first 2 shown]
	v_cndmask_b32_e64 v8, v8, v10, s2
	v_mov_b32_e32 v14, 0
	s_and_saveexec_b32 s2, vcc_lo
	s_cbranch_execz .LBB42_7
; %bb.6:
	v_sub_f32_e32 v34, v17, v17
	v_cmp_le_i32_e64 s0, s5, v8
	v_cmp_gt_i32_e64 s1, s6, v8
	v_subrev_nc_u32_e32 v35, s5, v8
	v_ashrrev_i32_e32 v14, 31, v13
	v_mul_f32_e32 v10, 0x3fb8aa3b, v34
	s_delay_alu instid0(VALU_DEP_4) | instskip(NEXT) | instid1(SALU_CYCLE_1)
	s_and_b32 s0, s0, s1
	s_and_b32 s0, s17, s0
	s_delay_alu instid0(VALU_DEP_1) | instskip(SKIP_2) | instid1(VALU_DEP_3)
	v_rndne_f32_e32 v30, v10
	v_fma_f32 v12, 0x3fb8aa3b, v34, -v10
	v_lshlrev_b64 v[32:33], 2, v[13:14]
	v_sub_f32_e32 v10, v10, v30
	s_delay_alu instid0(VALU_DEP_3) | instskip(NEXT) | instid1(VALU_DEP_1)
	v_fmamk_f32 v12, v34, 0x32a5705f, v12
	v_add_f32_e32 v12, v10, v12
	v_ashrrev_i32_e32 v10, 31, v9
	s_delay_alu instid0(VALU_DEP_2) | instskip(NEXT) | instid1(VALU_DEP_1)
	v_exp_f32_e32 v36, v12
	v_lshlrev_b64 v[28:29], 2, v[9:10]
	v_ashrrev_i32_e32 v12, 31, v11
	v_cvt_i32_f32_e32 v10, v30
	s_delay_alu instid0(VALU_DEP_2) | instskip(SKIP_2) | instid1(VALU_DEP_1)
	v_lshlrev_b64 v[30:31], 2, v[11:12]
	v_cndmask_b32_e64 v12, 16, v35, s0
	v_add_co_u32 v28, s0, s12, v28
	v_add_co_ci_u32_e64 v29, s0, s13, v29, s0
	s_delay_alu instid0(TRANS32_DEP_1) | instskip(SKIP_1) | instid1(VALU_DEP_1)
	v_ldexp_f32 v10, v36, v10
	v_cmp_ngt_f32_e64 s0, 0xc2ce8ed0, v34
	v_cndmask_b32_e64 v10, 0, v10, s0
	s_waitcnt lgkmcnt(0)
	v_add_co_u32 v30, s0, s8, v30
	s_delay_alu instid0(VALU_DEP_1) | instskip(SKIP_1) | instid1(VALU_DEP_1)
	v_add_co_ci_u32_e64 v31, s0, s9, v31, s0
	v_cmp_nlt_f32_e64 s0, 0x42b17218, v34
	v_cndmask_b32_e64 v14, 0x7f800000, v10, s0
	v_add_co_u32 v32, s0, s10, v32
	s_delay_alu instid0(VALU_DEP_1)
	v_add_co_ci_u32_e64 v33, s0, s11, v33, s0
	global_store_b32 v[30:31], v12, off
	global_store_b32 v[28:29], v14, off
	global_store_b32 v[32:33], v15, off
.LBB42_7:
	s_or_b32 exec_lo, exec_lo, s2
	v_ashrrev_i32_e32 v12, 31, v8
	s_mov_b32 s1, exec_lo
	s_delay_alu instid0(VALU_DEP_1) | instskip(NEXT) | instid1(VALU_DEP_1)
	v_lshrrev_b32_e32 v10, 29, v12
	v_add_nc_u32_e32 v28, v8, v10
	s_delay_alu instid0(VALU_DEP_1) | instskip(SKIP_1) | instid1(VALU_DEP_1)
	v_ashrrev_i32_e32 v10, 3, v28
	v_lshrrev_b32_e32 v28, 31, v28
	v_add_nc_u32_e32 v28, v10, v28
	s_delay_alu instid0(VALU_DEP_1) | instskip(NEXT) | instid1(VALU_DEP_1)
	v_and_b32_e32 v28, -2, v28
	v_sub_nc_u32_e32 v28, v10, v28
	s_delay_alu instid0(VALU_DEP_1)
	v_cmpx_eq_u32_e64 v16, v28
	s_cbranch_execz .LBB42_9
; %bb.8:
	v_lshrrev_b32_e32 v12, 28, v12
	v_lshlrev_b32_e32 v10, 3, v10
	s_delay_alu instid0(VALU_DEP_2) | instskip(NEXT) | instid1(VALU_DEP_2)
	v_add_nc_u32_e32 v12, v8, v12
	v_sub_nc_u32_e32 v8, v8, v10
	s_delay_alu instid0(VALU_DEP_2) | instskip(NEXT) | instid1(VALU_DEP_1)
	v_ashrrev_i32_e32 v10, 4, v12
	v_lshl_add_u32 v8, v10, 3, v8
	s_delay_alu instid0(VALU_DEP_1) | instskip(NEXT) | instid1(VALU_DEP_1)
	v_cmp_ne_u32_e64 s0, 7, v8
	v_cndmask_b32_e64 v3, 0xff800000, v3, s0
	v_cmp_ne_u32_e64 s0, 6, v8
	s_delay_alu instid0(VALU_DEP_1) | instskip(SKIP_1) | instid1(VALU_DEP_1)
	v_cndmask_b32_e64 v2, 0xff800000, v2, s0
	v_cmp_ne_u32_e64 s0, 5, v8
	v_cndmask_b32_e64 v1, 0xff800000, v1, s0
	v_cmp_ne_u32_e64 s0, 4, v8
	s_delay_alu instid0(VALU_DEP_1) | instskip(SKIP_1) | instid1(VALU_DEP_1)
	v_cndmask_b32_e64 v0, 0xff800000, v0, s0
	;; [unrolled: 5-line block ×3, first 2 shown]
	v_cmp_ne_u32_e64 s0, 1, v8
	v_cndmask_b32_e64 v5, 0xff800000, v5, s0
	v_cmp_ne_u32_e64 s0, 0, v8
	s_delay_alu instid0(VALU_DEP_1)
	v_cndmask_b32_e64 v4, 0xff800000, v4, s0
.LBB42_9:
	s_or_b32 exec_lo, exec_lo, s1
	s_cmp_eq_u32 s4, 1
	s_cbranch_scc1 .LBB42_16
; %bb.10:
	s_add_i32 s18, s18, s16
	v_add_nc_u32_e32 v8, 1, v13
	v_add3_u32 v26, s18, v27, v26
	v_add_nc_u32_e32 v10, 1, v11
	v_add_nc_u32_e32 v12, 1, v9
	s_add_i32 s14, s4, -1
	s_branch .LBB42_12
.LBB42_11:                              ;   in Loop: Header=BB42_12 Depth=1
	s_or_b32 exec_lo, exec_lo, s1
	v_add_nc_u32_e32 v26, s16, v26
	v_add_nc_u32_e32 v8, 1, v8
	;; [unrolled: 1-line block ×4, first 2 shown]
	s_add_i32 s14, s14, -1
	s_delay_alu instid0(SALU_CYCLE_1)
	s_cmp_eq_u32 s14, 0
	s_cbranch_scc1 .LBB42_16
.LBB42_12:                              ; =>This Inner Loop Header: Depth=1
	v_cmp_gt_f32_e64 s0, v5, v4
	s_delay_alu instid0(VALU_DEP_1) | instskip(SKIP_1) | instid1(VALU_DEP_2)
	v_cndmask_b32_e64 v11, v4, v5, s0
	v_cndmask_b32_e64 v9, v18, v19, s0
	v_cmp_gt_f32_e64 s0, v6, v11
	s_delay_alu instid0(VALU_DEP_1) | instskip(NEXT) | instid1(VALU_DEP_3)
	v_cndmask_b32_e64 v11, v11, v6, s0
	v_cndmask_b32_e64 v9, v9, v20, s0
	s_delay_alu instid0(VALU_DEP_2) | instskip(NEXT) | instid1(VALU_DEP_1)
	v_cmp_gt_f32_e64 s0, v7, v11
	v_cndmask_b32_e64 v11, v11, v7, s0
	s_delay_alu instid0(VALU_DEP_3) | instskip(NEXT) | instid1(VALU_DEP_2)
	v_cndmask_b32_e64 v9, v9, v21, s0
	v_cmp_gt_f32_e64 s0, v0, v11
	s_delay_alu instid0(VALU_DEP_1) | instskip(NEXT) | instid1(VALU_DEP_3)
	v_cndmask_b32_e64 v11, v11, v0, s0
	v_cndmask_b32_e64 v9, v9, v22, s0
	s_delay_alu instid0(VALU_DEP_2) | instskip(NEXT) | instid1(VALU_DEP_1)
	v_cmp_gt_f32_e64 s0, v1, v11
	v_cndmask_b32_e64 v11, v11, v1, s0
	s_delay_alu instid0(VALU_DEP_3) | instskip(NEXT) | instid1(VALU_DEP_2)
	v_cndmask_b32_e64 v9, v9, v23, s0
	v_cmp_gt_f32_e64 s0, v2, v11
	s_delay_alu instid0(VALU_DEP_1) | instskip(NEXT) | instid1(VALU_DEP_3)
	v_cndmask_b32_e64 v11, v11, v2, s0
	v_cndmask_b32_e64 v9, v9, v24, s0
	s_delay_alu instid0(VALU_DEP_2) | instskip(NEXT) | instid1(VALU_DEP_1)
	v_cmp_gt_f32_e64 s0, v3, v11
	v_cndmask_b32_e64 v13, v9, v25, s0
	v_cndmask_b32_e64 v9, v11, v3, s0
	s_delay_alu instid0(VALU_DEP_2) | instskip(NEXT) | instid1(VALU_DEP_2)
	v_mov_b32_dpp v27, v13 quad_perm:[1,0,3,2] row_mask:0xf bank_mask:0xf
	v_mov_b32_dpp v11, v9 quad_perm:[1,0,3,2] row_mask:0xf bank_mask:0xf
	s_delay_alu instid0(VALU_DEP_2) | instskip(NEXT) | instid1(VALU_DEP_2)
	v_cmp_lt_i32_e64 s0, v27, v13
	v_cmp_eq_f32_e64 s1, v9, v11
	v_cmp_lt_f32_e64 s2, v9, v11
	s_delay_alu instid0(VALU_DEP_2)
	s_and_b32 s0, s1, s0
	s_delay_alu instid0(VALU_DEP_1) | instid1(SALU_CYCLE_1)
	s_or_b32 s0, s2, s0
	s_delay_alu instid0(SALU_CYCLE_1)
	v_cndmask_b32_e64 v27, v13, v27, s0
	s_and_saveexec_b32 s2, vcc_lo
	s_cbranch_execz .LBB42_14
; %bb.13:                               ;   in Loop: Header=BB42_12 Depth=1
	v_cndmask_b32_e64 v9, v9, v11, s0
	s_delay_alu instid0(VALU_DEP_2) | instskip(SKIP_4) | instid1(VALU_DEP_4)
	v_cmp_le_i32_e64 s0, s5, v27
	v_cmp_gt_i32_e64 s1, s6, v27
	v_ashrrev_i32_e32 v13, 31, v12
	v_subrev_nc_u32_e32 v35, s5, v27
	v_sub_f32_e32 v34, v9, v17
	s_and_b32 s0, s0, s1
	s_delay_alu instid0(SALU_CYCLE_1) | instskip(NEXT) | instid1(VALU_DEP_1)
	s_and_b32 s0, s17, s0
	v_mul_f32_e32 v9, 0x3fb8aa3b, v34
	s_delay_alu instid0(VALU_DEP_1) | instskip(SKIP_1) | instid1(VALU_DEP_2)
	v_fma_f32 v11, 0x3fb8aa3b, v34, -v9
	v_rndne_f32_e32 v28, v9
	v_fmac_f32_e32 v11, 0x32a5705f, v34
	s_delay_alu instid0(VALU_DEP_2) | instskip(SKIP_2) | instid1(VALU_DEP_3)
	v_sub_f32_e32 v9, v9, v28
	v_cvt_i32_f32_e32 v33, v28
	v_lshlrev_b64 v[28:29], 2, v[12:13]
	v_add_f32_e32 v9, v9, v11
	v_ashrrev_i32_e32 v11, 31, v10
	s_delay_alu instid0(VALU_DEP_2) | instskip(SKIP_1) | instid1(VALU_DEP_2)
	v_exp_f32_e32 v32, v9
	v_ashrrev_i32_e32 v9, 31, v8
	v_lshlrev_b64 v[30:31], 2, v[10:11]
	s_waitcnt_depctr 0xfff
	v_ldexp_f32 v11, v32, v33
	v_lshlrev_b64 v[32:33], 2, v[8:9]
	v_cndmask_b32_e64 v9, 16, v35, s0
	v_cmp_ngt_f32_e64 s0, 0xc2ce8ed0, v34
	s_delay_alu instid0(VALU_DEP_1) | instskip(SKIP_1) | instid1(VALU_DEP_1)
	v_cndmask_b32_e64 v11, 0, v11, s0
	v_add_co_u32 v28, s0, s12, v28
	v_add_co_ci_u32_e64 v29, s0, s13, v29, s0
	v_cmp_nlt_f32_e64 s0, 0x42b17218, v34
	s_delay_alu instid0(VALU_DEP_1) | instskip(SKIP_2) | instid1(VALU_DEP_1)
	v_cndmask_b32_e64 v11, 0x7f800000, v11, s0
	s_waitcnt lgkmcnt(0)
	v_add_co_u32 v30, s0, s8, v30
	v_add_co_ci_u32_e64 v31, s0, s9, v31, s0
	s_delay_alu instid0(VALU_DEP_3) | instskip(SKIP_1) | instid1(VALU_DEP_1)
	v_add_f32_e32 v14, v14, v11
	v_add_co_u32 v32, s0, s10, v32
	v_add_co_ci_u32_e64 v33, s0, s11, v33, s0
	global_store_b32 v[28:29], v11, off
	global_store_b32 v[30:31], v9, off
	global_store_b32 v[32:33], v26, off
.LBB42_14:                              ;   in Loop: Header=BB42_12 Depth=1
	s_or_b32 exec_lo, exec_lo, s2
	s_delay_alu instid0(VALU_DEP_1) | instskip(SKIP_1) | instid1(VALU_DEP_1)
	v_ashrrev_i32_e32 v11, 31, v27
	s_mov_b32 s1, exec_lo
	v_lshrrev_b32_e32 v9, 29, v11
	s_delay_alu instid0(VALU_DEP_1) | instskip(NEXT) | instid1(VALU_DEP_1)
	v_add_nc_u32_e32 v13, v27, v9
	v_ashrrev_i32_e32 v9, 3, v13
	v_lshrrev_b32_e32 v13, 31, v13
	s_delay_alu instid0(VALU_DEP_1) | instskip(NEXT) | instid1(VALU_DEP_1)
	v_add_nc_u32_e32 v13, v9, v13
	v_and_b32_e32 v13, -2, v13
	s_delay_alu instid0(VALU_DEP_1) | instskip(NEXT) | instid1(VALU_DEP_1)
	v_sub_nc_u32_e32 v13, v9, v13
	v_cmpx_eq_u32_e64 v16, v13
	s_cbranch_execz .LBB42_11
; %bb.15:                               ;   in Loop: Header=BB42_12 Depth=1
	v_lshrrev_b32_e32 v11, 28, v11
	v_lshlrev_b32_e32 v9, 3, v9
	s_delay_alu instid0(VALU_DEP_2) | instskip(NEXT) | instid1(VALU_DEP_2)
	v_add_nc_u32_e32 v11, v27, v11
	v_sub_nc_u32_e32 v9, v27, v9
	s_delay_alu instid0(VALU_DEP_2) | instskip(NEXT) | instid1(VALU_DEP_1)
	v_ashrrev_i32_e32 v11, 4, v11
	v_lshl_add_u32 v9, v11, 3, v9
	s_delay_alu instid0(VALU_DEP_1) | instskip(NEXT) | instid1(VALU_DEP_1)
	v_cmp_ne_u32_e64 s0, 7, v9
	v_cndmask_b32_e64 v3, 0xff800000, v3, s0
	v_cmp_ne_u32_e64 s0, 6, v9
	s_delay_alu instid0(VALU_DEP_1) | instskip(SKIP_1) | instid1(VALU_DEP_1)
	v_cndmask_b32_e64 v2, 0xff800000, v2, s0
	v_cmp_ne_u32_e64 s0, 5, v9
	v_cndmask_b32_e64 v1, 0xff800000, v1, s0
	v_cmp_ne_u32_e64 s0, 4, v9
	s_delay_alu instid0(VALU_DEP_1) | instskip(SKIP_1) | instid1(VALU_DEP_1)
	v_cndmask_b32_e64 v0, 0xff800000, v0, s0
	;; [unrolled: 5-line block ×3, first 2 shown]
	v_cmp_ne_u32_e64 s0, 1, v9
	v_cndmask_b32_e64 v5, 0xff800000, v5, s0
	v_cmp_ne_u32_e64 s0, 0, v9
	s_delay_alu instid0(VALU_DEP_1)
	v_cndmask_b32_e64 v4, 0xff800000, v4, s0
	s_branch .LBB42_11
.LBB42_16:
	s_delay_alu instid0(VALU_DEP_1)
	v_sub_f32_e32 v7, v7, v17
	v_sub_f32_e32 v4, v4, v17
	;; [unrolled: 1-line block ×5, first 2 shown]
	v_mul_f32_e32 v11, 0x3fb8aa3b, v7
	v_dual_sub_f32 v5, v5, v17 :: v_dual_mul_f32 v8, 0x3fb8aa3b, v4
	v_cmp_ngt_f32_e32 vcc_lo, 0xc2ce8ed0, v4
	v_sub_f32_e32 v3, v3, v17
	s_delay_alu instid0(VALU_DEP_4) | instskip(NEXT) | instid1(VALU_DEP_4)
	v_rndne_f32_e32 v23, v11
	v_fma_f32 v12, 0x3fb8aa3b, v4, -v8
	v_rndne_f32_e32 v13, v8
	s_delay_alu instid0(VALU_DEP_2) | instskip(NEXT) | instid1(VALU_DEP_2)
	v_fmac_f32_e32 v12, 0x32a5705f, v4
	v_sub_f32_e32 v8, v8, v13
	s_delay_alu instid0(VALU_DEP_1) | instskip(NEXT) | instid1(VALU_DEP_1)
	v_dual_mul_f32 v9, 0x3fb8aa3b, v5 :: v_dual_add_f32 v8, v8, v12
	v_rndne_f32_e32 v19, v9
	v_sub_f32_e32 v6, v6, v17
	v_fma_f32 v18, 0x3fb8aa3b, v5, -v9
	v_cvt_i32_f32_e32 v12, v13
	v_exp_f32_e32 v8, v8
	s_delay_alu instid0(VALU_DEP_3) | instskip(SKIP_3) | instid1(VALU_DEP_4)
	v_dual_sub_f32 v9, v9, v19 :: v_dual_mul_f32 v10, 0x3fb8aa3b, v6
	v_fma_f32 v22, 0x3fb8aa3b, v7, -v11
	v_sub_f32_e32 v11, v11, v23
	v_cvt_i32_f32_e32 v13, v19
	v_fma_f32 v20, 0x3fb8aa3b, v6, -v10
	s_delay_alu instid0(VALU_DEP_4) | instskip(SKIP_1) | instid1(TRANS32_DEP_1)
	v_fmac_f32_e32 v22, 0x32a5705f, v7
	v_fmac_f32_e32 v18, 0x32a5705f, v5
	v_ldexp_f32 v8, v8, v12
	v_rndne_f32_e32 v21, v10
	s_delay_alu instid0(VALU_DEP_4) | instskip(NEXT) | instid1(VALU_DEP_3)
	v_add_f32_e32 v11, v11, v22
	v_dual_add_f32 v9, v9, v18 :: v_dual_cndmask_b32 v8, 0, v8
	v_cmp_ngt_f32_e32 vcc_lo, 0xc2ce8ed0, v5
	s_delay_alu instid0(VALU_DEP_4) | instskip(SKIP_1) | instid1(VALU_DEP_4)
	v_sub_f32_e32 v10, v10, v21
	v_cvt_i32_f32_e32 v12, v21
	v_exp_f32_e32 v9, v9
	v_exp_f32_e32 v11, v11
	s_waitcnt_depctr 0xfff
	v_ldexp_f32 v9, v9, v13
	v_fmac_f32_e32 v20, 0x32a5705f, v6
	v_mul_f32_e32 v13, 0x3fb8aa3b, v3
	s_delay_alu instid0(VALU_DEP_3) | instskip(SKIP_1) | instid1(VALU_DEP_3)
	v_cndmask_b32_e32 v9, 0, v9, vcc_lo
	v_cmp_nlt_f32_e32 vcc_lo, 0x42b17218, v4
	v_rndne_f32_e32 v17, v13
	v_cndmask_b32_e32 v4, 0x7f800000, v8, vcc_lo
	v_cmp_nlt_f32_e32 vcc_lo, 0x42b17218, v5
	v_dual_add_f32 v10, v10, v20 :: v_dual_cndmask_b32 v5, 0x7f800000, v9
	s_delay_alu instid0(VALU_DEP_1) | instskip(SKIP_2) | instid1(VALU_DEP_3)
	v_exp_f32_e32 v10, v10
	v_cmp_ngt_f32_e32 vcc_lo, 0xc2ce8ed0, v6
	v_cvt_i32_f32_e32 v9, v23
	v_add_f32_e32 v4, v4, v5
	s_waitcnt_depctr 0xfff
	v_ldexp_f32 v10, v10, v12
	s_delay_alu instid0(VALU_DEP_1) | instskip(SKIP_2) | instid1(VALU_DEP_3)
	v_cndmask_b32_e32 v8, 0, v10, vcc_lo
	v_cmp_nlt_f32_e32 vcc_lo, 0x42b17218, v6
	v_mul_f32_e32 v10, 0x3fb8aa3b, v2
	v_cndmask_b32_e32 v5, 0x7f800000, v8, vcc_lo
	v_ldexp_f32 v8, v11, v9
	v_cmp_ngt_f32_e32 vcc_lo, 0xc2ce8ed0, v7
	s_delay_alu instid0(VALU_DEP_4)
	v_fma_f32 v11, 0x3fb8aa3b, v2, -v10
	v_rndne_f32_e32 v12, v10
	v_add_f32_e32 v4, v4, v5
	v_cndmask_b32_e32 v8, 0, v8, vcc_lo
	v_cmp_nlt_f32_e32 vcc_lo, 0x42b17218, v7
	v_fmac_f32_e32 v11, 0x32a5705f, v2
	s_delay_alu instid0(VALU_DEP_3) | instskip(SKIP_3) | instid1(VALU_DEP_4)
	v_cndmask_b32_e32 v7, 0x7f800000, v8, vcc_lo
	v_mul_f32_e32 v6, 0x3fb8aa3b, v0
	v_mul_f32_e32 v8, 0x3fb8aa3b, v1
	v_cmp_ngt_f32_e32 vcc_lo, 0xc2ce8ed0, v0
	v_add_f32_e32 v4, v4, v7
	s_delay_alu instid0(VALU_DEP_4) | instskip(SKIP_2) | instid1(VALU_DEP_2)
	v_fma_f32 v5, 0x3fb8aa3b, v0, -v6
	v_rndne_f32_e32 v9, v6
	v_rndne_f32_e32 v7, v8
	v_dual_fmac_f32 v5, 0x32a5705f, v0 :: v_dual_sub_f32 v6, v6, v9
	v_cvt_i32_f32_e32 v9, v9
	s_delay_alu instid0(VALU_DEP_2) | instskip(SKIP_3) | instid1(VALU_DEP_4)
	v_add_f32_e32 v5, v6, v5
	v_fma_f32 v6, 0x3fb8aa3b, v1, -v8
	v_sub_f32_e32 v8, v8, v7
	v_cvt_i32_f32_e32 v7, v7
	v_exp_f32_e32 v5, v5
	s_delay_alu instid0(VALU_DEP_3) | instskip(NEXT) | instid1(VALU_DEP_1)
	v_fmac_f32_e32 v6, 0x32a5705f, v1
	v_add_f32_e32 v6, v8, v6
	v_sub_f32_e32 v8, v10, v12
	v_fma_f32 v10, 0x3fb8aa3b, v3, -v13
	s_waitcnt_depctr 0xfff
	v_ldexp_f32 v5, v5, v9
	v_exp_f32_e32 v6, v6
	v_add_f32_e32 v8, v8, v11
	v_dual_fmac_f32 v10, 0x32a5705f, v3 :: v_dual_sub_f32 v9, v13, v17
	s_delay_alu instid0(VALU_DEP_3) | instskip(SKIP_1) | instid1(VALU_DEP_4)
	v_cndmask_b32_e32 v5, 0, v5, vcc_lo
	v_cmp_nlt_f32_e32 vcc_lo, 0x42b17218, v0
	v_exp_f32_e32 v8, v8
	s_delay_alu instid0(VALU_DEP_3) | instskip(NEXT) | instid1(TRANS32_DEP_2)
	v_add_f32_e32 v9, v9, v10
	v_ldexp_f32 v6, v6, v7
	v_cndmask_b32_e32 v0, 0x7f800000, v5, vcc_lo
	v_cmp_ngt_f32_e32 vcc_lo, 0xc2ce8ed0, v1
	v_cvt_i32_f32_e32 v5, v12
	v_exp_f32_e32 v7, v9
	s_delay_alu instid0(VALU_DEP_3) | instskip(SKIP_4) | instid1(VALU_DEP_4)
	v_add_f32_e32 v0, v4, v0
	v_cndmask_b32_e32 v6, 0, v6, vcc_lo
	v_cmp_nlt_f32_e32 vcc_lo, 0x42b17218, v1
	v_ldexp_f32 v4, v8, v5
	v_cvt_i32_f32_e32 v5, v17
	v_cndmask_b32_e32 v1, 0x7f800000, v6, vcc_lo
	v_cmp_ngt_f32_e32 vcc_lo, 0xc2ce8ed0, v2
	s_delay_alu instid0(TRANS32_DEP_1) | instid1(VALU_DEP_3)
	v_ldexp_f32 v5, v7, v5
	s_delay_alu instid0(VALU_DEP_3) | instskip(SKIP_2) | instid1(VALU_DEP_2)
	v_add_f32_e32 v0, v0, v1
	v_cndmask_b32_e32 v4, 0, v4, vcc_lo
	v_cmp_nlt_f32_e32 vcc_lo, 0x42b17218, v2
	v_cndmask_b32_e32 v1, 0x7f800000, v4, vcc_lo
	v_cmp_ngt_f32_e32 vcc_lo, 0xc2ce8ed0, v3
	s_delay_alu instid0(VALU_DEP_2) | instskip(SKIP_2) | instid1(VALU_DEP_2)
	v_add_f32_e32 v0, v0, v1
	v_cndmask_b32_e32 v2, 0, v5, vcc_lo
	v_cmp_nlt_f32_e32 vcc_lo, 0x42b17218, v3
	v_cndmask_b32_e32 v1, 0x7f800000, v2, vcc_lo
	v_cmp_eq_u32_e32 vcc_lo, 0, v16
	s_delay_alu instid0(VALU_DEP_2) | instskip(NEXT) | instid1(VALU_DEP_1)
	v_add_f32_e32 v0, v0, v1
	v_mov_b32_dpp v1, v0 quad_perm:[1,0,3,2] row_mask:0xf bank_mask:0xf
	s_and_b32 exec_lo, exec_lo, vcc_lo
	s_cbranch_execz .LBB42_21
; %bb.17:
	s_delay_alu instid0(VALU_DEP_1) | instskip(NEXT) | instid1(VALU_DEP_1)
	v_add_f32_e32 v0, v0, v1
	v_add_f32_e32 v0, v14, v0
	s_delay_alu instid0(VALU_DEP_1)
	v_cmp_neq_f32_e32 vcc_lo, 0, v0
	s_and_b32 exec_lo, exec_lo, vcc_lo
	s_cbranch_execz .LBB42_21
; %bb.18:
	s_and_not1_b32 vcc_lo, exec_lo, s3
	s_cbranch_vccnz .LBB42_21
; %bb.19:
	v_div_scale_f32 v2, null, v0, v0, 1.0
	v_div_scale_f32 v4, vcc_lo, 1.0, v0, 1.0
	s_delay_alu instid0(VALU_DEP_2) | instskip(SKIP_2) | instid1(VALU_DEP_1)
	v_rcp_f32_e32 v3, v2
	s_waitcnt_depctr 0xfff
	v_fma_f32 v1, -v2, v3, 1.0
	v_fmac_f32_e32 v3, v1, v3
	v_mul_lo_u32 v1, v15, s7
	s_delay_alu instid0(VALU_DEP_2) | instskip(NEXT) | instid1(VALU_DEP_1)
	v_mul_f32_e32 v5, v4, v3
	v_fma_f32 v6, -v2, v5, v4
	s_delay_alu instid0(VALU_DEP_1) | instskip(NEXT) | instid1(VALU_DEP_1)
	v_fmac_f32_e32 v5, v6, v3
	v_fma_f32 v4, -v2, v5, v4
	v_ashrrev_i32_e32 v2, 31, v1
	s_delay_alu instid0(VALU_DEP_2) | instskip(NEXT) | instid1(VALU_DEP_2)
	v_div_fmas_f32 v5, v4, v3, v5
	v_lshlrev_b64 v[3:4], 2, v[1:2]
	s_delay_alu instid0(VALU_DEP_2) | instskip(NEXT) | instid1(VALU_DEP_2)
	v_div_fixup_f32 v2, v5, v0, 1.0
	v_add_co_u32 v0, vcc_lo, s12, v3
	s_delay_alu instid0(VALU_DEP_3)
	v_add_co_ci_u32_e32 v1, vcc_lo, s13, v4, vcc_lo
.LBB42_20:                              ; =>This Inner Loop Header: Depth=1
	global_load_b32 v3, v[0:1], off
	s_add_i32 s4, s4, -1
	s_delay_alu instid0(SALU_CYCLE_1)
	s_cmp_lg_u32 s4, 0
	s_waitcnt vmcnt(0)
	v_mul_f32_e32 v3, v2, v3
	global_store_b32 v[0:1], v3, off
	v_add_co_u32 v0, vcc_lo, v0, 4
	v_add_co_ci_u32_e32 v1, vcc_lo, 0, v1, vcc_lo
	s_cbranch_scc1 .LBB42_20
.LBB42_21:
	s_nop 0
	s_sendmsg sendmsg(MSG_DEALLOC_VGPRS)
	s_endpgm
	.section	.rodata,"a",@progbits
	.p2align	6, 0x0
	.amdhsa_kernel _ZN4vllm3moe17topkGatingSoftmaxIfLi8ELi16ELi8ELi32ELb0ELi0ELNS0_23SharedExpertScoringFuncE0EEEvPKT_PKbPfiPiS9_iiiiii
		.amdhsa_group_segment_fixed_size 0
		.amdhsa_private_segment_fixed_size 0
		.amdhsa_kernarg_size 72
		.amdhsa_user_sgpr_count 15
		.amdhsa_user_sgpr_dispatch_ptr 0
		.amdhsa_user_sgpr_queue_ptr 0
		.amdhsa_user_sgpr_kernarg_segment_ptr 1
		.amdhsa_user_sgpr_dispatch_id 0
		.amdhsa_user_sgpr_private_segment_size 0
		.amdhsa_wavefront_size32 1
		.amdhsa_uses_dynamic_stack 0
		.amdhsa_enable_private_segment 0
		.amdhsa_system_sgpr_workgroup_id_x 1
		.amdhsa_system_sgpr_workgroup_id_y 0
		.amdhsa_system_sgpr_workgroup_id_z 0
		.amdhsa_system_sgpr_workgroup_info 0
		.amdhsa_system_vgpr_workitem_id 1
		.amdhsa_next_free_vgpr 37
		.amdhsa_next_free_sgpr 19
		.amdhsa_reserve_vcc 1
		.amdhsa_float_round_mode_32 0
		.amdhsa_float_round_mode_16_64 0
		.amdhsa_float_denorm_mode_32 3
		.amdhsa_float_denorm_mode_16_64 3
		.amdhsa_dx10_clamp 1
		.amdhsa_ieee_mode 1
		.amdhsa_fp16_overflow 0
		.amdhsa_workgroup_processor_mode 1
		.amdhsa_memory_ordered 1
		.amdhsa_forward_progress 0
		.amdhsa_shared_vgpr_count 0
		.amdhsa_exception_fp_ieee_invalid_op 0
		.amdhsa_exception_fp_denorm_src 0
		.amdhsa_exception_fp_ieee_div_zero 0
		.amdhsa_exception_fp_ieee_overflow 0
		.amdhsa_exception_fp_ieee_underflow 0
		.amdhsa_exception_fp_ieee_inexact 0
		.amdhsa_exception_int_div_zero 0
	.end_amdhsa_kernel
	.section	.text._ZN4vllm3moe17topkGatingSoftmaxIfLi8ELi16ELi8ELi32ELb0ELi0ELNS0_23SharedExpertScoringFuncE0EEEvPKT_PKbPfiPiS9_iiiiii,"axG",@progbits,_ZN4vllm3moe17topkGatingSoftmaxIfLi8ELi16ELi8ELi32ELb0ELi0ELNS0_23SharedExpertScoringFuncE0EEEvPKT_PKbPfiPiS9_iiiiii,comdat
.Lfunc_end42:
	.size	_ZN4vllm3moe17topkGatingSoftmaxIfLi8ELi16ELi8ELi32ELb0ELi0ELNS0_23SharedExpertScoringFuncE0EEEvPKT_PKbPfiPiS9_iiiiii, .Lfunc_end42-_ZN4vllm3moe17topkGatingSoftmaxIfLi8ELi16ELi8ELi32ELb0ELi0ELNS0_23SharedExpertScoringFuncE0EEEvPKT_PKbPfiPiS9_iiiiii
                                        ; -- End function
	.section	.AMDGPU.csdata,"",@progbits
; Kernel info:
; codeLenInByte = 3176
; NumSgprs: 21
; NumVgprs: 37
; ScratchSize: 0
; MemoryBound: 0
; FloatMode: 240
; IeeeMode: 1
; LDSByteSize: 0 bytes/workgroup (compile time only)
; SGPRBlocks: 2
; VGPRBlocks: 4
; NumSGPRsForWavesPerEU: 21
; NumVGPRsForWavesPerEU: 37
; Occupancy: 16
; WaveLimiterHint : 0
; COMPUTE_PGM_RSRC2:SCRATCH_EN: 0
; COMPUTE_PGM_RSRC2:USER_SGPR: 15
; COMPUTE_PGM_RSRC2:TRAP_HANDLER: 0
; COMPUTE_PGM_RSRC2:TGID_X_EN: 1
; COMPUTE_PGM_RSRC2:TGID_Y_EN: 0
; COMPUTE_PGM_RSRC2:TGID_Z_EN: 0
; COMPUTE_PGM_RSRC2:TIDIG_COMP_CNT: 1
	.section	.text._ZN4vllm3moe17topkGatingSoftmaxIfLi8ELi16ELi8ELi32ELb1ELi1ELNS0_23SharedExpertScoringFuncE1EEEvPKT_PKbPfiPiS9_iiiiii,"axG",@progbits,_ZN4vllm3moe17topkGatingSoftmaxIfLi8ELi16ELi8ELi32ELb1ELi1ELNS0_23SharedExpertScoringFuncE1EEEvPKT_PKbPfiPiS9_iiiiii,comdat
	.protected	_ZN4vllm3moe17topkGatingSoftmaxIfLi8ELi16ELi8ELi32ELb1ELi1ELNS0_23SharedExpertScoringFuncE1EEEvPKT_PKbPfiPiS9_iiiiii ; -- Begin function _ZN4vllm3moe17topkGatingSoftmaxIfLi8ELi16ELi8ELi32ELb1ELi1ELNS0_23SharedExpertScoringFuncE1EEEvPKT_PKbPfiPiS9_iiiiii
	.globl	_ZN4vllm3moe17topkGatingSoftmaxIfLi8ELi16ELi8ELi32ELb1ELi1ELNS0_23SharedExpertScoringFuncE1EEEvPKT_PKbPfiPiS9_iiiiii
	.p2align	8
	.type	_ZN4vllm3moe17topkGatingSoftmaxIfLi8ELi16ELi8ELi32ELb1ELi1ELNS0_23SharedExpertScoringFuncE1EEEvPKT_PKbPfiPiS9_iiiiii,@function
_ZN4vllm3moe17topkGatingSoftmaxIfLi8ELi16ELi8ELi32ELb1ELi1ELNS0_23SharedExpertScoringFuncE1EEEvPKT_PKbPfiPiS9_iiiiii: ; @_ZN4vllm3moe17topkGatingSoftmaxIfLi8ELi16ELi8ELi32ELb1ELi1ELNS0_23SharedExpertScoringFuncE1EEEvPKT_PKbPfiPiS9_iiiiii
; %bb.0:
	s_load_b32 s3, s[0:1], 0x18
	v_bfe_u32 v1, v0, 10, 10
	v_and_b32_e32 v0, 0x3ff, v0
	s_lshl_b32 s17, s15, 7
	s_mov_b32 s2, exec_lo
	s_delay_alu instid0(VALU_DEP_2) | instskip(NEXT) | instid1(VALU_DEP_2)
	v_lshlrev_b32_e32 v25, 4, v1
	v_lshrrev_b32_e32 v26, 1, v0
	s_delay_alu instid0(VALU_DEP_1) | instskip(SKIP_1) | instid1(VALU_DEP_1)
	v_add3_u32 v15, s17, v25, v26
	s_waitcnt lgkmcnt(0)
	v_cmpx_gt_i32_e64 s3, v15
	s_cbranch_execz .LBB43_22
; %bb.1:
	s_clause 0x1
	s_load_b128 s[4:7], s[0:1], 0x0
	s_load_b64 s[12:13], s[0:1], 0x10
	s_waitcnt lgkmcnt(0)
	s_cmp_eq_u64 s[6:7], 0
	s_cbranch_scc1 .LBB43_3
; %bb.2:
	v_ashrrev_i32_e32 v2, 31, v15
	v_add_co_u32 v1, vcc_lo, s6, v15
	s_delay_alu instid0(VALU_DEP_2) | instskip(SKIP_3) | instid1(VALU_DEP_1)
	v_add_co_ci_u32_e32 v2, vcc_lo, s7, v2, vcc_lo
	global_load_u8 v1, v[1:2], off
	s_waitcnt vmcnt(0)
	v_and_b32_e32 v1, 1, v1
	v_cmp_eq_u32_e32 vcc_lo, 1, v1
	s_xor_b32 s2, vcc_lo, -1
	s_delay_alu instid0(SALU_CYCLE_1)
	s_or_not1_b32 s16, s2, exec_lo
	s_branch .LBB43_4
.LBB43_3:
	s_mov_b32 s16, -1
.LBB43_4:
	s_load_b64 s[14:15], s[0:1], 0x40
	v_and_b32_e32 v16, 1, v0
	s_delay_alu instid0(VALU_DEP_1) | instskip(SKIP_3) | instid1(VALU_DEP_1)
	v_dual_mov_b32 v14, 0 :: v_dual_lshlrev_b32 v17, 3, v16
	v_cmp_eq_u32_e64 s2, 0, v16
	s_waitcnt lgkmcnt(0)
	v_mul_lo_u32 v1, v15, s15
	v_ashrrev_i32_e32 v2, 31, v1
	s_delay_alu instid0(VALU_DEP_1) | instskip(SKIP_1) | instid1(VALU_DEP_2)
	v_lshlrev_b64 v[0:1], 2, v[1:2]
	v_lshlrev_b32_e32 v2, 5, v16
	v_add_co_u32 v8, vcc_lo, s4, v0
	s_delay_alu instid0(VALU_DEP_3) | instskip(SKIP_1) | instid1(VALU_DEP_2)
	v_add_co_ci_u32_e32 v9, vcc_lo, s5, v1, vcc_lo
	s_load_b128 s[4:7], s[0:1], 0x30
	v_add_co_u32 v4, vcc_lo, v8, v2
	s_delay_alu instid0(VALU_DEP_2)
	v_add_co_ci_u32_e32 v5, vcc_lo, 0, v9, vcc_lo
	s_clause 0x1
	global_load_b128 v[0:3], v[4:5], off offset:16
	global_load_b128 v[4:7], v[4:5], off
	s_and_saveexec_b32 s8, s2
	s_cbranch_execz .LBB43_6
; %bb.5:
	global_load_b32 v8, v[8:9], off offset:64
	s_waitcnt vmcnt(0)
	v_mul_f32_e32 v9, 0xbfb8aa3b, v8
	v_cmp_nlt_f32_e32 vcc_lo, 0x42ce8ed0, v8
	s_delay_alu instid0(VALU_DEP_2) | instskip(SKIP_1) | instid1(VALU_DEP_2)
	v_rndne_f32_e32 v10, v9
	v_fma_f32 v11, 0xbfb8aa3b, v8, -v9
	v_sub_f32_e32 v9, v9, v10
	s_delay_alu instid0(VALU_DEP_2) | instskip(SKIP_1) | instid1(VALU_DEP_2)
	v_fmamk_f32 v11, v8, 0xb2a5705f, v11
	v_cvt_i32_f32_e32 v10, v10
	v_add_f32_e32 v9, v9, v11
	s_delay_alu instid0(VALU_DEP_1) | instskip(SKIP_2) | instid1(VALU_DEP_1)
	v_exp_f32_e32 v9, v9
	s_waitcnt_depctr 0xfff
	v_ldexp_f32 v9, v9, v10
	v_cndmask_b32_e32 v9, 0, v9, vcc_lo
	v_cmp_ngt_f32_e32 vcc_lo, 0xc2b17218, v8
	s_delay_alu instid0(VALU_DEP_2) | instskip(NEXT) | instid1(VALU_DEP_1)
	v_cndmask_b32_e32 v8, 0x7f800000, v9, vcc_lo
	v_add_f32_e32 v10, 1.0, v8
	s_delay_alu instid0(VALU_DEP_1) | instskip(SKIP_1) | instid1(VALU_DEP_2)
	v_div_scale_f32 v11, null, v10, v10, 1.0
	v_div_scale_f32 v13, vcc_lo, 1.0, v10, 1.0
	v_rcp_f32_e32 v12, v11
	s_waitcnt_depctr 0xfff
	v_fma_f32 v8, -v11, v12, 1.0
	s_delay_alu instid0(VALU_DEP_1) | instskip(SKIP_2) | instid1(VALU_DEP_2)
	v_fmac_f32_e32 v12, v8, v12
	s_waitcnt lgkmcnt(0)
	v_mad_u64_u32 v[8:9], null, v15, s7, s[4:5]
	v_mul_f32_e32 v18, v13, v12
	s_delay_alu instid0(VALU_DEP_2) | instskip(NEXT) | instid1(VALU_DEP_2)
	v_ashrrev_i32_e32 v9, 31, v8
	v_fma_f32 v19, -v11, v18, v13
	s_delay_alu instid0(VALU_DEP_2) | instskip(NEXT) | instid1(VALU_DEP_2)
	v_lshlrev_b64 v[8:9], 2, v[8:9]
	v_fmac_f32_e32 v18, v19, v12
	s_delay_alu instid0(VALU_DEP_1) | instskip(NEXT) | instid1(VALU_DEP_1)
	v_fma_f32 v11, -v11, v18, v13
	v_div_fmas_f32 v11, v11, v12, v18
	s_delay_alu instid0(VALU_DEP_4) | instskip(SKIP_1) | instid1(VALU_DEP_3)
	v_add_co_u32 v8, vcc_lo, s12, v8
	v_add_co_ci_u32_e32 v9, vcc_lo, s13, v9, vcc_lo
	v_div_fixup_f32 v10, v11, v10, 1.0
	global_store_b32 v[8:9], v10, off
.LBB43_6:
	s_or_b32 exec_lo, exec_lo, s8
	v_or_b32_e32 v18, 1, v17
	s_waitcnt vmcnt(0)
	v_cmp_lt_f32_e32 vcc_lo, v4, v5
	v_or_b32_e32 v19, 2, v17
	v_or_b32_e32 v20, 3, v17
	;; [unrolled: 1-line block ×4, first 2 shown]
	v_dual_cndmask_b32 v8, v17, v18 :: v_dual_cndmask_b32 v9, v4, v5
	v_or_b32_e32 v23, 6, v17
	v_or_b32_e32 v24, 7, v17
	s_waitcnt lgkmcnt(0)
	s_cmp_gt_i32 s4, 0
	v_cmp_lt_f32_e32 vcc_lo, v9, v6
	s_cselect_b32 s15, -1, 0
	v_dual_cndmask_b32 v8, v8, v19 :: v_dual_cndmask_b32 v9, v9, v6
	s_delay_alu instid0(VALU_DEP_1) | instskip(NEXT) | instid1(VALU_DEP_2)
	v_cmp_lt_f32_e32 vcc_lo, v9, v7
	v_dual_cndmask_b32 v8, v8, v20 :: v_dual_cndmask_b32 v9, v9, v7
	s_delay_alu instid0(VALU_DEP_1) | instskip(NEXT) | instid1(VALU_DEP_2)
	v_cmp_lt_f32_e32 vcc_lo, v9, v0
	;; [unrolled: 3-line block ×5, first 2 shown]
	v_cndmask_b32_e32 v8, v8, v24, vcc_lo
	v_cndmask_b32_e32 v10, v9, v3, vcc_lo
	s_and_b32 vcc_lo, exec_lo, s15
	s_delay_alu instid0(VALU_DEP_2) | instskip(NEXT) | instid1(VALU_DEP_2)
	v_mov_b32_dpp v12, v8 quad_perm:[1,0,3,2] row_mask:0xf bank_mask:0xf
	v_mov_b32_dpp v27, v10 quad_perm:[1,0,3,2] row_mask:0xf bank_mask:0xf
	s_cbranch_vccz .LBB43_18
; %bb.7:
	s_load_b128 s[8:11], s[0:1], 0x20
	s_delay_alu instid0(VALU_DEP_1)
	v_cmp_eq_f32_e32 vcc_lo, v10, v27
	v_cmp_lt_i32_e64 s0, v12, v8
	v_cmp_lt_f32_e64 s1, v10, v27
	v_mul_lo_u32 v9, v15, s7
	v_mul_lo_u32 v11, v15, s14
	;; [unrolled: 1-line block ×3, first 2 shown]
	s_and_b32 s0, vcc_lo, s0
	v_mov_b32_e32 v14, 0
	s_or_b32 vcc_lo, s1, s0
	v_dual_cndmask_b32 v8, v8, v12 :: v_dual_cndmask_b32 v27, v10, v27
	s_and_saveexec_b32 s1, s2
	s_cbranch_execz .LBB43_9
; %bb.8:
	s_delay_alu instid0(VALU_DEP_1) | instskip(NEXT) | instid1(VALU_DEP_2)
	v_sub_f32_e32 v34, v27, v27
	v_cmp_le_i32_e32 vcc_lo, s5, v8
	v_cmp_gt_i32_e64 s0, s6, v8
	v_subrev_nc_u32_e32 v35, s5, v8
	v_ashrrev_i32_e32 v14, 31, v13
	v_mul_f32_e32 v10, 0x3fb8aa3b, v34
	s_delay_alu instid0(VALU_DEP_4) | instskip(NEXT) | instid1(SALU_CYCLE_1)
	s_and_b32 s0, vcc_lo, s0
	s_and_b32 vcc_lo, s16, s0
	s_delay_alu instid0(VALU_DEP_1) | instskip(SKIP_2) | instid1(VALU_DEP_3)
	v_rndne_f32_e32 v30, v10
	v_fma_f32 v12, 0x3fb8aa3b, v34, -v10
	v_lshlrev_b64 v[32:33], 2, v[13:14]
	v_sub_f32_e32 v10, v10, v30
	s_delay_alu instid0(VALU_DEP_3) | instskip(NEXT) | instid1(VALU_DEP_1)
	v_fmamk_f32 v12, v34, 0x32a5705f, v12
	v_add_f32_e32 v12, v10, v12
	v_ashrrev_i32_e32 v10, 31, v9
	s_delay_alu instid0(VALU_DEP_2) | instskip(NEXT) | instid1(VALU_DEP_1)
	v_exp_f32_e32 v36, v12
	v_lshlrev_b64 v[28:29], 2, v[9:10]
	v_ashrrev_i32_e32 v12, 31, v11
	v_cvt_i32_f32_e32 v10, v30
	s_delay_alu instid0(VALU_DEP_2) | instskip(SKIP_3) | instid1(TRANS32_DEP_1)
	v_lshlrev_b64 v[30:31], 2, v[11:12]
	v_cndmask_b32_e32 v12, 16, v35, vcc_lo
	v_add_co_u32 v28, vcc_lo, s12, v28
	v_add_co_ci_u32_e32 v29, vcc_lo, s13, v29, vcc_lo
	v_ldexp_f32 v10, v36, v10
	v_cmp_ngt_f32_e32 vcc_lo, 0xc2ce8ed0, v34
	s_delay_alu instid0(VALU_DEP_2)
	v_cndmask_b32_e32 v10, 0, v10, vcc_lo
	s_waitcnt lgkmcnt(0)
	v_add_co_u32 v30, vcc_lo, s8, v30
	v_add_co_ci_u32_e32 v31, vcc_lo, s9, v31, vcc_lo
	v_cmp_nlt_f32_e32 vcc_lo, 0x42b17218, v34
	v_cndmask_b32_e32 v14, 0x7f800000, v10, vcc_lo
	v_add_co_u32 v32, vcc_lo, s10, v32
	v_add_co_ci_u32_e32 v33, vcc_lo, s11, v33, vcc_lo
	global_store_b32 v[30:31], v12, off
	global_store_b32 v[28:29], v14, off
	;; [unrolled: 1-line block ×3, first 2 shown]
.LBB43_9:
	s_or_b32 exec_lo, exec_lo, s1
	s_delay_alu instid0(VALU_DEP_1) | instskip(SKIP_1) | instid1(VALU_DEP_1)
	v_ashrrev_i32_e32 v12, 31, v8
	s_mov_b32 s0, exec_lo
	v_lshrrev_b32_e32 v10, 29, v12
	s_delay_alu instid0(VALU_DEP_1) | instskip(NEXT) | instid1(VALU_DEP_1)
	v_add_nc_u32_e32 v28, v8, v10
	v_ashrrev_i32_e32 v10, 3, v28
	v_lshrrev_b32_e32 v28, 31, v28
	s_delay_alu instid0(VALU_DEP_1) | instskip(NEXT) | instid1(VALU_DEP_1)
	v_add_nc_u32_e32 v28, v10, v28
	v_and_b32_e32 v28, -2, v28
	s_delay_alu instid0(VALU_DEP_1) | instskip(NEXT) | instid1(VALU_DEP_1)
	v_sub_nc_u32_e32 v28, v10, v28
	v_cmpx_eq_u32_e64 v16, v28
	s_cbranch_execz .LBB43_11
; %bb.10:
	v_lshrrev_b32_e32 v12, 28, v12
	v_lshlrev_b32_e32 v10, 3, v10
	s_delay_alu instid0(VALU_DEP_2) | instskip(NEXT) | instid1(VALU_DEP_2)
	v_add_nc_u32_e32 v12, v8, v12
	v_sub_nc_u32_e32 v8, v8, v10
	s_delay_alu instid0(VALU_DEP_2) | instskip(NEXT) | instid1(VALU_DEP_1)
	v_ashrrev_i32_e32 v10, 4, v12
	v_lshl_add_u32 v8, v10, 3, v8
	s_delay_alu instid0(VALU_DEP_1)
	v_cmp_ne_u32_e32 vcc_lo, 7, v8
	v_cndmask_b32_e32 v3, 0xff800000, v3, vcc_lo
	v_cmp_ne_u32_e32 vcc_lo, 6, v8
	v_cndmask_b32_e32 v2, 0xff800000, v2, vcc_lo
	;; [unrolled: 2-line block ×8, first 2 shown]
.LBB43_11:
	s_or_b32 exec_lo, exec_lo, s0
	s_cmp_eq_u32 s4, 1
	s_cbranch_scc1 .LBB43_18
; %bb.12:
	s_add_i32 s17, s17, s3
	v_add_nc_u32_e32 v8, 1, v13
	v_add3_u32 v25, s17, v26, v25
	v_add_nc_u32_e32 v10, 1, v11
	v_add_nc_u32_e32 v12, 1, v9
	s_add_i32 s14, s4, -1
	s_branch .LBB43_14
.LBB43_13:                              ;   in Loop: Header=BB43_14 Depth=1
	s_or_b32 exec_lo, exec_lo, s0
	v_add_nc_u32_e32 v25, s3, v25
	v_add_nc_u32_e32 v8, 1, v8
	;; [unrolled: 1-line block ×4, first 2 shown]
	s_add_i32 s14, s14, -1
	s_delay_alu instid0(SALU_CYCLE_1)
	s_cmp_eq_u32 s14, 0
	s_cbranch_scc1 .LBB43_18
.LBB43_14:                              ; =>This Inner Loop Header: Depth=1
	v_cmp_gt_f32_e32 vcc_lo, v5, v4
	v_cndmask_b32_e32 v11, v4, v5, vcc_lo
	v_cndmask_b32_e32 v9, v17, v18, vcc_lo
	s_delay_alu instid0(VALU_DEP_2) | instskip(SKIP_1) | instid1(VALU_DEP_3)
	v_cmp_gt_f32_e32 vcc_lo, v6, v11
	v_cndmask_b32_e32 v11, v11, v6, vcc_lo
	v_cndmask_b32_e32 v9, v9, v19, vcc_lo
	s_delay_alu instid0(VALU_DEP_2) | instskip(SKIP_1) | instid1(VALU_DEP_3)
	;; [unrolled: 4-line block ×5, first 2 shown]
	v_cmp_gt_f32_e32 vcc_lo, v2, v11
	v_cndmask_b32_e32 v11, v11, v2, vcc_lo
	v_cndmask_b32_e32 v9, v9, v23, vcc_lo
	s_delay_alu instid0(VALU_DEP_2) | instskip(NEXT) | instid1(VALU_DEP_2)
	v_cmp_gt_f32_e32 vcc_lo, v3, v11
	v_cndmask_b32_e32 v13, v9, v24, vcc_lo
	v_cndmask_b32_e32 v9, v11, v3, vcc_lo
	s_delay_alu instid0(VALU_DEP_2) | instskip(NEXT) | instid1(VALU_DEP_2)
	v_mov_b32_dpp v26, v13 quad_perm:[1,0,3,2] row_mask:0xf bank_mask:0xf
	v_mov_b32_dpp v11, v9 quad_perm:[1,0,3,2] row_mask:0xf bank_mask:0xf
	s_delay_alu instid0(VALU_DEP_2) | instskip(NEXT) | instid1(VALU_DEP_2)
	v_cmp_lt_i32_e32 vcc_lo, v26, v13
	v_cmp_eq_f32_e64 s0, v9, v11
	v_cmp_lt_f32_e64 s1, v9, v11
	s_delay_alu instid0(VALU_DEP_2)
	s_and_b32 s0, s0, vcc_lo
	s_delay_alu instid0(VALU_DEP_1) | instid1(SALU_CYCLE_1)
	s_or_b32 vcc_lo, s1, s0
	v_cndmask_b32_e32 v26, v13, v26, vcc_lo
	s_and_saveexec_b32 s1, s2
	s_cbranch_execz .LBB43_16
; %bb.15:                               ;   in Loop: Header=BB43_14 Depth=1
	v_cndmask_b32_e32 v9, v9, v11, vcc_lo
	s_delay_alu instid0(VALU_DEP_2) | instskip(SKIP_4) | instid1(VALU_DEP_4)
	v_cmp_le_i32_e32 vcc_lo, s5, v26
	v_cmp_gt_i32_e64 s0, s6, v26
	v_ashrrev_i32_e32 v13, 31, v12
	v_subrev_nc_u32_e32 v35, s5, v26
	v_sub_f32_e32 v34, v9, v27
	s_and_b32 s0, vcc_lo, s0
	s_delay_alu instid0(SALU_CYCLE_1) | instskip(NEXT) | instid1(VALU_DEP_1)
	s_and_b32 vcc_lo, s16, s0
	v_mul_f32_e32 v9, 0x3fb8aa3b, v34
	s_delay_alu instid0(VALU_DEP_1) | instskip(SKIP_1) | instid1(VALU_DEP_2)
	v_fma_f32 v11, 0x3fb8aa3b, v34, -v9
	v_rndne_f32_e32 v28, v9
	v_fmac_f32_e32 v11, 0x32a5705f, v34
	s_delay_alu instid0(VALU_DEP_2) | instskip(SKIP_2) | instid1(VALU_DEP_3)
	v_sub_f32_e32 v9, v9, v28
	v_cvt_i32_f32_e32 v33, v28
	v_lshlrev_b64 v[28:29], 2, v[12:13]
	v_add_f32_e32 v9, v9, v11
	v_ashrrev_i32_e32 v11, 31, v10
	s_delay_alu instid0(VALU_DEP_2) | instskip(SKIP_1) | instid1(VALU_DEP_2)
	v_exp_f32_e32 v32, v9
	v_ashrrev_i32_e32 v9, 31, v8
	v_lshlrev_b64 v[30:31], 2, v[10:11]
	s_waitcnt_depctr 0xfff
	v_ldexp_f32 v11, v32, v33
	v_lshlrev_b64 v[32:33], 2, v[8:9]
	v_cndmask_b32_e32 v9, 16, v35, vcc_lo
	v_cmp_ngt_f32_e32 vcc_lo, 0xc2ce8ed0, v34
	s_delay_alu instid0(VALU_DEP_4) | instskip(SKIP_3) | instid1(VALU_DEP_4)
	v_cndmask_b32_e32 v11, 0, v11, vcc_lo
	v_add_co_u32 v28, vcc_lo, s12, v28
	v_add_co_ci_u32_e32 v29, vcc_lo, s13, v29, vcc_lo
	v_cmp_nlt_f32_e32 vcc_lo, 0x42b17218, v34
	v_cndmask_b32_e32 v11, 0x7f800000, v11, vcc_lo
	s_waitcnt lgkmcnt(0)
	v_add_co_u32 v30, vcc_lo, s8, v30
	v_add_co_ci_u32_e32 v31, vcc_lo, s9, v31, vcc_lo
	s_delay_alu instid0(VALU_DEP_3)
	v_add_f32_e32 v14, v14, v11
	v_add_co_u32 v32, vcc_lo, s10, v32
	v_add_co_ci_u32_e32 v33, vcc_lo, s11, v33, vcc_lo
	global_store_b32 v[28:29], v11, off
	global_store_b32 v[30:31], v9, off
	;; [unrolled: 1-line block ×3, first 2 shown]
.LBB43_16:                              ;   in Loop: Header=BB43_14 Depth=1
	s_or_b32 exec_lo, exec_lo, s1
	s_delay_alu instid0(VALU_DEP_1) | instskip(SKIP_1) | instid1(VALU_DEP_1)
	v_ashrrev_i32_e32 v11, 31, v26
	s_mov_b32 s0, exec_lo
	v_lshrrev_b32_e32 v9, 29, v11
	s_delay_alu instid0(VALU_DEP_1) | instskip(NEXT) | instid1(VALU_DEP_1)
	v_add_nc_u32_e32 v13, v26, v9
	v_ashrrev_i32_e32 v9, 3, v13
	v_lshrrev_b32_e32 v13, 31, v13
	s_delay_alu instid0(VALU_DEP_1) | instskip(NEXT) | instid1(VALU_DEP_1)
	v_add_nc_u32_e32 v13, v9, v13
	v_and_b32_e32 v13, -2, v13
	s_delay_alu instid0(VALU_DEP_1) | instskip(NEXT) | instid1(VALU_DEP_1)
	v_sub_nc_u32_e32 v13, v9, v13
	v_cmpx_eq_u32_e64 v16, v13
	s_cbranch_execz .LBB43_13
; %bb.17:                               ;   in Loop: Header=BB43_14 Depth=1
	v_lshrrev_b32_e32 v11, 28, v11
	v_lshlrev_b32_e32 v9, 3, v9
	s_delay_alu instid0(VALU_DEP_2) | instskip(NEXT) | instid1(VALU_DEP_2)
	v_add_nc_u32_e32 v11, v26, v11
	v_sub_nc_u32_e32 v9, v26, v9
	s_delay_alu instid0(VALU_DEP_2) | instskip(NEXT) | instid1(VALU_DEP_1)
	v_ashrrev_i32_e32 v11, 4, v11
	v_lshl_add_u32 v9, v11, 3, v9
	s_delay_alu instid0(VALU_DEP_1)
	v_cmp_ne_u32_e32 vcc_lo, 7, v9
	v_cndmask_b32_e32 v3, 0xff800000, v3, vcc_lo
	v_cmp_ne_u32_e32 vcc_lo, 6, v9
	v_cndmask_b32_e32 v2, 0xff800000, v2, vcc_lo
	;; [unrolled: 2-line block ×8, first 2 shown]
	s_branch .LBB43_13
.LBB43_18:
	v_cmp_neq_f32_e32 vcc_lo, 0, v14
	s_and_b32 s0, s2, vcc_lo
	s_delay_alu instid0(SALU_CYCLE_1)
	s_and_b32 exec_lo, exec_lo, s0
	s_cbranch_execz .LBB43_22
; %bb.19:
	s_and_not1_b32 vcc_lo, exec_lo, s15
	s_cbranch_vccnz .LBB43_22
; %bb.20:
	v_div_scale_f32 v1, null, v14, v14, 1.0
	v_div_scale_f32 v3, vcc_lo, 1.0, v14, 1.0
	s_delay_alu instid0(VALU_DEP_2) | instskip(SKIP_2) | instid1(VALU_DEP_1)
	v_rcp_f32_e32 v2, v1
	s_waitcnt_depctr 0xfff
	v_fma_f32 v0, -v1, v2, 1.0
	v_fmac_f32_e32 v2, v0, v2
	v_mul_lo_u32 v0, v15, s7
	s_delay_alu instid0(VALU_DEP_2) | instskip(NEXT) | instid1(VALU_DEP_1)
	v_mul_f32_e32 v4, v3, v2
	v_fma_f32 v5, -v1, v4, v3
	s_delay_alu instid0(VALU_DEP_1) | instskip(NEXT) | instid1(VALU_DEP_1)
	v_fmac_f32_e32 v4, v5, v2
	v_fma_f32 v3, -v1, v4, v3
	v_ashrrev_i32_e32 v1, 31, v0
	s_delay_alu instid0(VALU_DEP_2) | instskip(NEXT) | instid1(VALU_DEP_2)
	v_div_fmas_f32 v2, v3, v2, v4
	v_lshlrev_b64 v[0:1], 2, v[0:1]
	s_delay_alu instid0(VALU_DEP_2) | instskip(NEXT) | instid1(VALU_DEP_2)
	v_div_fixup_f32 v2, v2, v14, 1.0
	v_add_co_u32 v0, vcc_lo, s12, v0
	s_delay_alu instid0(VALU_DEP_3)
	v_add_co_ci_u32_e32 v1, vcc_lo, s13, v1, vcc_lo
.LBB43_21:                              ; =>This Inner Loop Header: Depth=1
	global_load_b32 v3, v[0:1], off
	s_add_i32 s4, s4, -1
	s_delay_alu instid0(SALU_CYCLE_1)
	s_cmp_lg_u32 s4, 0
	s_waitcnt vmcnt(0)
	v_mul_f32_e32 v3, v2, v3
	global_store_b32 v[0:1], v3, off
	v_add_co_u32 v0, vcc_lo, v0, 4
	v_add_co_ci_u32_e32 v1, vcc_lo, 0, v1, vcc_lo
	s_cbranch_scc1 .LBB43_21
.LBB43_22:
	s_nop 0
	s_sendmsg sendmsg(MSG_DEALLOC_VGPRS)
	s_endpgm
	.section	.rodata,"a",@progbits
	.p2align	6, 0x0
	.amdhsa_kernel _ZN4vllm3moe17topkGatingSoftmaxIfLi8ELi16ELi8ELi32ELb1ELi1ELNS0_23SharedExpertScoringFuncE1EEEvPKT_PKbPfiPiS9_iiiiii
		.amdhsa_group_segment_fixed_size 0
		.amdhsa_private_segment_fixed_size 0
		.amdhsa_kernarg_size 72
		.amdhsa_user_sgpr_count 15
		.amdhsa_user_sgpr_dispatch_ptr 0
		.amdhsa_user_sgpr_queue_ptr 0
		.amdhsa_user_sgpr_kernarg_segment_ptr 1
		.amdhsa_user_sgpr_dispatch_id 0
		.amdhsa_user_sgpr_private_segment_size 0
		.amdhsa_wavefront_size32 1
		.amdhsa_uses_dynamic_stack 0
		.amdhsa_enable_private_segment 0
		.amdhsa_system_sgpr_workgroup_id_x 1
		.amdhsa_system_sgpr_workgroup_id_y 0
		.amdhsa_system_sgpr_workgroup_id_z 0
		.amdhsa_system_sgpr_workgroup_info 0
		.amdhsa_system_vgpr_workitem_id 1
		.amdhsa_next_free_vgpr 37
		.amdhsa_next_free_sgpr 18
		.amdhsa_reserve_vcc 1
		.amdhsa_float_round_mode_32 0
		.amdhsa_float_round_mode_16_64 0
		.amdhsa_float_denorm_mode_32 3
		.amdhsa_float_denorm_mode_16_64 3
		.amdhsa_dx10_clamp 1
		.amdhsa_ieee_mode 1
		.amdhsa_fp16_overflow 0
		.amdhsa_workgroup_processor_mode 1
		.amdhsa_memory_ordered 1
		.amdhsa_forward_progress 0
		.amdhsa_shared_vgpr_count 0
		.amdhsa_exception_fp_ieee_invalid_op 0
		.amdhsa_exception_fp_denorm_src 0
		.amdhsa_exception_fp_ieee_div_zero 0
		.amdhsa_exception_fp_ieee_overflow 0
		.amdhsa_exception_fp_ieee_underflow 0
		.amdhsa_exception_fp_ieee_inexact 0
		.amdhsa_exception_int_div_zero 0
	.end_amdhsa_kernel
	.section	.text._ZN4vllm3moe17topkGatingSoftmaxIfLi8ELi16ELi8ELi32ELb1ELi1ELNS0_23SharedExpertScoringFuncE1EEEvPKT_PKbPfiPiS9_iiiiii,"axG",@progbits,_ZN4vllm3moe17topkGatingSoftmaxIfLi8ELi16ELi8ELi32ELb1ELi1ELNS0_23SharedExpertScoringFuncE1EEEvPKT_PKbPfiPiS9_iiiiii,comdat
.Lfunc_end43:
	.size	_ZN4vllm3moe17topkGatingSoftmaxIfLi8ELi16ELi8ELi32ELb1ELi1ELNS0_23SharedExpertScoringFuncE1EEEvPKT_PKbPfiPiS9_iiiiii, .Lfunc_end43-_ZN4vllm3moe17topkGatingSoftmaxIfLi8ELi16ELi8ELi32ELb1ELi1ELNS0_23SharedExpertScoringFuncE1EEEvPKT_PKbPfiPiS9_iiiiii
                                        ; -- End function
	.section	.AMDGPU.csdata,"",@progbits
; Kernel info:
; codeLenInByte = 2220
; NumSgprs: 20
; NumVgprs: 37
; ScratchSize: 0
; MemoryBound: 0
; FloatMode: 240
; IeeeMode: 1
; LDSByteSize: 0 bytes/workgroup (compile time only)
; SGPRBlocks: 2
; VGPRBlocks: 4
; NumSGPRsForWavesPerEU: 20
; NumVGPRsForWavesPerEU: 37
; Occupancy: 16
; WaveLimiterHint : 0
; COMPUTE_PGM_RSRC2:SCRATCH_EN: 0
; COMPUTE_PGM_RSRC2:USER_SGPR: 15
; COMPUTE_PGM_RSRC2:TRAP_HANDLER: 0
; COMPUTE_PGM_RSRC2:TGID_X_EN: 1
; COMPUTE_PGM_RSRC2:TGID_Y_EN: 0
; COMPUTE_PGM_RSRC2:TGID_Z_EN: 0
; COMPUTE_PGM_RSRC2:TIDIG_COMP_CNT: 1
	.section	.text._ZN4vllm3moe17topkGatingSoftmaxIfLi8ELi16ELi8ELi32ELb0ELi1ELNS0_23SharedExpertScoringFuncE1EEEvPKT_PKbPfiPiS9_iiiiii,"axG",@progbits,_ZN4vllm3moe17topkGatingSoftmaxIfLi8ELi16ELi8ELi32ELb0ELi1ELNS0_23SharedExpertScoringFuncE1EEEvPKT_PKbPfiPiS9_iiiiii,comdat
	.protected	_ZN4vllm3moe17topkGatingSoftmaxIfLi8ELi16ELi8ELi32ELb0ELi1ELNS0_23SharedExpertScoringFuncE1EEEvPKT_PKbPfiPiS9_iiiiii ; -- Begin function _ZN4vllm3moe17topkGatingSoftmaxIfLi8ELi16ELi8ELi32ELb0ELi1ELNS0_23SharedExpertScoringFuncE1EEEvPKT_PKbPfiPiS9_iiiiii
	.globl	_ZN4vllm3moe17topkGatingSoftmaxIfLi8ELi16ELi8ELi32ELb0ELi1ELNS0_23SharedExpertScoringFuncE1EEEvPKT_PKbPfiPiS9_iiiiii
	.p2align	8
	.type	_ZN4vllm3moe17topkGatingSoftmaxIfLi8ELi16ELi8ELi32ELb0ELi1ELNS0_23SharedExpertScoringFuncE1EEEvPKT_PKbPfiPiS9_iiiiii,@function
_ZN4vllm3moe17topkGatingSoftmaxIfLi8ELi16ELi8ELi32ELb0ELi1ELNS0_23SharedExpertScoringFuncE1EEEvPKT_PKbPfiPiS9_iiiiii: ; @_ZN4vllm3moe17topkGatingSoftmaxIfLi8ELi16ELi8ELi32ELb0ELi1ELNS0_23SharedExpertScoringFuncE1EEEvPKT_PKbPfiPiS9_iiiiii
; %bb.0:
	s_load_b32 s16, s[0:1], 0x18
	v_bfe_u32 v1, v0, 10, 10
	v_and_b32_e32 v0, 0x3ff, v0
	s_lshl_b32 s18, s15, 7
	s_mov_b32 s2, exec_lo
	s_delay_alu instid0(VALU_DEP_2) | instskip(NEXT) | instid1(VALU_DEP_2)
	v_lshlrev_b32_e32 v26, 4, v1
	v_lshrrev_b32_e32 v27, 1, v0
	s_delay_alu instid0(VALU_DEP_1) | instskip(SKIP_1) | instid1(VALU_DEP_1)
	v_add3_u32 v15, s18, v26, v27
	s_waitcnt lgkmcnt(0)
	v_cmpx_gt_i32_e64 s16, v15
	s_cbranch_execz .LBB44_23
; %bb.1:
	s_clause 0x1
	s_load_b128 s[4:7], s[0:1], 0x0
	s_load_b64 s[12:13], s[0:1], 0x10
	s_waitcnt lgkmcnt(0)
	s_cmp_eq_u64 s[6:7], 0
	s_cbranch_scc1 .LBB44_3
; %bb.2:
	v_ashrrev_i32_e32 v2, 31, v15
	v_add_co_u32 v1, vcc_lo, s6, v15
	s_delay_alu instid0(VALU_DEP_2) | instskip(SKIP_3) | instid1(VALU_DEP_1)
	v_add_co_ci_u32_e32 v2, vcc_lo, s7, v2, vcc_lo
	global_load_u8 v1, v[1:2], off
	s_waitcnt vmcnt(0)
	v_and_b32_e32 v1, 1, v1
	v_cmp_eq_u32_e32 vcc_lo, 1, v1
	s_xor_b32 s2, vcc_lo, -1
	s_delay_alu instid0(SALU_CYCLE_1)
	s_or_not1_b32 s17, s2, exec_lo
	s_branch .LBB44_4
.LBB44_3:
	s_mov_b32 s17, -1
.LBB44_4:
	s_clause 0x1
	s_load_b64 s[14:15], s[0:1], 0x40
	s_load_b128 s[8:11], s[0:1], 0x30
	v_dual_mov_b32 v14, 0 :: v_dual_and_b32 v17, 1, v0
	s_delay_alu instid0(VALU_DEP_1) | instskip(SKIP_3) | instid1(VALU_DEP_1)
	v_lshlrev_b32_e32 v18, 3, v17
	v_cmp_eq_u32_e64 s2, 0, v17
	s_waitcnt lgkmcnt(0)
	v_mul_lo_u32 v1, v15, s15
	v_ashrrev_i32_e32 v2, 31, v1
	s_delay_alu instid0(VALU_DEP_1) | instskip(SKIP_1) | instid1(VALU_DEP_2)
	v_lshlrev_b64 v[0:1], 2, v[1:2]
	v_lshlrev_b32_e32 v2, 5, v17
	v_add_co_u32 v8, vcc_lo, s4, v0
	s_delay_alu instid0(VALU_DEP_3) | instskip(NEXT) | instid1(VALU_DEP_2)
	v_add_co_ci_u32_e32 v9, vcc_lo, s5, v1, vcc_lo
	v_add_co_u32 v4, vcc_lo, v8, v2
	s_delay_alu instid0(VALU_DEP_2)
	v_add_co_ci_u32_e32 v5, vcc_lo, 0, v9, vcc_lo
	s_clause 0x1
	global_load_b128 v[0:3], v[4:5], off offset:16
	global_load_b128 v[4:7], v[4:5], off
	s_and_saveexec_b32 s3, s2
	s_cbranch_execz .LBB44_6
; %bb.5:
	global_load_b32 v8, v[8:9], off offset:64
	s_waitcnt vmcnt(0)
	v_mul_f32_e32 v9, 0xbfb8aa3b, v8
	v_cmp_nlt_f32_e32 vcc_lo, 0x42ce8ed0, v8
	s_delay_alu instid0(VALU_DEP_2) | instskip(SKIP_1) | instid1(VALU_DEP_2)
	v_rndne_f32_e32 v10, v9
	v_fma_f32 v11, 0xbfb8aa3b, v8, -v9
	v_sub_f32_e32 v9, v9, v10
	s_delay_alu instid0(VALU_DEP_2) | instskip(SKIP_1) | instid1(VALU_DEP_2)
	v_fmamk_f32 v11, v8, 0xb2a5705f, v11
	v_cvt_i32_f32_e32 v10, v10
	v_add_f32_e32 v9, v9, v11
	s_delay_alu instid0(VALU_DEP_1) | instskip(SKIP_2) | instid1(VALU_DEP_1)
	v_exp_f32_e32 v9, v9
	s_waitcnt_depctr 0xfff
	v_ldexp_f32 v9, v9, v10
	v_cndmask_b32_e32 v9, 0, v9, vcc_lo
	v_cmp_ngt_f32_e32 vcc_lo, 0xc2b17218, v8
	s_delay_alu instid0(VALU_DEP_2) | instskip(NEXT) | instid1(VALU_DEP_1)
	v_cndmask_b32_e32 v8, 0x7f800000, v9, vcc_lo
	v_add_f32_e32 v10, 1.0, v8
	s_delay_alu instid0(VALU_DEP_1) | instskip(SKIP_1) | instid1(VALU_DEP_2)
	v_div_scale_f32 v11, null, v10, v10, 1.0
	v_div_scale_f32 v13, vcc_lo, 1.0, v10, 1.0
	v_rcp_f32_e32 v12, v11
	s_waitcnt_depctr 0xfff
	v_fma_f32 v8, -v11, v12, 1.0
	s_delay_alu instid0(VALU_DEP_1) | instskip(SKIP_1) | instid1(VALU_DEP_2)
	v_fmac_f32_e32 v12, v8, v12
	v_mad_u64_u32 v[8:9], null, v15, s11, s[8:9]
	v_mul_f32_e32 v16, v13, v12
	s_delay_alu instid0(VALU_DEP_2) | instskip(NEXT) | instid1(VALU_DEP_2)
	v_ashrrev_i32_e32 v9, 31, v8
	v_fma_f32 v19, -v11, v16, v13
	s_delay_alu instid0(VALU_DEP_2) | instskip(NEXT) | instid1(VALU_DEP_2)
	v_lshlrev_b64 v[8:9], 2, v[8:9]
	v_fmac_f32_e32 v16, v19, v12
	s_delay_alu instid0(VALU_DEP_1) | instskip(NEXT) | instid1(VALU_DEP_1)
	v_fma_f32 v11, -v11, v16, v13
	v_div_fmas_f32 v11, v11, v12, v16
	s_delay_alu instid0(VALU_DEP_4) | instskip(SKIP_1) | instid1(VALU_DEP_3)
	v_add_co_u32 v8, vcc_lo, s12, v8
	v_add_co_ci_u32_e32 v9, vcc_lo, s13, v9, vcc_lo
	v_div_fixup_f32 v10, v11, v10, 1.0
	global_store_b32 v[8:9], v10, off
.LBB44_6:
	s_or_b32 exec_lo, exec_lo, s3
	v_or_b32_e32 v19, 1, v18
	s_waitcnt vmcnt(0)
	v_cmp_lt_f32_e32 vcc_lo, v4, v5
	v_or_b32_e32 v20, 2, v18
	v_or_b32_e32 v21, 3, v18
	v_or_b32_e32 v22, 4, v18
	v_or_b32_e32 v23, 5, v18
	v_dual_cndmask_b32 v8, v18, v19 :: v_dual_cndmask_b32 v9, v4, v5
	v_or_b32_e32 v24, 6, v18
	v_or_b32_e32 v25, 7, v18
	s_delay_alu instid0(VALU_DEP_3) | instskip(NEXT) | instid1(VALU_DEP_4)
	v_cmp_lt_f32_e32 vcc_lo, v9, v6
	v_dual_cndmask_b32 v8, v8, v20 :: v_dual_cndmask_b32 v9, v9, v6
	s_delay_alu instid0(VALU_DEP_1) | instskip(NEXT) | instid1(VALU_DEP_2)
	v_cmp_lt_f32_e32 vcc_lo, v9, v7
	v_dual_cndmask_b32 v8, v8, v21 :: v_dual_cndmask_b32 v9, v9, v7
	s_delay_alu instid0(VALU_DEP_1) | instskip(NEXT) | instid1(VALU_DEP_2)
	;; [unrolled: 3-line block ×6, first 2 shown]
	v_mov_b32_dpp v10, v8 quad_perm:[1,0,3,2] row_mask:0xf bank_mask:0xf
	v_mov_b32_dpp v11, v9 quad_perm:[1,0,3,2] row_mask:0xf bank_mask:0xf
	s_delay_alu instid0(VALU_DEP_2) | instskip(NEXT) | instid1(VALU_DEP_2)
	v_cmp_lt_i32_e64 s3, v10, v8
	v_cmp_eq_f32_e32 vcc_lo, v9, v11
	v_cmp_lt_f32_e64 s4, v9, v11
	s_delay_alu instid0(VALU_DEP_3)
	s_and_b32 s3, vcc_lo, s3
	s_delay_alu instid0(VALU_DEP_1) | instid1(SALU_CYCLE_1)
	s_or_b32 s3, s4, s3
	s_cmp_gt_i32 s8, 0
	v_cndmask_b32_e64 v16, v9, v11, s3
	s_cselect_b32 s15, -1, 0
	s_delay_alu instid0(SALU_CYCLE_1)
	s_and_b32 vcc_lo, exec_lo, s15
	s_cbranch_vccz .LBB44_18
; %bb.7:
	s_load_b128 s[4:7], s[0:1], 0x20
	v_mul_lo_u32 v9, v15, s11
	v_mul_lo_u32 v11, v15, s14
	;; [unrolled: 1-line block ×3, first 2 shown]
	v_cndmask_b32_e64 v8, v8, v10, s3
	v_mov_b32_e32 v14, 0
	s_and_saveexec_b32 s1, s2
	s_cbranch_execz .LBB44_9
; %bb.8:
	v_sub_f32_e32 v34, v16, v16
	v_cmp_le_i32_e32 vcc_lo, s9, v8
	v_cmp_gt_i32_e64 s0, s10, v8
	v_subrev_nc_u32_e32 v35, s9, v8
	v_ashrrev_i32_e32 v14, 31, v13
	v_mul_f32_e32 v10, 0x3fb8aa3b, v34
	s_delay_alu instid0(VALU_DEP_4) | instskip(NEXT) | instid1(SALU_CYCLE_1)
	s_and_b32 s0, vcc_lo, s0
	s_and_b32 vcc_lo, s17, s0
	s_delay_alu instid0(VALU_DEP_1) | instskip(SKIP_2) | instid1(VALU_DEP_3)
	v_rndne_f32_e32 v30, v10
	v_fma_f32 v12, 0x3fb8aa3b, v34, -v10
	v_lshlrev_b64 v[32:33], 2, v[13:14]
	v_sub_f32_e32 v10, v10, v30
	s_delay_alu instid0(VALU_DEP_3) | instskip(NEXT) | instid1(VALU_DEP_1)
	v_fmamk_f32 v12, v34, 0x32a5705f, v12
	v_add_f32_e32 v12, v10, v12
	v_ashrrev_i32_e32 v10, 31, v9
	s_delay_alu instid0(VALU_DEP_2) | instskip(NEXT) | instid1(VALU_DEP_1)
	v_exp_f32_e32 v36, v12
	v_lshlrev_b64 v[28:29], 2, v[9:10]
	v_ashrrev_i32_e32 v12, 31, v11
	v_cvt_i32_f32_e32 v10, v30
	s_delay_alu instid0(VALU_DEP_2) | instskip(SKIP_3) | instid1(TRANS32_DEP_1)
	v_lshlrev_b64 v[30:31], 2, v[11:12]
	v_cndmask_b32_e32 v12, 16, v35, vcc_lo
	v_add_co_u32 v28, vcc_lo, s12, v28
	v_add_co_ci_u32_e32 v29, vcc_lo, s13, v29, vcc_lo
	v_ldexp_f32 v10, v36, v10
	v_cmp_ngt_f32_e32 vcc_lo, 0xc2ce8ed0, v34
	s_delay_alu instid0(VALU_DEP_2)
	v_cndmask_b32_e32 v10, 0, v10, vcc_lo
	s_waitcnt lgkmcnt(0)
	v_add_co_u32 v30, vcc_lo, s4, v30
	v_add_co_ci_u32_e32 v31, vcc_lo, s5, v31, vcc_lo
	v_cmp_nlt_f32_e32 vcc_lo, 0x42b17218, v34
	v_cndmask_b32_e32 v14, 0x7f800000, v10, vcc_lo
	v_add_co_u32 v32, vcc_lo, s6, v32
	v_add_co_ci_u32_e32 v33, vcc_lo, s7, v33, vcc_lo
	global_store_b32 v[30:31], v12, off
	global_store_b32 v[28:29], v14, off
	;; [unrolled: 1-line block ×3, first 2 shown]
.LBB44_9:
	s_or_b32 exec_lo, exec_lo, s1
	v_ashrrev_i32_e32 v12, 31, v8
	s_mov_b32 s0, exec_lo
	s_delay_alu instid0(VALU_DEP_1) | instskip(NEXT) | instid1(VALU_DEP_1)
	v_lshrrev_b32_e32 v10, 29, v12
	v_add_nc_u32_e32 v28, v8, v10
	s_delay_alu instid0(VALU_DEP_1) | instskip(SKIP_1) | instid1(VALU_DEP_1)
	v_ashrrev_i32_e32 v10, 3, v28
	v_lshrrev_b32_e32 v28, 31, v28
	v_add_nc_u32_e32 v28, v10, v28
	s_delay_alu instid0(VALU_DEP_1) | instskip(NEXT) | instid1(VALU_DEP_1)
	v_and_b32_e32 v28, -2, v28
	v_sub_nc_u32_e32 v28, v10, v28
	s_delay_alu instid0(VALU_DEP_1)
	v_cmpx_eq_u32_e64 v17, v28
	s_cbranch_execz .LBB44_11
; %bb.10:
	v_lshrrev_b32_e32 v12, 28, v12
	v_lshlrev_b32_e32 v10, 3, v10
	s_delay_alu instid0(VALU_DEP_2) | instskip(NEXT) | instid1(VALU_DEP_2)
	v_add_nc_u32_e32 v12, v8, v12
	v_sub_nc_u32_e32 v8, v8, v10
	s_delay_alu instid0(VALU_DEP_2) | instskip(NEXT) | instid1(VALU_DEP_1)
	v_ashrrev_i32_e32 v10, 4, v12
	v_lshl_add_u32 v8, v10, 3, v8
	s_delay_alu instid0(VALU_DEP_1)
	v_cmp_ne_u32_e32 vcc_lo, 7, v8
	v_cndmask_b32_e32 v3, 0xff800000, v3, vcc_lo
	v_cmp_ne_u32_e32 vcc_lo, 6, v8
	v_cndmask_b32_e32 v2, 0xff800000, v2, vcc_lo
	;; [unrolled: 2-line block ×8, first 2 shown]
.LBB44_11:
	s_or_b32 exec_lo, exec_lo, s0
	s_cmp_eq_u32 s8, 1
	s_cbranch_scc1 .LBB44_18
; %bb.12:
	s_add_i32 s18, s18, s16
	v_add_nc_u32_e32 v8, 1, v13
	v_add3_u32 v26, s18, v27, v26
	v_add_nc_u32_e32 v10, 1, v11
	v_add_nc_u32_e32 v12, 1, v9
	s_add_i32 s3, s8, -1
	s_branch .LBB44_14
.LBB44_13:                              ;   in Loop: Header=BB44_14 Depth=1
	s_or_b32 exec_lo, exec_lo, s0
	v_add_nc_u32_e32 v26, s16, v26
	v_add_nc_u32_e32 v8, 1, v8
	;; [unrolled: 1-line block ×4, first 2 shown]
	s_add_i32 s3, s3, -1
	s_delay_alu instid0(SALU_CYCLE_1)
	s_cmp_eq_u32 s3, 0
	s_cbranch_scc1 .LBB44_18
.LBB44_14:                              ; =>This Inner Loop Header: Depth=1
	v_cmp_gt_f32_e32 vcc_lo, v5, v4
	v_cndmask_b32_e32 v11, v4, v5, vcc_lo
	v_cndmask_b32_e32 v9, v18, v19, vcc_lo
	s_delay_alu instid0(VALU_DEP_2) | instskip(SKIP_1) | instid1(VALU_DEP_3)
	v_cmp_gt_f32_e32 vcc_lo, v6, v11
	v_cndmask_b32_e32 v11, v11, v6, vcc_lo
	v_cndmask_b32_e32 v9, v9, v20, vcc_lo
	s_delay_alu instid0(VALU_DEP_2) | instskip(SKIP_1) | instid1(VALU_DEP_3)
	;; [unrolled: 4-line block ×5, first 2 shown]
	v_cmp_gt_f32_e32 vcc_lo, v2, v11
	v_cndmask_b32_e32 v11, v11, v2, vcc_lo
	v_cndmask_b32_e32 v9, v9, v24, vcc_lo
	s_delay_alu instid0(VALU_DEP_2) | instskip(NEXT) | instid1(VALU_DEP_2)
	v_cmp_gt_f32_e32 vcc_lo, v3, v11
	v_cndmask_b32_e32 v13, v9, v25, vcc_lo
	v_cndmask_b32_e32 v9, v11, v3, vcc_lo
	s_delay_alu instid0(VALU_DEP_2) | instskip(NEXT) | instid1(VALU_DEP_2)
	v_mov_b32_dpp v27, v13 quad_perm:[1,0,3,2] row_mask:0xf bank_mask:0xf
	v_mov_b32_dpp v11, v9 quad_perm:[1,0,3,2] row_mask:0xf bank_mask:0xf
	s_delay_alu instid0(VALU_DEP_2) | instskip(NEXT) | instid1(VALU_DEP_2)
	v_cmp_lt_i32_e32 vcc_lo, v27, v13
	v_cmp_eq_f32_e64 s0, v9, v11
	v_cmp_lt_f32_e64 s1, v9, v11
	s_delay_alu instid0(VALU_DEP_2)
	s_and_b32 s0, s0, vcc_lo
	s_delay_alu instid0(VALU_DEP_1) | instid1(SALU_CYCLE_1)
	s_or_b32 vcc_lo, s1, s0
	v_cndmask_b32_e32 v27, v13, v27, vcc_lo
	s_and_saveexec_b32 s1, s2
	s_cbranch_execz .LBB44_16
; %bb.15:                               ;   in Loop: Header=BB44_14 Depth=1
	v_cndmask_b32_e32 v9, v9, v11, vcc_lo
	s_delay_alu instid0(VALU_DEP_2) | instskip(SKIP_3) | instid1(VALU_DEP_3)
	v_cmp_le_i32_e32 vcc_lo, s9, v27
	v_cmp_gt_i32_e64 s0, s10, v27
	v_subrev_nc_u32_e32 v35, s9, v27
	v_ashrrev_i32_e32 v13, 31, v12
	s_and_b32 s0, vcc_lo, s0
	s_delay_alu instid0(SALU_CYCLE_1) | instskip(SKIP_1) | instid1(VALU_DEP_1)
	s_and_b32 vcc_lo, s17, s0
	v_sub_f32_e32 v34, v9, v16
	v_mul_f32_e32 v9, 0x3fb8aa3b, v34
	s_delay_alu instid0(VALU_DEP_1) | instskip(SKIP_1) | instid1(VALU_DEP_2)
	v_fma_f32 v11, 0x3fb8aa3b, v34, -v9
	v_rndne_f32_e32 v28, v9
	v_fmac_f32_e32 v11, 0x32a5705f, v34
	s_delay_alu instid0(VALU_DEP_2) | instskip(SKIP_2) | instid1(VALU_DEP_3)
	v_sub_f32_e32 v9, v9, v28
	v_cvt_i32_f32_e32 v33, v28
	v_lshlrev_b64 v[28:29], 2, v[12:13]
	v_add_f32_e32 v9, v9, v11
	v_ashrrev_i32_e32 v11, 31, v10
	s_delay_alu instid0(VALU_DEP_2) | instskip(SKIP_1) | instid1(VALU_DEP_2)
	v_exp_f32_e32 v32, v9
	v_ashrrev_i32_e32 v9, 31, v8
	v_lshlrev_b64 v[30:31], 2, v[10:11]
	s_waitcnt_depctr 0xfff
	v_ldexp_f32 v11, v32, v33
	v_lshlrev_b64 v[32:33], 2, v[8:9]
	v_cndmask_b32_e32 v9, 16, v35, vcc_lo
	v_cmp_ngt_f32_e32 vcc_lo, 0xc2ce8ed0, v34
	s_delay_alu instid0(VALU_DEP_4) | instskip(SKIP_3) | instid1(VALU_DEP_4)
	v_cndmask_b32_e32 v11, 0, v11, vcc_lo
	v_add_co_u32 v28, vcc_lo, s12, v28
	v_add_co_ci_u32_e32 v29, vcc_lo, s13, v29, vcc_lo
	v_cmp_nlt_f32_e32 vcc_lo, 0x42b17218, v34
	v_cndmask_b32_e32 v11, 0x7f800000, v11, vcc_lo
	s_waitcnt lgkmcnt(0)
	v_add_co_u32 v30, vcc_lo, s4, v30
	v_add_co_ci_u32_e32 v31, vcc_lo, s5, v31, vcc_lo
	s_delay_alu instid0(VALU_DEP_3)
	v_add_f32_e32 v14, v14, v11
	v_add_co_u32 v32, vcc_lo, s6, v32
	v_add_co_ci_u32_e32 v33, vcc_lo, s7, v33, vcc_lo
	global_store_b32 v[28:29], v11, off
	global_store_b32 v[30:31], v9, off
	;; [unrolled: 1-line block ×3, first 2 shown]
.LBB44_16:                              ;   in Loop: Header=BB44_14 Depth=1
	s_or_b32 exec_lo, exec_lo, s1
	s_delay_alu instid0(VALU_DEP_1) | instskip(SKIP_1) | instid1(VALU_DEP_1)
	v_ashrrev_i32_e32 v11, 31, v27
	s_mov_b32 s0, exec_lo
	v_lshrrev_b32_e32 v9, 29, v11
	s_delay_alu instid0(VALU_DEP_1) | instskip(NEXT) | instid1(VALU_DEP_1)
	v_add_nc_u32_e32 v13, v27, v9
	v_ashrrev_i32_e32 v9, 3, v13
	v_lshrrev_b32_e32 v13, 31, v13
	s_delay_alu instid0(VALU_DEP_1) | instskip(NEXT) | instid1(VALU_DEP_1)
	v_add_nc_u32_e32 v13, v9, v13
	v_and_b32_e32 v13, -2, v13
	s_delay_alu instid0(VALU_DEP_1) | instskip(NEXT) | instid1(VALU_DEP_1)
	v_sub_nc_u32_e32 v13, v9, v13
	v_cmpx_eq_u32_e64 v17, v13
	s_cbranch_execz .LBB44_13
; %bb.17:                               ;   in Loop: Header=BB44_14 Depth=1
	v_lshrrev_b32_e32 v11, 28, v11
	v_lshlrev_b32_e32 v9, 3, v9
	s_delay_alu instid0(VALU_DEP_2) | instskip(NEXT) | instid1(VALU_DEP_2)
	v_add_nc_u32_e32 v11, v27, v11
	v_sub_nc_u32_e32 v9, v27, v9
	s_delay_alu instid0(VALU_DEP_2) | instskip(NEXT) | instid1(VALU_DEP_1)
	v_ashrrev_i32_e32 v11, 4, v11
	v_lshl_add_u32 v9, v11, 3, v9
	s_delay_alu instid0(VALU_DEP_1)
	v_cmp_ne_u32_e32 vcc_lo, 7, v9
	v_cndmask_b32_e32 v3, 0xff800000, v3, vcc_lo
	v_cmp_ne_u32_e32 vcc_lo, 6, v9
	v_cndmask_b32_e32 v2, 0xff800000, v2, vcc_lo
	;; [unrolled: 2-line block ×8, first 2 shown]
	s_branch .LBB44_13
.LBB44_18:
	s_delay_alu instid0(VALU_DEP_1)
	v_sub_f32_e32 v7, v7, v16
	v_sub_f32_e32 v6, v6, v16
	;; [unrolled: 1-line block ×5, first 2 shown]
	v_mul_f32_e32 v11, 0x3fb8aa3b, v7
	v_dual_sub_f32 v5, v5, v16 :: v_dual_mul_f32 v10, 0x3fb8aa3b, v6
	v_sub_f32_e32 v4, v4, v16
	s_delay_alu instid0(VALU_DEP_3) | instskip(NEXT) | instid1(VALU_DEP_3)
	v_rndne_f32_e32 v22, v11
	v_mul_f32_e32 v9, 0x3fb8aa3b, v5
	s_delay_alu instid0(VALU_DEP_4) | instskip(SKIP_2) | instid1(VALU_DEP_4)
	v_fma_f32 v19, 0x3fb8aa3b, v6, -v10
	v_rndne_f32_e32 v20, v10
	v_cmp_ngt_f32_e32 vcc_lo, 0xc2ce8ed0, v4
	v_rndne_f32_e32 v18, v9
	v_mul_f32_e32 v8, 0x3fb8aa3b, v4
	v_fma_f32 v17, 0x3fb8aa3b, v5, -v9
	v_dual_fmac_f32 v19, 0x32a5705f, v6 :: v_dual_sub_f32 v10, v10, v20
	s_delay_alu instid0(VALU_DEP_4) | instskip(NEXT) | instid1(VALU_DEP_4)
	v_sub_f32_e32 v9, v9, v18
	v_fma_f32 v12, 0x3fb8aa3b, v4, -v8
	v_rndne_f32_e32 v13, v8
	s_delay_alu instid0(VALU_DEP_4) | instskip(NEXT) | instid1(VALU_DEP_3)
	v_dual_fmac_f32 v17, 0x32a5705f, v5 :: v_dual_add_f32 v10, v10, v19
	v_fmac_f32_e32 v12, 0x32a5705f, v4
	s_delay_alu instid0(VALU_DEP_3) | instskip(NEXT) | instid1(VALU_DEP_3)
	v_sub_f32_e32 v8, v8, v13
	v_add_f32_e32 v9, v9, v17
	v_fma_f32 v21, 0x3fb8aa3b, v7, -v11
	v_sub_f32_e32 v11, v11, v22
	v_exp_f32_e32 v10, v10
	v_add_f32_e32 v8, v8, v12
	v_exp_f32_e32 v9, v9
	v_cvt_i32_f32_e32 v12, v13
	v_cvt_i32_f32_e32 v13, v18
	s_delay_alu instid0(VALU_DEP_3)
	v_exp_f32_e32 v8, v8
	s_waitcnt_depctr 0xfff
	v_ldexp_f32 v9, v9, v13
	v_mul_f32_e32 v13, 0x3fb8aa3b, v3
	v_ldexp_f32 v8, v8, v12
	v_fmac_f32_e32 v21, 0x32a5705f, v7
	v_cvt_i32_f32_e32 v12, v20
	s_delay_alu instid0(VALU_DEP_3) | instskip(SKIP_1) | instid1(VALU_DEP_3)
	v_cndmask_b32_e32 v8, 0, v8, vcc_lo
	v_cmp_ngt_f32_e32 vcc_lo, 0xc2ce8ed0, v5
	v_ldexp_f32 v10, v10, v12
	v_cndmask_b32_e32 v9, 0, v9, vcc_lo
	v_cmp_nlt_f32_e32 vcc_lo, 0x42b17218, v4
	v_dual_add_f32 v11, v11, v21 :: v_dual_cndmask_b32 v4, 0x7f800000, v8
	v_cmp_nlt_f32_e32 vcc_lo, 0x42b17218, v5
	s_delay_alu instid0(VALU_DEP_2)
	v_exp_f32_e32 v11, v11
	v_cndmask_b32_e32 v5, 0x7f800000, v9, vcc_lo
	v_cmp_ngt_f32_e32 vcc_lo, 0xc2ce8ed0, v6
	v_cvt_i32_f32_e32 v9, v22
	v_cndmask_b32_e32 v8, 0, v10, vcc_lo
	v_cmp_nlt_f32_e32 vcc_lo, 0x42b17218, v6
	v_add_f32_e32 v4, v4, v5
	v_mul_f32_e32 v6, 0x3fb8aa3b, v0
	s_delay_alu instid0(VALU_DEP_4) | instskip(NEXT) | instid1(TRANS32_DEP_1)
	v_cndmask_b32_e32 v5, 0x7f800000, v8, vcc_lo
	v_ldexp_f32 v8, v11, v9
	s_delay_alu instid0(VALU_DEP_3) | instskip(SKIP_1) | instid1(VALU_DEP_4)
	v_rndne_f32_e32 v9, v6
	v_cmp_ngt_f32_e32 vcc_lo, 0xc2ce8ed0, v7
	v_add_f32_e32 v4, v4, v5
	v_fma_f32 v5, 0x3fb8aa3b, v0, -v6
	s_delay_alu instid0(VALU_DEP_4) | instskip(SKIP_1) | instid1(VALU_DEP_3)
	v_sub_f32_e32 v6, v6, v9
	v_cvt_i32_f32_e32 v9, v9
	v_fmac_f32_e32 v5, 0x32a5705f, v0
	v_cndmask_b32_e32 v8, 0, v8, vcc_lo
	v_cmp_nlt_f32_e32 vcc_lo, 0x42b17218, v7
	s_delay_alu instid0(VALU_DEP_3) | instskip(NEXT) | instid1(VALU_DEP_3)
	v_add_f32_e32 v5, v6, v5
	v_cndmask_b32_e32 v7, 0x7f800000, v8, vcc_lo
	v_cmp_ngt_f32_e32 vcc_lo, 0xc2ce8ed0, v0
	s_delay_alu instid0(VALU_DEP_3)
	v_exp_f32_e32 v5, v5
	s_waitcnt_depctr 0xfff
	v_ldexp_f32 v5, v5, v9
	v_sub_f32_e32 v2, v2, v16
	v_rndne_f32_e32 v16, v13
	v_mul_f32_e32 v8, 0x3fb8aa3b, v1
	s_delay_alu instid0(VALU_DEP_3) | instskip(NEXT) | instid1(VALU_DEP_3)
	v_dual_cndmask_b32 v5, 0, v5 :: v_dual_mul_f32 v10, 0x3fb8aa3b, v2
	v_sub_f32_e32 v9, v13, v16
	s_delay_alu instid0(VALU_DEP_3) | instskip(SKIP_1) | instid1(VALU_DEP_4)
	v_fma_f32 v6, 0x3fb8aa3b, v1, -v8
	v_cmp_nlt_f32_e32 vcc_lo, 0x42b17218, v0
	v_fma_f32 v11, 0x3fb8aa3b, v2, -v10
	v_add_f32_e32 v4, v4, v7
	v_rndne_f32_e32 v7, v8
	v_fmac_f32_e32 v6, 0x32a5705f, v1
	v_rndne_f32_e32 v12, v10
	v_fmac_f32_e32 v11, 0x32a5705f, v2
	v_cndmask_b32_e32 v0, 0x7f800000, v5, vcc_lo
	v_sub_f32_e32 v8, v8, v7
	v_cvt_i32_f32_e32 v7, v7
	v_cmp_ngt_f32_e32 vcc_lo, 0xc2ce8ed0, v1
	v_cvt_i32_f32_e32 v5, v12
	v_add_f32_e32 v0, v4, v0
	v_add_f32_e32 v6, v8, v6
	s_delay_alu instid0(VALU_DEP_1) | instskip(SKIP_2) | instid1(VALU_DEP_1)
	v_exp_f32_e32 v6, v6
	s_waitcnt_depctr 0xfff
	v_ldexp_f32 v6, v6, v7
	v_cndmask_b32_e32 v6, 0, v6, vcc_lo
	v_cmp_nlt_f32_e32 vcc_lo, 0x42b17218, v1
	v_sub_f32_e32 v8, v10, v12
	v_fma_f32 v10, 0x3fb8aa3b, v3, -v13
	s_delay_alu instid0(VALU_DEP_2) | instskip(NEXT) | instid1(VALU_DEP_2)
	v_dual_cndmask_b32 v1, 0x7f800000, v6 :: v_dual_add_f32 v8, v8, v11
	v_fmac_f32_e32 v10, 0x32a5705f, v3
	v_cmp_ngt_f32_e32 vcc_lo, 0xc2ce8ed0, v2
	s_delay_alu instid0(VALU_DEP_3) | instskip(NEXT) | instid1(VALU_DEP_4)
	v_add_f32_e32 v0, v0, v1
	v_exp_f32_e32 v8, v8
	s_delay_alu instid0(VALU_DEP_3) | instskip(NEXT) | instid1(VALU_DEP_1)
	v_add_f32_e32 v9, v9, v10
	v_exp_f32_e32 v7, v9
	s_waitcnt_depctr 0xfff
	v_ldexp_f32 v4, v8, v5
	v_cvt_i32_f32_e32 v5, v16
	s_delay_alu instid0(VALU_DEP_2) | instskip(SKIP_1) | instid1(VALU_DEP_3)
	v_cndmask_b32_e32 v4, 0, v4, vcc_lo
	v_cmp_nlt_f32_e32 vcc_lo, 0x42b17218, v2
	v_ldexp_f32 v5, v7, v5
	s_delay_alu instid0(VALU_DEP_3) | instskip(SKIP_1) | instid1(VALU_DEP_2)
	v_cndmask_b32_e32 v1, 0x7f800000, v4, vcc_lo
	v_cmp_ngt_f32_e32 vcc_lo, 0xc2ce8ed0, v3
	v_add_f32_e32 v0, v0, v1
	s_delay_alu instid0(VALU_DEP_4) | instskip(SKIP_1) | instid1(VALU_DEP_2)
	v_cndmask_b32_e32 v2, 0, v5, vcc_lo
	v_cmp_nlt_f32_e32 vcc_lo, 0x42b17218, v3
	v_cndmask_b32_e32 v1, 0x7f800000, v2, vcc_lo
	s_delay_alu instid0(VALU_DEP_1) | instskip(NEXT) | instid1(VALU_DEP_1)
	v_add_f32_e32 v0, v0, v1
	v_mov_b32_dpp v1, v0 quad_perm:[1,0,3,2] row_mask:0xf bank_mask:0xf
	s_and_b32 exec_lo, exec_lo, s2
	s_cbranch_execz .LBB44_23
; %bb.19:
	s_delay_alu instid0(VALU_DEP_1) | instskip(NEXT) | instid1(VALU_DEP_1)
	v_add_f32_e32 v0, v0, v1
	v_add_f32_e32 v0, v14, v0
	s_delay_alu instid0(VALU_DEP_1)
	v_cmp_neq_f32_e32 vcc_lo, 0, v0
	s_and_b32 exec_lo, exec_lo, vcc_lo
	s_cbranch_execz .LBB44_23
; %bb.20:
	s_and_not1_b32 vcc_lo, exec_lo, s15
	s_cbranch_vccnz .LBB44_23
; %bb.21:
	v_div_scale_f32 v2, null, v0, v0, 1.0
	v_div_scale_f32 v4, vcc_lo, 1.0, v0, 1.0
	s_delay_alu instid0(VALU_DEP_2) | instskip(SKIP_2) | instid1(VALU_DEP_1)
	v_rcp_f32_e32 v3, v2
	s_waitcnt_depctr 0xfff
	v_fma_f32 v1, -v2, v3, 1.0
	v_fmac_f32_e32 v3, v1, v3
	v_mul_lo_u32 v1, v15, s11
	s_delay_alu instid0(VALU_DEP_2) | instskip(NEXT) | instid1(VALU_DEP_1)
	v_mul_f32_e32 v5, v4, v3
	v_fma_f32 v6, -v2, v5, v4
	s_delay_alu instid0(VALU_DEP_1) | instskip(NEXT) | instid1(VALU_DEP_1)
	v_fmac_f32_e32 v5, v6, v3
	v_fma_f32 v4, -v2, v5, v4
	v_ashrrev_i32_e32 v2, 31, v1
	s_delay_alu instid0(VALU_DEP_2) | instskip(NEXT) | instid1(VALU_DEP_2)
	v_div_fmas_f32 v5, v4, v3, v5
	v_lshlrev_b64 v[3:4], 2, v[1:2]
	s_delay_alu instid0(VALU_DEP_2) | instskip(NEXT) | instid1(VALU_DEP_2)
	v_div_fixup_f32 v2, v5, v0, 1.0
	v_add_co_u32 v0, vcc_lo, s12, v3
	s_delay_alu instid0(VALU_DEP_3)
	v_add_co_ci_u32_e32 v1, vcc_lo, s13, v4, vcc_lo
.LBB44_22:                              ; =>This Inner Loop Header: Depth=1
	global_load_b32 v3, v[0:1], off
	s_add_i32 s8, s8, -1
	s_delay_alu instid0(SALU_CYCLE_1)
	s_cmp_lg_u32 s8, 0
	s_waitcnt vmcnt(0)
	v_mul_f32_e32 v3, v2, v3
	global_store_b32 v[0:1], v3, off
	v_add_co_u32 v0, vcc_lo, v0, 4
	v_add_co_ci_u32_e32 v1, vcc_lo, 0, v1, vcc_lo
	s_cbranch_scc1 .LBB44_22
.LBB44_23:
	s_nop 0
	s_sendmsg sendmsg(MSG_DEALLOC_VGPRS)
	s_endpgm
	.section	.rodata,"a",@progbits
	.p2align	6, 0x0
	.amdhsa_kernel _ZN4vllm3moe17topkGatingSoftmaxIfLi8ELi16ELi8ELi32ELb0ELi1ELNS0_23SharedExpertScoringFuncE1EEEvPKT_PKbPfiPiS9_iiiiii
		.amdhsa_group_segment_fixed_size 0
		.amdhsa_private_segment_fixed_size 0
		.amdhsa_kernarg_size 72
		.amdhsa_user_sgpr_count 15
		.amdhsa_user_sgpr_dispatch_ptr 0
		.amdhsa_user_sgpr_queue_ptr 0
		.amdhsa_user_sgpr_kernarg_segment_ptr 1
		.amdhsa_user_sgpr_dispatch_id 0
		.amdhsa_user_sgpr_private_segment_size 0
		.amdhsa_wavefront_size32 1
		.amdhsa_uses_dynamic_stack 0
		.amdhsa_enable_private_segment 0
		.amdhsa_system_sgpr_workgroup_id_x 1
		.amdhsa_system_sgpr_workgroup_id_y 0
		.amdhsa_system_sgpr_workgroup_id_z 0
		.amdhsa_system_sgpr_workgroup_info 0
		.amdhsa_system_vgpr_workitem_id 1
		.amdhsa_next_free_vgpr 37
		.amdhsa_next_free_sgpr 19
		.amdhsa_reserve_vcc 1
		.amdhsa_float_round_mode_32 0
		.amdhsa_float_round_mode_16_64 0
		.amdhsa_float_denorm_mode_32 3
		.amdhsa_float_denorm_mode_16_64 3
		.amdhsa_dx10_clamp 1
		.amdhsa_ieee_mode 1
		.amdhsa_fp16_overflow 0
		.amdhsa_workgroup_processor_mode 1
		.amdhsa_memory_ordered 1
		.amdhsa_forward_progress 0
		.amdhsa_shared_vgpr_count 0
		.amdhsa_exception_fp_ieee_invalid_op 0
		.amdhsa_exception_fp_denorm_src 0
		.amdhsa_exception_fp_ieee_div_zero 0
		.amdhsa_exception_fp_ieee_overflow 0
		.amdhsa_exception_fp_ieee_underflow 0
		.amdhsa_exception_fp_ieee_inexact 0
		.amdhsa_exception_int_div_zero 0
	.end_amdhsa_kernel
	.section	.text._ZN4vllm3moe17topkGatingSoftmaxIfLi8ELi16ELi8ELi32ELb0ELi1ELNS0_23SharedExpertScoringFuncE1EEEvPKT_PKbPfiPiS9_iiiiii,"axG",@progbits,_ZN4vllm3moe17topkGatingSoftmaxIfLi8ELi16ELi8ELi32ELb0ELi1ELNS0_23SharedExpertScoringFuncE1EEEvPKT_PKbPfiPiS9_iiiiii,comdat
.Lfunc_end44:
	.size	_ZN4vllm3moe17topkGatingSoftmaxIfLi8ELi16ELi8ELi32ELb0ELi1ELNS0_23SharedExpertScoringFuncE1EEEvPKT_PKbPfiPiS9_iiiiii, .Lfunc_end44-_ZN4vllm3moe17topkGatingSoftmaxIfLi8ELi16ELi8ELi32ELb0ELi1ELNS0_23SharedExpertScoringFuncE1EEEvPKT_PKbPfiPiS9_iiiiii
                                        ; -- End function
	.section	.AMDGPU.csdata,"",@progbits
; Kernel info:
; codeLenInByte = 3104
; NumSgprs: 21
; NumVgprs: 37
; ScratchSize: 0
; MemoryBound: 0
; FloatMode: 240
; IeeeMode: 1
; LDSByteSize: 0 bytes/workgroup (compile time only)
; SGPRBlocks: 2
; VGPRBlocks: 4
; NumSGPRsForWavesPerEU: 21
; NumVGPRsForWavesPerEU: 37
; Occupancy: 16
; WaveLimiterHint : 0
; COMPUTE_PGM_RSRC2:SCRATCH_EN: 0
; COMPUTE_PGM_RSRC2:USER_SGPR: 15
; COMPUTE_PGM_RSRC2:TRAP_HANDLER: 0
; COMPUTE_PGM_RSRC2:TGID_X_EN: 1
; COMPUTE_PGM_RSRC2:TGID_Y_EN: 0
; COMPUTE_PGM_RSRC2:TGID_Z_EN: 0
; COMPUTE_PGM_RSRC2:TIDIG_COMP_CNT: 1
	.section	.text._ZN4vllm3moe17topkGatingSoftmaxIfLi8ELi16ELi8ELi32ELb1ELi2ELNS0_23SharedExpertScoringFuncE1EEEvPKT_PKbPfiPiS9_iiiiii,"axG",@progbits,_ZN4vllm3moe17topkGatingSoftmaxIfLi8ELi16ELi8ELi32ELb1ELi2ELNS0_23SharedExpertScoringFuncE1EEEvPKT_PKbPfiPiS9_iiiiii,comdat
	.protected	_ZN4vllm3moe17topkGatingSoftmaxIfLi8ELi16ELi8ELi32ELb1ELi2ELNS0_23SharedExpertScoringFuncE1EEEvPKT_PKbPfiPiS9_iiiiii ; -- Begin function _ZN4vllm3moe17topkGatingSoftmaxIfLi8ELi16ELi8ELi32ELb1ELi2ELNS0_23SharedExpertScoringFuncE1EEEvPKT_PKbPfiPiS9_iiiiii
	.globl	_ZN4vllm3moe17topkGatingSoftmaxIfLi8ELi16ELi8ELi32ELb1ELi2ELNS0_23SharedExpertScoringFuncE1EEEvPKT_PKbPfiPiS9_iiiiii
	.p2align	8
	.type	_ZN4vllm3moe17topkGatingSoftmaxIfLi8ELi16ELi8ELi32ELb1ELi2ELNS0_23SharedExpertScoringFuncE1EEEvPKT_PKbPfiPiS9_iiiiii,@function
_ZN4vllm3moe17topkGatingSoftmaxIfLi8ELi16ELi8ELi32ELb1ELi2ELNS0_23SharedExpertScoringFuncE1EEEvPKT_PKbPfiPiS9_iiiiii: ; @_ZN4vllm3moe17topkGatingSoftmaxIfLi8ELi16ELi8ELi32ELb1ELi2ELNS0_23SharedExpertScoringFuncE1EEEvPKT_PKbPfiPiS9_iiiiii
; %bb.0:
	s_load_b32 s3, s[0:1], 0x18
	v_bfe_u32 v1, v0, 10, 10
	v_and_b32_e32 v0, 0x3ff, v0
	s_lshl_b32 s17, s15, 7
	s_mov_b32 s2, exec_lo
	s_delay_alu instid0(VALU_DEP_2) | instskip(NEXT) | instid1(VALU_DEP_2)
	v_lshlrev_b32_e32 v14, 4, v1
	v_lshrrev_b32_e32 v24, 1, v0
	s_delay_alu instid0(VALU_DEP_1) | instskip(SKIP_1) | instid1(VALU_DEP_1)
	v_add3_u32 v27, s17, v14, v24
	s_waitcnt lgkmcnt(0)
	v_cmpx_gt_i32_e64 s3, v27
	s_cbranch_execz .LBB45_20
; %bb.1:
	s_clause 0x1
	s_load_b128 s[4:7], s[0:1], 0x0
	s_load_b64 s[12:13], s[0:1], 0x10
	s_waitcnt lgkmcnt(0)
	s_cmp_eq_u64 s[6:7], 0
	s_cbranch_scc1 .LBB45_3
; %bb.2:
	v_ashrrev_i32_e32 v2, 31, v27
	v_add_co_u32 v1, vcc_lo, s6, v27
	s_delay_alu instid0(VALU_DEP_2) | instskip(SKIP_3) | instid1(VALU_DEP_1)
	v_add_co_ci_u32_e32 v2, vcc_lo, s7, v2, vcc_lo
	global_load_u8 v1, v[1:2], off
	s_waitcnt vmcnt(0)
	v_and_b32_e32 v1, 1, v1
	v_cmp_eq_u32_e32 vcc_lo, 1, v1
	s_xor_b32 s2, vcc_lo, -1
	s_delay_alu instid0(SALU_CYCLE_1)
	s_or_not1_b32 s16, s2, exec_lo
	s_branch .LBB45_4
.LBB45_3:
	s_mov_b32 s16, -1
.LBB45_4:
	s_load_b64 s[14:15], s[0:1], 0x40
	v_and_b32_e32 v15, 1, v0
	v_mov_b32_e32 v25, 0
	s_waitcnt lgkmcnt(0)
	v_mul_lo_u32 v1, v27, s15
	s_delay_alu instid0(VALU_DEP_1) | instskip(NEXT) | instid1(VALU_DEP_1)
	v_ashrrev_i32_e32 v2, 31, v1
	v_lshlrev_b64 v[0:1], 2, v[1:2]
	v_lshlrev_b32_e32 v2, 2, v15
	s_delay_alu instid0(VALU_DEP_2) | instskip(NEXT) | instid1(VALU_DEP_3)
	v_add_co_u32 v3, vcc_lo, s4, v0
	v_add_co_ci_u32_e32 v5, vcc_lo, s5, v1, vcc_lo
	s_load_b128 s[4:7], s[0:1], 0x30
	s_delay_alu instid0(VALU_DEP_2) | instskip(NEXT) | instid1(VALU_DEP_2)
	v_add_co_u32 v0, vcc_lo, v3, v2
	v_add_co_ci_u32_e32 v1, vcc_lo, 0, v5, vcc_lo
	global_load_b32 v8, v[0:1], off offset:64
	s_waitcnt lgkmcnt(0)
	s_cmp_gt_i32 s4, 0
	s_waitcnt vmcnt(0)
	v_mul_f32_e32 v9, 0xbfb8aa3b, v8
	v_cmp_ngt_f32_e64 s2, 0xc2b17218, v8
	s_delay_alu instid0(VALU_DEP_2) | instskip(SKIP_1) | instid1(VALU_DEP_2)
	v_fma_f32 v10, 0xbfb8aa3b, v8, -v9
	v_rndne_f32_e32 v11, v9
	v_fmamk_f32 v10, v8, 0xb2a5705f, v10
	v_lshlrev_b32_e32 v16, 3, v15
	s_delay_alu instid0(VALU_DEP_1) | instskip(NEXT) | instid1(VALU_DEP_4)
	v_or_b32_e32 v17, 1, v16
	v_sub_f32_e32 v9, v9, v11
	s_delay_alu instid0(VALU_DEP_1) | instskip(NEXT) | instid1(VALU_DEP_1)
	v_dual_add_f32 v9, v9, v10 :: v_dual_lshlrev_b32 v0, 5, v15
	v_add_co_u32 v4, vcc_lo, v3, v0
	v_add_co_ci_u32_e32 v5, vcc_lo, 0, v5, vcc_lo
	s_clause 0x1
	global_load_b128 v[0:3], v[4:5], off
	global_load_b128 v[4:7], v[4:5], off offset:16
	v_exp_f32_e32 v9, v9
	v_cvt_i32_f32_e32 v10, v11
	s_waitcnt_depctr 0xfff
	v_ldexp_f32 v9, v9, v10
	s_waitcnt vmcnt(1)
	v_cmp_lt_f32_e32 vcc_lo, v0, v1
	v_cndmask_b32_e32 v11, v0, v1, vcc_lo
	v_cndmask_b32_e32 v10, v16, v17, vcc_lo
	v_cmp_nlt_f32_e32 vcc_lo, 0x42ce8ed0, v8
	v_or_b32_e32 v18, 2, v16
	v_or_b32_e32 v19, 3, v16
	;; [unrolled: 1-line block ×4, first 2 shown]
	v_cndmask_b32_e32 v9, 0, v9, vcc_lo
	v_cmp_lt_f32_e32 vcc_lo, v11, v2
	v_or_b32_e32 v22, 6, v16
	v_or_b32_e32 v23, 7, v16
	s_delay_alu instid0(VALU_DEP_4) | instskip(SKIP_2) | instid1(VALU_DEP_3)
	v_cndmask_b32_e64 v8, 0x7f800000, v9, s2
	v_cndmask_b32_e32 v9, v10, v18, vcc_lo
	v_cndmask_b32_e32 v10, v11, v2, vcc_lo
	v_add_f32_e32 v30, 1.0, v8
	s_delay_alu instid0(VALU_DEP_2) | instskip(NEXT) | instid1(VALU_DEP_2)
	v_cmp_lt_f32_e32 vcc_lo, v10, v3
	v_div_scale_f32 v11, null, v30, v30, 1.0
	v_div_scale_f32 v28, s2, 1.0, v30, 1.0
	s_delay_alu instid0(VALU_DEP_2) | instskip(SKIP_2) | instid1(VALU_DEP_1)
	v_rcp_f32_e32 v26, v11
	s_waitcnt_depctr 0xfff
	v_fma_f32 v12, -v11, v26, 1.0
	v_fmac_f32_e32 v26, v12, v26
	s_delay_alu instid0(VALU_DEP_1) | instskip(SKIP_1) | instid1(VALU_DEP_2)
	v_dual_cndmask_b32 v8, v9, v19 :: v_dual_mul_f32 v29, v28, v26
	v_cndmask_b32_e32 v9, v10, v3, vcc_lo
	v_fma_f32 v13, -v11, v29, v28
	s_waitcnt vmcnt(0)
	s_delay_alu instid0(VALU_DEP_2) | instskip(NEXT) | instid1(VALU_DEP_2)
	v_cmp_lt_f32_e32 vcc_lo, v9, v4
	v_dual_fmac_f32 v29, v13, v26 :: v_dual_cndmask_b32 v10, v8, v20
	v_cndmask_b32_e32 v9, v9, v4, vcc_lo
	v_mul_lo_u32 v8, v27, s7
	s_cselect_b32 s7, -1, 0
	s_cmp_lt_i32 s4, 1
	s_delay_alu instid0(VALU_DEP_2) | instskip(SKIP_2) | instid1(VALU_DEP_4)
	v_cmp_lt_f32_e32 vcc_lo, v9, v5
	v_cndmask_b32_e32 v10, v10, v21, vcc_lo
	v_cndmask_b32_e32 v12, v9, v5, vcc_lo
	v_add3_u32 v9, v8, s4, v15
	s_delay_alu instid0(VALU_DEP_2) | instskip(NEXT) | instid1(VALU_DEP_4)
	v_cmp_lt_f32_e32 vcc_lo, v12, v6
	v_cndmask_b32_e32 v31, v10, v22, vcc_lo
	v_cndmask_b32_e32 v32, v12, v6, vcc_lo
	s_delay_alu instid0(VALU_DEP_4) | instskip(NEXT) | instid1(VALU_DEP_2)
	v_ashrrev_i32_e32 v10, 31, v9
	v_cmp_lt_f32_e32 vcc_lo, v32, v7
	s_delay_alu instid0(VALU_DEP_2) | instskip(SKIP_4) | instid1(VALU_DEP_3)
	v_lshlrev_b64 v[12:13], 2, v[9:10]
	v_fma_f32 v10, -v11, v29, v28
	v_cndmask_b32_e32 v9, v31, v23, vcc_lo
	v_cndmask_b32_e32 v11, v32, v7, vcc_lo
	s_mov_b32 vcc_lo, s2
	v_div_fmas_f32 v10, v10, v26, v29
	v_add_co_u32 v28, vcc_lo, s12, v12
	v_add_co_ci_u32_e32 v29, vcc_lo, s13, v13, vcc_lo
	v_mov_b32_dpp v13, v9 quad_perm:[1,0,3,2] row_mask:0xf bank_mask:0xf
	v_mov_b32_dpp v26, v11 quad_perm:[1,0,3,2] row_mask:0xf bank_mask:0xf
	v_div_fixup_f32 v10, v10, v30, 1.0
	v_cmp_eq_u32_e32 vcc_lo, 0, v15
	global_store_b32 v[28:29], v10, off
	s_cbranch_scc1 .LBB45_16
; %bb.5:
	s_load_b128 s[8:11], s[0:1], 0x20
	v_cmp_eq_f32_e64 s0, v11, v26
	v_cmp_lt_i32_e64 s1, v13, v9
	v_cmp_lt_f32_e64 s2, v11, v26
	v_mul_lo_u32 v10, v27, s14
	v_mul_lo_u32 v12, v27, s4
	v_mov_b32_e32 v25, 0
	s_and_b32 s0, s0, s1
	s_delay_alu instid0(SALU_CYCLE_1) | instskip(NEXT) | instid1(SALU_CYCLE_1)
	s_or_b32 s0, s2, s0
	v_cndmask_b32_e64 v28, v9, v13, s0
	v_cndmask_b32_e64 v26, v11, v26, s0
	s_and_saveexec_b32 s2, vcc_lo
	s_cbranch_execz .LBB45_7
; %bb.6:
	s_delay_alu instid0(VALU_DEP_1)
	v_sub_f32_e32 v25, v26, v26
	v_cmp_le_i32_e64 s0, s5, v28
	v_cmp_gt_i32_e64 s1, s6, v28
	v_subrev_nc_u32_e32 v35, s5, v28
	v_ashrrev_i32_e32 v13, 31, v12
	v_mul_f32_e32 v9, 0x3fb8aa3b, v25
	s_delay_alu instid0(VALU_DEP_4) | instskip(NEXT) | instid1(SALU_CYCLE_1)
	s_and_b32 s0, s0, s1
	s_and_b32 s0, s16, s0
	s_delay_alu instid0(VALU_DEP_1) | instskip(SKIP_2) | instid1(VALU_DEP_3)
	v_rndne_f32_e32 v31, v9
	v_fma_f32 v11, 0x3fb8aa3b, v25, -v9
	v_lshlrev_b64 v[33:34], 2, v[12:13]
	v_sub_f32_e32 v9, v9, v31
	s_delay_alu instid0(VALU_DEP_3) | instskip(NEXT) | instid1(VALU_DEP_1)
	v_fmamk_f32 v11, v25, 0x32a5705f, v11
	v_add_f32_e32 v11, v9, v11
	v_ashrrev_i32_e32 v9, 31, v8
	s_delay_alu instid0(VALU_DEP_2) | instskip(NEXT) | instid1(VALU_DEP_1)
	v_exp_f32_e32 v36, v11
	v_lshlrev_b64 v[29:30], 2, v[8:9]
	v_ashrrev_i32_e32 v11, 31, v10
	v_cvt_i32_f32_e32 v9, v31
	s_delay_alu instid0(VALU_DEP_2) | instskip(SKIP_2) | instid1(VALU_DEP_1)
	v_lshlrev_b64 v[31:32], 2, v[10:11]
	v_cndmask_b32_e64 v11, 16, v35, s0
	v_add_co_u32 v29, s0, s12, v29
	v_add_co_ci_u32_e64 v30, s0, s13, v30, s0
	s_delay_alu instid0(TRANS32_DEP_1) | instskip(SKIP_1) | instid1(VALU_DEP_1)
	v_ldexp_f32 v9, v36, v9
	v_cmp_ngt_f32_e64 s0, 0xc2ce8ed0, v25
	v_cndmask_b32_e64 v9, 0, v9, s0
	s_waitcnt lgkmcnt(0)
	v_add_co_u32 v31, s0, s8, v31
	s_delay_alu instid0(VALU_DEP_1) | instskip(SKIP_1) | instid1(VALU_DEP_1)
	v_add_co_ci_u32_e64 v32, s0, s9, v32, s0
	v_cmp_nlt_f32_e64 s0, 0x42b17218, v25
	v_cndmask_b32_e64 v25, 0x7f800000, v9, s0
	v_add_co_u32 v33, s0, s10, v33
	s_delay_alu instid0(VALU_DEP_1)
	v_add_co_ci_u32_e64 v34, s0, s11, v34, s0
	global_store_b32 v[31:32], v11, off
	global_store_b32 v[29:30], v25, off
	;; [unrolled: 1-line block ×3, first 2 shown]
.LBB45_7:
	s_or_b32 exec_lo, exec_lo, s2
	v_ashrrev_i32_e32 v11, 31, v28
	s_mov_b32 s1, exec_lo
	s_delay_alu instid0(VALU_DEP_1) | instskip(NEXT) | instid1(VALU_DEP_1)
	v_lshrrev_b32_e32 v9, 29, v11
	v_add_nc_u32_e32 v13, v28, v9
	s_delay_alu instid0(VALU_DEP_1) | instskip(SKIP_1) | instid1(VALU_DEP_1)
	v_ashrrev_i32_e32 v9, 3, v13
	v_lshrrev_b32_e32 v13, 31, v13
	v_add_nc_u32_e32 v13, v9, v13
	s_delay_alu instid0(VALU_DEP_1) | instskip(NEXT) | instid1(VALU_DEP_1)
	v_and_b32_e32 v13, -2, v13
	v_sub_nc_u32_e32 v13, v9, v13
	s_delay_alu instid0(VALU_DEP_1)
	v_cmpx_eq_u32_e64 v15, v13
	s_cbranch_execz .LBB45_9
; %bb.8:
	v_lshrrev_b32_e32 v11, 28, v11
	v_lshlrev_b32_e32 v9, 3, v9
	s_delay_alu instid0(VALU_DEP_2) | instskip(NEXT) | instid1(VALU_DEP_2)
	v_add_nc_u32_e32 v11, v28, v11
	v_sub_nc_u32_e32 v9, v28, v9
	s_delay_alu instid0(VALU_DEP_2) | instskip(NEXT) | instid1(VALU_DEP_1)
	v_ashrrev_i32_e32 v11, 4, v11
	v_lshl_add_u32 v9, v11, 3, v9
	s_delay_alu instid0(VALU_DEP_1) | instskip(NEXT) | instid1(VALU_DEP_1)
	v_cmp_ne_u32_e64 s0, 7, v9
	v_cndmask_b32_e64 v7, 0xff800000, v7, s0
	v_cmp_ne_u32_e64 s0, 6, v9
	s_delay_alu instid0(VALU_DEP_1) | instskip(SKIP_1) | instid1(VALU_DEP_1)
	v_cndmask_b32_e64 v6, 0xff800000, v6, s0
	v_cmp_ne_u32_e64 s0, 5, v9
	v_cndmask_b32_e64 v5, 0xff800000, v5, s0
	v_cmp_ne_u32_e64 s0, 4, v9
	s_delay_alu instid0(VALU_DEP_1) | instskip(SKIP_1) | instid1(VALU_DEP_1)
	v_cndmask_b32_e64 v4, 0xff800000, v4, s0
	;; [unrolled: 5-line block ×3, first 2 shown]
	v_cmp_ne_u32_e64 s0, 1, v9
	v_cndmask_b32_e64 v1, 0xff800000, v1, s0
	v_cmp_ne_u32_e64 s0, 0, v9
	s_delay_alu instid0(VALU_DEP_1)
	v_cndmask_b32_e64 v0, 0xff800000, v0, s0
.LBB45_9:
	s_or_b32 exec_lo, exec_lo, s1
	s_cmp_eq_u32 s4, 1
	s_cbranch_scc1 .LBB45_16
; %bb.10:
	s_add_i32 s17, s17, s3
	v_add_nc_u32_e32 v9, 1, v12
	v_add3_u32 v24, s17, v24, v14
	v_add_nc_u32_e32 v11, 1, v10
	v_add_nc_u32_e32 v13, 1, v8
	s_add_i32 s14, s4, -1
	s_branch .LBB45_12
.LBB45_11:                              ;   in Loop: Header=BB45_12 Depth=1
	s_or_b32 exec_lo, exec_lo, s1
	v_add_nc_u32_e32 v24, s3, v24
	v_add_nc_u32_e32 v9, 1, v9
	v_add_nc_u32_e32 v11, 1, v11
	v_add_nc_u32_e32 v13, 1, v13
	s_add_i32 s14, s14, -1
	s_delay_alu instid0(SALU_CYCLE_1)
	s_cmp_eq_u32 s14, 0
	s_cbranch_scc1 .LBB45_16
.LBB45_12:                              ; =>This Inner Loop Header: Depth=1
	v_cmp_gt_f32_e64 s0, v1, v0
	s_delay_alu instid0(VALU_DEP_1) | instskip(SKIP_1) | instid1(VALU_DEP_2)
	v_cndmask_b32_e64 v12, v0, v1, s0
	v_cndmask_b32_e64 v10, v16, v17, s0
	v_cmp_gt_f32_e64 s0, v2, v12
	s_delay_alu instid0(VALU_DEP_1) | instskip(NEXT) | instid1(VALU_DEP_3)
	v_cndmask_b32_e64 v12, v12, v2, s0
	v_cndmask_b32_e64 v10, v10, v18, s0
	s_delay_alu instid0(VALU_DEP_2) | instskip(NEXT) | instid1(VALU_DEP_1)
	v_cmp_gt_f32_e64 s0, v3, v12
	v_cndmask_b32_e64 v12, v12, v3, s0
	s_delay_alu instid0(VALU_DEP_3) | instskip(NEXT) | instid1(VALU_DEP_2)
	v_cndmask_b32_e64 v10, v10, v19, s0
	v_cmp_gt_f32_e64 s0, v4, v12
	s_delay_alu instid0(VALU_DEP_1) | instskip(NEXT) | instid1(VALU_DEP_3)
	v_cndmask_b32_e64 v12, v12, v4, s0
	v_cndmask_b32_e64 v10, v10, v20, s0
	s_delay_alu instid0(VALU_DEP_2) | instskip(NEXT) | instid1(VALU_DEP_1)
	v_cmp_gt_f32_e64 s0, v5, v12
	v_cndmask_b32_e64 v12, v12, v5, s0
	s_delay_alu instid0(VALU_DEP_3) | instskip(NEXT) | instid1(VALU_DEP_2)
	v_cndmask_b32_e64 v10, v10, v21, s0
	v_cmp_gt_f32_e64 s0, v6, v12
	s_delay_alu instid0(VALU_DEP_1) | instskip(NEXT) | instid1(VALU_DEP_3)
	v_cndmask_b32_e64 v12, v12, v6, s0
	v_cndmask_b32_e64 v10, v10, v22, s0
	s_delay_alu instid0(VALU_DEP_2) | instskip(NEXT) | instid1(VALU_DEP_1)
	v_cmp_gt_f32_e64 s0, v7, v12
	v_cndmask_b32_e64 v14, v10, v23, s0
	v_cndmask_b32_e64 v10, v12, v7, s0
	s_delay_alu instid0(VALU_DEP_2) | instskip(NEXT) | instid1(VALU_DEP_2)
	v_mov_b32_dpp v27, v14 quad_perm:[1,0,3,2] row_mask:0xf bank_mask:0xf
	v_mov_b32_dpp v12, v10 quad_perm:[1,0,3,2] row_mask:0xf bank_mask:0xf
	s_delay_alu instid0(VALU_DEP_2) | instskip(NEXT) | instid1(VALU_DEP_2)
	v_cmp_lt_i32_e64 s0, v27, v14
	v_cmp_eq_f32_e64 s1, v10, v12
	v_cmp_lt_f32_e64 s2, v10, v12
	s_delay_alu instid0(VALU_DEP_2)
	s_and_b32 s0, s1, s0
	s_delay_alu instid0(VALU_DEP_1) | instid1(SALU_CYCLE_1)
	s_or_b32 s0, s2, s0
	s_delay_alu instid0(SALU_CYCLE_1)
	v_cndmask_b32_e64 v27, v14, v27, s0
	s_and_saveexec_b32 s2, vcc_lo
	s_cbranch_execz .LBB45_14
; %bb.13:                               ;   in Loop: Header=BB45_12 Depth=1
	v_cndmask_b32_e64 v10, v10, v12, s0
	s_delay_alu instid0(VALU_DEP_2) | instskip(SKIP_4) | instid1(VALU_DEP_4)
	v_cmp_le_i32_e64 s0, s5, v27
	v_cmp_gt_i32_e64 s1, s6, v27
	v_ashrrev_i32_e32 v14, 31, v13
	v_subrev_nc_u32_e32 v35, s5, v27
	v_sub_f32_e32 v34, v10, v26
	s_and_b32 s0, s0, s1
	s_delay_alu instid0(SALU_CYCLE_1) | instskip(NEXT) | instid1(VALU_DEP_1)
	s_and_b32 s0, s16, s0
	v_mul_f32_e32 v10, 0x3fb8aa3b, v34
	s_delay_alu instid0(VALU_DEP_1) | instskip(SKIP_1) | instid1(VALU_DEP_2)
	v_fma_f32 v12, 0x3fb8aa3b, v34, -v10
	v_rndne_f32_e32 v28, v10
	v_fmac_f32_e32 v12, 0x32a5705f, v34
	s_delay_alu instid0(VALU_DEP_2) | instskip(SKIP_2) | instid1(VALU_DEP_3)
	v_sub_f32_e32 v10, v10, v28
	v_cvt_i32_f32_e32 v33, v28
	v_lshlrev_b64 v[28:29], 2, v[13:14]
	v_add_f32_e32 v10, v10, v12
	v_ashrrev_i32_e32 v12, 31, v11
	s_delay_alu instid0(VALU_DEP_2) | instskip(SKIP_1) | instid1(VALU_DEP_2)
	v_exp_f32_e32 v32, v10
	v_ashrrev_i32_e32 v10, 31, v9
	v_lshlrev_b64 v[30:31], 2, v[11:12]
	s_waitcnt_depctr 0xfff
	v_ldexp_f32 v12, v32, v33
	v_lshlrev_b64 v[32:33], 2, v[9:10]
	v_cndmask_b32_e64 v10, 16, v35, s0
	v_cmp_ngt_f32_e64 s0, 0xc2ce8ed0, v34
	s_delay_alu instid0(VALU_DEP_1) | instskip(SKIP_1) | instid1(VALU_DEP_1)
	v_cndmask_b32_e64 v12, 0, v12, s0
	v_add_co_u32 v28, s0, s12, v28
	v_add_co_ci_u32_e64 v29, s0, s13, v29, s0
	v_cmp_nlt_f32_e64 s0, 0x42b17218, v34
	s_delay_alu instid0(VALU_DEP_1) | instskip(SKIP_2) | instid1(VALU_DEP_1)
	v_cndmask_b32_e64 v12, 0x7f800000, v12, s0
	s_waitcnt lgkmcnt(0)
	v_add_co_u32 v30, s0, s8, v30
	v_add_co_ci_u32_e64 v31, s0, s9, v31, s0
	s_delay_alu instid0(VALU_DEP_3) | instskip(SKIP_1) | instid1(VALU_DEP_1)
	v_add_f32_e32 v25, v25, v12
	v_add_co_u32 v32, s0, s10, v32
	v_add_co_ci_u32_e64 v33, s0, s11, v33, s0
	global_store_b32 v[28:29], v12, off
	global_store_b32 v[30:31], v10, off
	;; [unrolled: 1-line block ×3, first 2 shown]
.LBB45_14:                              ;   in Loop: Header=BB45_12 Depth=1
	s_or_b32 exec_lo, exec_lo, s2
	s_delay_alu instid0(VALU_DEP_1) | instskip(SKIP_1) | instid1(VALU_DEP_1)
	v_ashrrev_i32_e32 v12, 31, v27
	s_mov_b32 s1, exec_lo
	v_lshrrev_b32_e32 v10, 29, v12
	s_delay_alu instid0(VALU_DEP_1) | instskip(NEXT) | instid1(VALU_DEP_1)
	v_add_nc_u32_e32 v14, v27, v10
	v_ashrrev_i32_e32 v10, 3, v14
	v_lshrrev_b32_e32 v14, 31, v14
	s_delay_alu instid0(VALU_DEP_1) | instskip(NEXT) | instid1(VALU_DEP_1)
	v_add_nc_u32_e32 v14, v10, v14
	v_and_b32_e32 v14, -2, v14
	s_delay_alu instid0(VALU_DEP_1) | instskip(NEXT) | instid1(VALU_DEP_1)
	v_sub_nc_u32_e32 v14, v10, v14
	v_cmpx_eq_u32_e64 v15, v14
	s_cbranch_execz .LBB45_11
; %bb.15:                               ;   in Loop: Header=BB45_12 Depth=1
	v_lshrrev_b32_e32 v12, 28, v12
	v_lshlrev_b32_e32 v10, 3, v10
	s_delay_alu instid0(VALU_DEP_2) | instskip(NEXT) | instid1(VALU_DEP_2)
	v_add_nc_u32_e32 v12, v27, v12
	v_sub_nc_u32_e32 v10, v27, v10
	s_delay_alu instid0(VALU_DEP_2) | instskip(NEXT) | instid1(VALU_DEP_1)
	v_ashrrev_i32_e32 v12, 4, v12
	v_lshl_add_u32 v10, v12, 3, v10
	s_delay_alu instid0(VALU_DEP_1) | instskip(NEXT) | instid1(VALU_DEP_1)
	v_cmp_ne_u32_e64 s0, 7, v10
	v_cndmask_b32_e64 v7, 0xff800000, v7, s0
	v_cmp_ne_u32_e64 s0, 6, v10
	s_delay_alu instid0(VALU_DEP_1) | instskip(SKIP_1) | instid1(VALU_DEP_1)
	v_cndmask_b32_e64 v6, 0xff800000, v6, s0
	v_cmp_ne_u32_e64 s0, 5, v10
	v_cndmask_b32_e64 v5, 0xff800000, v5, s0
	v_cmp_ne_u32_e64 s0, 4, v10
	s_delay_alu instid0(VALU_DEP_1) | instskip(SKIP_1) | instid1(VALU_DEP_1)
	v_cndmask_b32_e64 v4, 0xff800000, v4, s0
	;; [unrolled: 5-line block ×3, first 2 shown]
	v_cmp_ne_u32_e64 s0, 1, v10
	v_cndmask_b32_e64 v1, 0xff800000, v1, s0
	v_cmp_ne_u32_e64 s0, 0, v10
	s_delay_alu instid0(VALU_DEP_1)
	v_cndmask_b32_e64 v0, 0xff800000, v0, s0
	s_branch .LBB45_11
.LBB45_16:
	v_cmp_eq_u32_e32 vcc_lo, 0, v15
	v_cmp_neq_f32_e64 s0, 0, v25
	s_delay_alu instid0(VALU_DEP_1) | instskip(NEXT) | instid1(SALU_CYCLE_1)
	s_and_b32 s0, vcc_lo, s0
	s_and_b32 exec_lo, exec_lo, s0
	s_cbranch_execz .LBB45_20
; %bb.17:
	s_and_not1_b32 vcc_lo, exec_lo, s7
	s_cbranch_vccnz .LBB45_20
; %bb.18:
	v_div_scale_f32 v0, null, v25, v25, 1.0
	v_div_scale_f32 v3, vcc_lo, 1.0, v25, 1.0
	v_ashrrev_i32_e32 v9, 31, v8
	s_delay_alu instid0(VALU_DEP_3) | instskip(SKIP_2) | instid1(VALU_DEP_1)
	v_rcp_f32_e32 v1, v0
	s_waitcnt_depctr 0xfff
	v_fma_f32 v2, -v0, v1, 1.0
	v_fmac_f32_e32 v1, v2, v1
	s_delay_alu instid0(VALU_DEP_1) | instskip(NEXT) | instid1(VALU_DEP_1)
	v_mul_f32_e32 v2, v3, v1
	v_fma_f32 v4, -v0, v2, v3
	s_delay_alu instid0(VALU_DEP_1) | instskip(NEXT) | instid1(VALU_DEP_1)
	v_fmac_f32_e32 v2, v4, v1
	v_fma_f32 v0, -v0, v2, v3
	s_delay_alu instid0(VALU_DEP_1) | instskip(SKIP_1) | instid1(VALU_DEP_2)
	v_div_fmas_f32 v2, v0, v1, v2
	v_lshlrev_b64 v[0:1], 2, v[8:9]
	v_div_fixup_f32 v2, v2, v25, 1.0
	s_delay_alu instid0(VALU_DEP_2) | instskip(NEXT) | instid1(VALU_DEP_3)
	v_add_co_u32 v0, vcc_lo, s12, v0
	v_add_co_ci_u32_e32 v1, vcc_lo, s13, v1, vcc_lo
.LBB45_19:                              ; =>This Inner Loop Header: Depth=1
	global_load_b32 v3, v[0:1], off
	s_add_i32 s4, s4, -1
	s_delay_alu instid0(SALU_CYCLE_1)
	s_cmp_lg_u32 s4, 0
	s_waitcnt vmcnt(0)
	v_mul_f32_e32 v3, v2, v3
	global_store_b32 v[0:1], v3, off
	v_add_co_u32 v0, vcc_lo, v0, 4
	v_add_co_ci_u32_e32 v1, vcc_lo, 0, v1, vcc_lo
	s_cbranch_scc1 .LBB45_19
.LBB45_20:
	s_nop 0
	s_sendmsg sendmsg(MSG_DEALLOC_VGPRS)
	s_endpgm
	.section	.rodata,"a",@progbits
	.p2align	6, 0x0
	.amdhsa_kernel _ZN4vllm3moe17topkGatingSoftmaxIfLi8ELi16ELi8ELi32ELb1ELi2ELNS0_23SharedExpertScoringFuncE1EEEvPKT_PKbPfiPiS9_iiiiii
		.amdhsa_group_segment_fixed_size 0
		.amdhsa_private_segment_fixed_size 0
		.amdhsa_kernarg_size 72
		.amdhsa_user_sgpr_count 15
		.amdhsa_user_sgpr_dispatch_ptr 0
		.amdhsa_user_sgpr_queue_ptr 0
		.amdhsa_user_sgpr_kernarg_segment_ptr 1
		.amdhsa_user_sgpr_dispatch_id 0
		.amdhsa_user_sgpr_private_segment_size 0
		.amdhsa_wavefront_size32 1
		.amdhsa_uses_dynamic_stack 0
		.amdhsa_enable_private_segment 0
		.amdhsa_system_sgpr_workgroup_id_x 1
		.amdhsa_system_sgpr_workgroup_id_y 0
		.amdhsa_system_sgpr_workgroup_id_z 0
		.amdhsa_system_sgpr_workgroup_info 0
		.amdhsa_system_vgpr_workitem_id 1
		.amdhsa_next_free_vgpr 37
		.amdhsa_next_free_sgpr 18
		.amdhsa_reserve_vcc 1
		.amdhsa_float_round_mode_32 0
		.amdhsa_float_round_mode_16_64 0
		.amdhsa_float_denorm_mode_32 3
		.amdhsa_float_denorm_mode_16_64 3
		.amdhsa_dx10_clamp 1
		.amdhsa_ieee_mode 1
		.amdhsa_fp16_overflow 0
		.amdhsa_workgroup_processor_mode 1
		.amdhsa_memory_ordered 1
		.amdhsa_forward_progress 0
		.amdhsa_shared_vgpr_count 0
		.amdhsa_exception_fp_ieee_invalid_op 0
		.amdhsa_exception_fp_denorm_src 0
		.amdhsa_exception_fp_ieee_div_zero 0
		.amdhsa_exception_fp_ieee_overflow 0
		.amdhsa_exception_fp_ieee_underflow 0
		.amdhsa_exception_fp_ieee_inexact 0
		.amdhsa_exception_int_div_zero 0
	.end_amdhsa_kernel
	.section	.text._ZN4vllm3moe17topkGatingSoftmaxIfLi8ELi16ELi8ELi32ELb1ELi2ELNS0_23SharedExpertScoringFuncE1EEEvPKT_PKbPfiPiS9_iiiiii,"axG",@progbits,_ZN4vllm3moe17topkGatingSoftmaxIfLi8ELi16ELi8ELi32ELb1ELi2ELNS0_23SharedExpertScoringFuncE1EEEvPKT_PKbPfiPiS9_iiiiii,comdat
.Lfunc_end45:
	.size	_ZN4vllm3moe17topkGatingSoftmaxIfLi8ELi16ELi8ELi32ELb1ELi2ELNS0_23SharedExpertScoringFuncE1EEEvPKT_PKbPfiPiS9_iiiiii, .Lfunc_end45-_ZN4vllm3moe17topkGatingSoftmaxIfLi8ELi16ELi8ELi32ELb1ELi2ELNS0_23SharedExpertScoringFuncE1EEEvPKT_PKbPfiPiS9_iiiiii
                                        ; -- End function
	.section	.AMDGPU.csdata,"",@progbits
; Kernel info:
; codeLenInByte = 2576
; NumSgprs: 20
; NumVgprs: 37
; ScratchSize: 0
; MemoryBound: 0
; FloatMode: 240
; IeeeMode: 1
; LDSByteSize: 0 bytes/workgroup (compile time only)
; SGPRBlocks: 2
; VGPRBlocks: 4
; NumSGPRsForWavesPerEU: 20
; NumVGPRsForWavesPerEU: 37
; Occupancy: 16
; WaveLimiterHint : 0
; COMPUTE_PGM_RSRC2:SCRATCH_EN: 0
; COMPUTE_PGM_RSRC2:USER_SGPR: 15
; COMPUTE_PGM_RSRC2:TRAP_HANDLER: 0
; COMPUTE_PGM_RSRC2:TGID_X_EN: 1
; COMPUTE_PGM_RSRC2:TGID_Y_EN: 0
; COMPUTE_PGM_RSRC2:TGID_Z_EN: 0
; COMPUTE_PGM_RSRC2:TIDIG_COMP_CNT: 1
	.section	.text._ZN4vllm3moe17topkGatingSoftmaxIfLi8ELi16ELi8ELi32ELb0ELi2ELNS0_23SharedExpertScoringFuncE1EEEvPKT_PKbPfiPiS9_iiiiii,"axG",@progbits,_ZN4vllm3moe17topkGatingSoftmaxIfLi8ELi16ELi8ELi32ELb0ELi2ELNS0_23SharedExpertScoringFuncE1EEEvPKT_PKbPfiPiS9_iiiiii,comdat
	.protected	_ZN4vllm3moe17topkGatingSoftmaxIfLi8ELi16ELi8ELi32ELb0ELi2ELNS0_23SharedExpertScoringFuncE1EEEvPKT_PKbPfiPiS9_iiiiii ; -- Begin function _ZN4vllm3moe17topkGatingSoftmaxIfLi8ELi16ELi8ELi32ELb0ELi2ELNS0_23SharedExpertScoringFuncE1EEEvPKT_PKbPfiPiS9_iiiiii
	.globl	_ZN4vllm3moe17topkGatingSoftmaxIfLi8ELi16ELi8ELi32ELb0ELi2ELNS0_23SharedExpertScoringFuncE1EEEvPKT_PKbPfiPiS9_iiiiii
	.p2align	8
	.type	_ZN4vllm3moe17topkGatingSoftmaxIfLi8ELi16ELi8ELi32ELb0ELi2ELNS0_23SharedExpertScoringFuncE1EEEvPKT_PKbPfiPiS9_iiiiii,@function
_ZN4vllm3moe17topkGatingSoftmaxIfLi8ELi16ELi8ELi32ELb0ELi2ELNS0_23SharedExpertScoringFuncE1EEEvPKT_PKbPfiPiS9_iiiiii: ; @_ZN4vllm3moe17topkGatingSoftmaxIfLi8ELi16ELi8ELi32ELb0ELi2ELNS0_23SharedExpertScoringFuncE1EEEvPKT_PKbPfiPiS9_iiiiii
; %bb.0:
	s_load_b32 s16, s[0:1], 0x18
	v_bfe_u32 v1, v0, 10, 10
	v_and_b32_e32 v0, 0x3ff, v0
	s_lshl_b32 s18, s15, 7
	s_mov_b32 s2, exec_lo
	s_delay_alu instid0(VALU_DEP_2) | instskip(NEXT) | instid1(VALU_DEP_2)
	v_lshlrev_b32_e32 v14, 4, v1
	v_lshrrev_b32_e32 v26, 1, v0
	s_delay_alu instid0(VALU_DEP_1) | instskip(SKIP_1) | instid1(VALU_DEP_1)
	v_add3_u32 v27, s18, v14, v26
	s_waitcnt lgkmcnt(0)
	v_cmpx_gt_i32_e64 s16, v27
	s_cbranch_execz .LBB46_21
; %bb.1:
	s_clause 0x1
	s_load_b128 s[4:7], s[0:1], 0x0
	s_load_b64 s[12:13], s[0:1], 0x10
	s_waitcnt lgkmcnt(0)
	s_cmp_eq_u64 s[6:7], 0
	s_cbranch_scc1 .LBB46_3
; %bb.2:
	v_ashrrev_i32_e32 v2, 31, v27
	v_add_co_u32 v1, vcc_lo, s6, v27
	s_delay_alu instid0(VALU_DEP_2) | instskip(SKIP_3) | instid1(VALU_DEP_1)
	v_add_co_ci_u32_e32 v2, vcc_lo, s7, v2, vcc_lo
	global_load_u8 v1, v[1:2], off
	s_waitcnt vmcnt(0)
	v_and_b32_e32 v1, 1, v1
	v_cmp_eq_u32_e32 vcc_lo, 1, v1
	s_xor_b32 s2, vcc_lo, -1
	s_delay_alu instid0(SALU_CYCLE_1)
	s_or_not1_b32 s17, s2, exec_lo
	s_branch .LBB46_4
.LBB46_3:
	s_mov_b32 s17, -1
.LBB46_4:
	s_clause 0x1
	s_load_b64 s[14:15], s[0:1], 0x40
	s_load_b128 s[8:11], s[0:1], 0x30
	v_and_b32_e32 v15, 1, v0
	s_waitcnt lgkmcnt(0)
	v_mul_lo_u32 v1, v27, s15
	s_delay_alu instid0(VALU_DEP_1) | instskip(NEXT) | instid1(VALU_DEP_1)
	v_ashrrev_i32_e32 v2, 31, v1
	v_lshlrev_b64 v[0:1], 2, v[1:2]
	v_lshlrev_b32_e32 v2, 2, v15
	s_delay_alu instid0(VALU_DEP_2) | instskip(NEXT) | instid1(VALU_DEP_3)
	v_add_co_u32 v3, vcc_lo, s4, v0
	v_add_co_ci_u32_e32 v4, vcc_lo, s5, v1, vcc_lo
	s_delay_alu instid0(VALU_DEP_2) | instskip(NEXT) | instid1(VALU_DEP_2)
	v_add_co_u32 v0, vcc_lo, v3, v2
	v_add_co_ci_u32_e32 v1, vcc_lo, 0, v4, vcc_lo
	global_load_b32 v8, v[0:1], off offset:64
	s_waitcnt vmcnt(0)
	v_mul_f32_e32 v9, 0xbfb8aa3b, v8
	v_cmp_nlt_f32_e64 s2, 0x42ce8ed0, v8
	s_delay_alu instid0(VALU_DEP_2) | instskip(SKIP_1) | instid1(VALU_DEP_1)
	v_fma_f32 v10, 0xbfb8aa3b, v8, -v9
	v_rndne_f32_e32 v11, v9
	v_dual_fmamk_f32 v10, v8, 0xb2a5705f, v10 :: v_dual_sub_f32 v9, v9, v11
	v_lshlrev_b32_e32 v0, 5, v15
	v_cvt_i32_f32_e32 v11, v11
	s_delay_alu instid0(VALU_DEP_3) | instskip(NEXT) | instid1(VALU_DEP_3)
	v_add_f32_e32 v9, v9, v10
	v_add_co_u32 v0, vcc_lo, v3, v0
	v_add_co_ci_u32_e32 v1, vcc_lo, 0, v4, vcc_lo
	s_delay_alu instid0(VALU_DEP_3) | instskip(SKIP_4) | instid1(VALU_DEP_1)
	v_exp_f32_e32 v9, v9
	s_clause 0x1
	global_load_b128 v[4:7], v[0:1], off
	global_load_b128 v[0:3], v[0:1], off offset:16
	v_lshlrev_b32_e32 v18, 3, v15
	v_or_b32_e32 v19, 1, v18
	v_or_b32_e32 v20, 2, v18
	v_ldexp_f32 v9, v9, v11
	v_or_b32_e32 v21, 3, v18
	s_delay_alu instid0(VALU_DEP_2) | instskip(SKIP_4) | instid1(VALU_DEP_2)
	v_cndmask_b32_e64 v9, 0, v9, s2
	s_waitcnt vmcnt(1)
	v_cmp_lt_f32_e32 vcc_lo, v4, v5
	v_cndmask_b32_e32 v12, v4, v5, vcc_lo
	v_cndmask_b32_e32 v10, v18, v19, vcc_lo
	v_cmp_lt_f32_e32 vcc_lo, v12, v6
	v_cndmask_b32_e32 v12, v12, v6, vcc_lo
	s_delay_alu instid0(VALU_DEP_3) | instskip(NEXT) | instid1(VALU_DEP_2)
	v_cndmask_b32_e32 v10, v10, v20, vcc_lo
	v_cmp_lt_f32_e32 vcc_lo, v12, v7
	s_delay_alu instid0(VALU_DEP_2) | instskip(SKIP_3) | instid1(VALU_DEP_3)
	v_dual_cndmask_b32 v11, v12, v7 :: v_dual_cndmask_b32 v10, v10, v21
	v_cmp_ngt_f32_e32 vcc_lo, 0xc2b17218, v8
	v_cndmask_b32_e32 v8, 0x7f800000, v9, vcc_lo
	s_waitcnt vmcnt(0)
	v_cmp_lt_f32_e32 vcc_lo, v11, v0
	s_delay_alu instid0(VALU_DEP_2)
	v_add_f32_e32 v28, 1.0, v8
	v_cndmask_b32_e32 v9, v11, v0, vcc_lo
	v_or_b32_e32 v22, 4, v18
	v_or_b32_e32 v23, 5, v18
	;; [unrolled: 1-line block ×4, first 2 shown]
	s_delay_alu instid0(VALU_DEP_4) | instskip(SKIP_2) | instid1(VALU_DEP_2)
	v_cndmask_b32_e32 v8, v10, v22, vcc_lo
	v_div_scale_f32 v10, null, v28, v28, 1.0
	v_cmp_lt_f32_e32 vcc_lo, v9, v1
	v_rcp_f32_e32 v16, v10
	s_delay_alu instid0(VALU_DEP_3) | instskip(NEXT) | instid1(VALU_DEP_1)
	v_dual_cndmask_b32 v9, v9, v1 :: v_dual_cndmask_b32 v8, v8, v23
	v_cmp_lt_f32_e32 vcc_lo, v9, v2
	s_waitcnt_depctr 0xfff
	v_fma_f32 v11, -v10, v16, 1.0
	v_dual_cndmask_b32 v13, v9, v2 :: v_dual_cndmask_b32 v12, v8, v24
	v_div_scale_f32 v29, vcc_lo, 1.0, v28, 1.0
	s_delay_alu instid0(VALU_DEP_3) | instskip(SKIP_1) | instid1(VALU_DEP_4)
	v_fmac_f32_e32 v16, v11, v16
	v_mul_lo_u32 v8, v27, s11
	v_cmp_lt_f32_e64 s2, v13, v3
	s_delay_alu instid0(VALU_DEP_3) | instskip(NEXT) | instid1(VALU_DEP_2)
	v_mul_f32_e32 v30, v29, v16
	v_cndmask_b32_e64 v9, v12, v25, s2
	v_cndmask_b32_e64 v31, v13, v3, s2
	v_add3_u32 v12, v8, s8, v15
	s_delay_alu instid0(VALU_DEP_4) | instskip(NEXT) | instid1(VALU_DEP_4)
	v_fma_f32 v17, -v10, v30, v29
	v_mov_b32_dpp v11, v9 quad_perm:[1,0,3,2] row_mask:0xf bank_mask:0xf
	s_delay_alu instid0(VALU_DEP_4) | instskip(NEXT) | instid1(VALU_DEP_4)
	v_mov_b32_dpp v32, v31 quad_perm:[1,0,3,2] row_mask:0xf bank_mask:0xf
	v_ashrrev_i32_e32 v13, 31, v12
	s_delay_alu instid0(VALU_DEP_4) | instskip(NEXT) | instid1(VALU_DEP_4)
	v_dual_fmac_f32 v30, v17, v16 :: v_dual_mov_b32 v17, 0
	v_cmp_lt_i32_e64 s2, v11, v9
	s_delay_alu instid0(VALU_DEP_4) | instskip(NEXT) | instid1(VALU_DEP_4)
	v_cmp_eq_f32_e64 s3, v31, v32
	v_lshlrev_b64 v[12:13], 2, v[12:13]
	s_delay_alu instid0(VALU_DEP_4) | instskip(SKIP_1) | instid1(VALU_DEP_4)
	v_fma_f32 v10, -v10, v30, v29
	v_cmp_lt_f32_e64 s4, v31, v32
	s_and_b32 s2, s3, s2
	s_delay_alu instid0(VALU_DEP_2) | instskip(NEXT) | instid1(VALU_DEP_4)
	v_div_fmas_f32 v10, v10, v16, v30
	v_add_co_u32 v12, vcc_lo, s12, v12
	s_delay_alu instid0(VALU_DEP_3)
	s_or_b32 s2, s4, s2
	v_add_co_ci_u32_e32 v13, vcc_lo, s13, v13, vcc_lo
	v_cndmask_b32_e64 v16, v31, v32, s2
	v_div_fixup_f32 v10, v10, v28, 1.0
	v_cmp_eq_u32_e32 vcc_lo, 0, v15
	s_cmp_gt_i32 s8, 0
	s_cselect_b32 s3, -1, 0
	s_cmp_lt_i32 s8, 1
	global_store_b32 v[12:13], v10, off
	s_cbranch_scc1 .LBB46_16
; %bb.5:
	s_load_b128 s[4:7], s[0:1], 0x20
	v_mul_lo_u32 v10, v27, s14
	v_mul_lo_u32 v12, v27, s8
	v_cndmask_b32_e64 v28, v9, v11, s2
	v_mov_b32_e32 v17, 0
	s_and_saveexec_b32 s2, vcc_lo
	s_cbranch_execz .LBB46_7
; %bb.6:
	v_sub_f32_e32 v17, v16, v16
	v_cmp_le_i32_e64 s0, s9, v28
	v_cmp_gt_i32_e64 s1, s10, v28
	v_subrev_nc_u32_e32 v35, s9, v28
	v_ashrrev_i32_e32 v13, 31, v12
	v_mul_f32_e32 v9, 0x3fb8aa3b, v17
	s_delay_alu instid0(VALU_DEP_4) | instskip(NEXT) | instid1(SALU_CYCLE_1)
	s_and_b32 s0, s0, s1
	s_and_b32 s0, s17, s0
	s_delay_alu instid0(VALU_DEP_1) | instskip(SKIP_2) | instid1(VALU_DEP_3)
	v_rndne_f32_e32 v31, v9
	v_fma_f32 v11, 0x3fb8aa3b, v17, -v9
	v_lshlrev_b64 v[33:34], 2, v[12:13]
	v_sub_f32_e32 v9, v9, v31
	s_delay_alu instid0(VALU_DEP_3) | instskip(NEXT) | instid1(VALU_DEP_1)
	v_fmamk_f32 v11, v17, 0x32a5705f, v11
	v_add_f32_e32 v11, v9, v11
	v_ashrrev_i32_e32 v9, 31, v8
	s_delay_alu instid0(VALU_DEP_2) | instskip(NEXT) | instid1(VALU_DEP_1)
	v_exp_f32_e32 v36, v11
	v_lshlrev_b64 v[29:30], 2, v[8:9]
	v_ashrrev_i32_e32 v11, 31, v10
	v_cvt_i32_f32_e32 v9, v31
	s_delay_alu instid0(VALU_DEP_2) | instskip(SKIP_2) | instid1(VALU_DEP_1)
	v_lshlrev_b64 v[31:32], 2, v[10:11]
	v_cndmask_b32_e64 v11, 16, v35, s0
	v_add_co_u32 v29, s0, s12, v29
	v_add_co_ci_u32_e64 v30, s0, s13, v30, s0
	s_delay_alu instid0(TRANS32_DEP_1) | instskip(SKIP_1) | instid1(VALU_DEP_1)
	v_ldexp_f32 v9, v36, v9
	v_cmp_ngt_f32_e64 s0, 0xc2ce8ed0, v17
	v_cndmask_b32_e64 v9, 0, v9, s0
	s_waitcnt lgkmcnt(0)
	v_add_co_u32 v31, s0, s4, v31
	s_delay_alu instid0(VALU_DEP_1) | instskip(SKIP_1) | instid1(VALU_DEP_1)
	v_add_co_ci_u32_e64 v32, s0, s5, v32, s0
	v_cmp_nlt_f32_e64 s0, 0x42b17218, v17
	v_cndmask_b32_e64 v17, 0x7f800000, v9, s0
	v_add_co_u32 v33, s0, s6, v33
	s_delay_alu instid0(VALU_DEP_1)
	v_add_co_ci_u32_e64 v34, s0, s7, v34, s0
	global_store_b32 v[31:32], v11, off
	global_store_b32 v[29:30], v17, off
	;; [unrolled: 1-line block ×3, first 2 shown]
.LBB46_7:
	s_or_b32 exec_lo, exec_lo, s2
	v_ashrrev_i32_e32 v11, 31, v28
	s_mov_b32 s1, exec_lo
	s_delay_alu instid0(VALU_DEP_1) | instskip(NEXT) | instid1(VALU_DEP_1)
	v_lshrrev_b32_e32 v9, 29, v11
	v_add_nc_u32_e32 v13, v28, v9
	s_delay_alu instid0(VALU_DEP_1) | instskip(SKIP_1) | instid1(VALU_DEP_1)
	v_ashrrev_i32_e32 v9, 3, v13
	v_lshrrev_b32_e32 v13, 31, v13
	v_add_nc_u32_e32 v13, v9, v13
	s_delay_alu instid0(VALU_DEP_1) | instskip(NEXT) | instid1(VALU_DEP_1)
	v_and_b32_e32 v13, -2, v13
	v_sub_nc_u32_e32 v13, v9, v13
	s_delay_alu instid0(VALU_DEP_1)
	v_cmpx_eq_u32_e64 v15, v13
	s_cbranch_execz .LBB46_9
; %bb.8:
	v_lshrrev_b32_e32 v11, 28, v11
	v_lshlrev_b32_e32 v9, 3, v9
	s_delay_alu instid0(VALU_DEP_2) | instskip(NEXT) | instid1(VALU_DEP_2)
	v_add_nc_u32_e32 v11, v28, v11
	v_sub_nc_u32_e32 v9, v28, v9
	s_delay_alu instid0(VALU_DEP_2) | instskip(NEXT) | instid1(VALU_DEP_1)
	v_ashrrev_i32_e32 v11, 4, v11
	v_lshl_add_u32 v9, v11, 3, v9
	s_delay_alu instid0(VALU_DEP_1) | instskip(NEXT) | instid1(VALU_DEP_1)
	v_cmp_ne_u32_e64 s0, 7, v9
	v_cndmask_b32_e64 v3, 0xff800000, v3, s0
	v_cmp_ne_u32_e64 s0, 6, v9
	s_delay_alu instid0(VALU_DEP_1) | instskip(SKIP_1) | instid1(VALU_DEP_1)
	v_cndmask_b32_e64 v2, 0xff800000, v2, s0
	v_cmp_ne_u32_e64 s0, 5, v9
	v_cndmask_b32_e64 v1, 0xff800000, v1, s0
	v_cmp_ne_u32_e64 s0, 4, v9
	s_delay_alu instid0(VALU_DEP_1) | instskip(SKIP_1) | instid1(VALU_DEP_1)
	v_cndmask_b32_e64 v0, 0xff800000, v0, s0
	;; [unrolled: 5-line block ×3, first 2 shown]
	v_cmp_ne_u32_e64 s0, 1, v9
	v_cndmask_b32_e64 v5, 0xff800000, v5, s0
	v_cmp_ne_u32_e64 s0, 0, v9
	s_delay_alu instid0(VALU_DEP_1)
	v_cndmask_b32_e64 v4, 0xff800000, v4, s0
.LBB46_9:
	s_or_b32 exec_lo, exec_lo, s1
	s_cmp_eq_u32 s8, 1
	s_cbranch_scc1 .LBB46_16
; %bb.10:
	s_add_i32 s18, s18, s16
	v_add_nc_u32_e32 v9, 1, v12
	v_add3_u32 v26, s18, v26, v14
	v_add_nc_u32_e32 v11, 1, v10
	v_add_nc_u32_e32 v13, 1, v8
	s_add_i32 s11, s8, -1
	s_branch .LBB46_12
.LBB46_11:                              ;   in Loop: Header=BB46_12 Depth=1
	s_or_b32 exec_lo, exec_lo, s1
	v_add_nc_u32_e32 v26, s16, v26
	v_add_nc_u32_e32 v9, 1, v9
	;; [unrolled: 1-line block ×4, first 2 shown]
	s_add_i32 s11, s11, -1
	s_delay_alu instid0(SALU_CYCLE_1)
	s_cmp_eq_u32 s11, 0
	s_cbranch_scc1 .LBB46_16
.LBB46_12:                              ; =>This Inner Loop Header: Depth=1
	v_cmp_gt_f32_e64 s0, v5, v4
	s_delay_alu instid0(VALU_DEP_1) | instskip(SKIP_1) | instid1(VALU_DEP_2)
	v_cndmask_b32_e64 v12, v4, v5, s0
	v_cndmask_b32_e64 v10, v18, v19, s0
	v_cmp_gt_f32_e64 s0, v6, v12
	s_delay_alu instid0(VALU_DEP_1) | instskip(NEXT) | instid1(VALU_DEP_3)
	v_cndmask_b32_e64 v12, v12, v6, s0
	v_cndmask_b32_e64 v10, v10, v20, s0
	s_delay_alu instid0(VALU_DEP_2) | instskip(NEXT) | instid1(VALU_DEP_1)
	v_cmp_gt_f32_e64 s0, v7, v12
	v_cndmask_b32_e64 v12, v12, v7, s0
	s_delay_alu instid0(VALU_DEP_3) | instskip(NEXT) | instid1(VALU_DEP_2)
	v_cndmask_b32_e64 v10, v10, v21, s0
	v_cmp_gt_f32_e64 s0, v0, v12
	s_delay_alu instid0(VALU_DEP_1) | instskip(NEXT) | instid1(VALU_DEP_3)
	v_cndmask_b32_e64 v12, v12, v0, s0
	v_cndmask_b32_e64 v10, v10, v22, s0
	s_delay_alu instid0(VALU_DEP_2) | instskip(NEXT) | instid1(VALU_DEP_1)
	v_cmp_gt_f32_e64 s0, v1, v12
	v_cndmask_b32_e64 v12, v12, v1, s0
	s_delay_alu instid0(VALU_DEP_3) | instskip(NEXT) | instid1(VALU_DEP_2)
	v_cndmask_b32_e64 v10, v10, v23, s0
	v_cmp_gt_f32_e64 s0, v2, v12
	s_delay_alu instid0(VALU_DEP_1) | instskip(NEXT) | instid1(VALU_DEP_3)
	v_cndmask_b32_e64 v12, v12, v2, s0
	v_cndmask_b32_e64 v10, v10, v24, s0
	s_delay_alu instid0(VALU_DEP_2) | instskip(NEXT) | instid1(VALU_DEP_1)
	v_cmp_gt_f32_e64 s0, v3, v12
	v_cndmask_b32_e64 v14, v10, v25, s0
	v_cndmask_b32_e64 v10, v12, v3, s0
	s_delay_alu instid0(VALU_DEP_2) | instskip(NEXT) | instid1(VALU_DEP_2)
	v_mov_b32_dpp v27, v14 quad_perm:[1,0,3,2] row_mask:0xf bank_mask:0xf
	v_mov_b32_dpp v12, v10 quad_perm:[1,0,3,2] row_mask:0xf bank_mask:0xf
	s_delay_alu instid0(VALU_DEP_2) | instskip(NEXT) | instid1(VALU_DEP_2)
	v_cmp_lt_i32_e64 s0, v27, v14
	v_cmp_eq_f32_e64 s1, v10, v12
	v_cmp_lt_f32_e64 s2, v10, v12
	s_delay_alu instid0(VALU_DEP_2)
	s_and_b32 s0, s1, s0
	s_delay_alu instid0(VALU_DEP_1) | instid1(SALU_CYCLE_1)
	s_or_b32 s0, s2, s0
	s_delay_alu instid0(SALU_CYCLE_1)
	v_cndmask_b32_e64 v27, v14, v27, s0
	s_and_saveexec_b32 s2, vcc_lo
	s_cbranch_execz .LBB46_14
; %bb.13:                               ;   in Loop: Header=BB46_12 Depth=1
	v_cndmask_b32_e64 v10, v10, v12, s0
	s_delay_alu instid0(VALU_DEP_2) | instskip(SKIP_4) | instid1(VALU_DEP_4)
	v_cmp_le_i32_e64 s0, s9, v27
	v_cmp_gt_i32_e64 s1, s10, v27
	v_ashrrev_i32_e32 v14, 31, v13
	v_subrev_nc_u32_e32 v35, s9, v27
	v_sub_f32_e32 v34, v10, v16
	s_and_b32 s0, s0, s1
	s_delay_alu instid0(SALU_CYCLE_1) | instskip(NEXT) | instid1(VALU_DEP_1)
	s_and_b32 s0, s17, s0
	v_mul_f32_e32 v10, 0x3fb8aa3b, v34
	s_delay_alu instid0(VALU_DEP_1) | instskip(SKIP_1) | instid1(VALU_DEP_2)
	v_fma_f32 v12, 0x3fb8aa3b, v34, -v10
	v_rndne_f32_e32 v28, v10
	v_fmac_f32_e32 v12, 0x32a5705f, v34
	s_delay_alu instid0(VALU_DEP_2) | instskip(SKIP_2) | instid1(VALU_DEP_3)
	v_sub_f32_e32 v10, v10, v28
	v_cvt_i32_f32_e32 v33, v28
	v_lshlrev_b64 v[28:29], 2, v[13:14]
	v_add_f32_e32 v10, v10, v12
	v_ashrrev_i32_e32 v12, 31, v11
	s_delay_alu instid0(VALU_DEP_2) | instskip(SKIP_1) | instid1(VALU_DEP_2)
	v_exp_f32_e32 v32, v10
	v_ashrrev_i32_e32 v10, 31, v9
	v_lshlrev_b64 v[30:31], 2, v[11:12]
	s_waitcnt_depctr 0xfff
	v_ldexp_f32 v12, v32, v33
	v_lshlrev_b64 v[32:33], 2, v[9:10]
	v_cndmask_b32_e64 v10, 16, v35, s0
	v_cmp_ngt_f32_e64 s0, 0xc2ce8ed0, v34
	s_delay_alu instid0(VALU_DEP_1) | instskip(SKIP_1) | instid1(VALU_DEP_1)
	v_cndmask_b32_e64 v12, 0, v12, s0
	v_add_co_u32 v28, s0, s12, v28
	v_add_co_ci_u32_e64 v29, s0, s13, v29, s0
	v_cmp_nlt_f32_e64 s0, 0x42b17218, v34
	s_delay_alu instid0(VALU_DEP_1) | instskip(SKIP_2) | instid1(VALU_DEP_1)
	v_cndmask_b32_e64 v12, 0x7f800000, v12, s0
	s_waitcnt lgkmcnt(0)
	v_add_co_u32 v30, s0, s4, v30
	v_add_co_ci_u32_e64 v31, s0, s5, v31, s0
	s_delay_alu instid0(VALU_DEP_3) | instskip(SKIP_1) | instid1(VALU_DEP_1)
	v_add_f32_e32 v17, v17, v12
	v_add_co_u32 v32, s0, s6, v32
	v_add_co_ci_u32_e64 v33, s0, s7, v33, s0
	global_store_b32 v[28:29], v12, off
	global_store_b32 v[30:31], v10, off
	;; [unrolled: 1-line block ×3, first 2 shown]
.LBB46_14:                              ;   in Loop: Header=BB46_12 Depth=1
	s_or_b32 exec_lo, exec_lo, s2
	s_delay_alu instid0(VALU_DEP_1) | instskip(SKIP_1) | instid1(VALU_DEP_1)
	v_ashrrev_i32_e32 v12, 31, v27
	s_mov_b32 s1, exec_lo
	v_lshrrev_b32_e32 v10, 29, v12
	s_delay_alu instid0(VALU_DEP_1) | instskip(NEXT) | instid1(VALU_DEP_1)
	v_add_nc_u32_e32 v14, v27, v10
	v_ashrrev_i32_e32 v10, 3, v14
	v_lshrrev_b32_e32 v14, 31, v14
	s_delay_alu instid0(VALU_DEP_1) | instskip(NEXT) | instid1(VALU_DEP_1)
	v_add_nc_u32_e32 v14, v10, v14
	v_and_b32_e32 v14, -2, v14
	s_delay_alu instid0(VALU_DEP_1) | instskip(NEXT) | instid1(VALU_DEP_1)
	v_sub_nc_u32_e32 v14, v10, v14
	v_cmpx_eq_u32_e64 v15, v14
	s_cbranch_execz .LBB46_11
; %bb.15:                               ;   in Loop: Header=BB46_12 Depth=1
	v_lshrrev_b32_e32 v12, 28, v12
	v_lshlrev_b32_e32 v10, 3, v10
	s_delay_alu instid0(VALU_DEP_2) | instskip(NEXT) | instid1(VALU_DEP_2)
	v_add_nc_u32_e32 v12, v27, v12
	v_sub_nc_u32_e32 v10, v27, v10
	s_delay_alu instid0(VALU_DEP_2) | instskip(NEXT) | instid1(VALU_DEP_1)
	v_ashrrev_i32_e32 v12, 4, v12
	v_lshl_add_u32 v10, v12, 3, v10
	s_delay_alu instid0(VALU_DEP_1) | instskip(NEXT) | instid1(VALU_DEP_1)
	v_cmp_ne_u32_e64 s0, 7, v10
	v_cndmask_b32_e64 v3, 0xff800000, v3, s0
	v_cmp_ne_u32_e64 s0, 6, v10
	s_delay_alu instid0(VALU_DEP_1) | instskip(SKIP_1) | instid1(VALU_DEP_1)
	v_cndmask_b32_e64 v2, 0xff800000, v2, s0
	v_cmp_ne_u32_e64 s0, 5, v10
	v_cndmask_b32_e64 v1, 0xff800000, v1, s0
	v_cmp_ne_u32_e64 s0, 4, v10
	s_delay_alu instid0(VALU_DEP_1) | instskip(SKIP_1) | instid1(VALU_DEP_1)
	v_cndmask_b32_e64 v0, 0xff800000, v0, s0
	;; [unrolled: 5-line block ×3, first 2 shown]
	v_cmp_ne_u32_e64 s0, 1, v10
	v_cndmask_b32_e64 v5, 0xff800000, v5, s0
	v_cmp_ne_u32_e64 s0, 0, v10
	s_delay_alu instid0(VALU_DEP_1)
	v_cndmask_b32_e64 v4, 0xff800000, v4, s0
	s_branch .LBB46_11
.LBB46_16:
	v_sub_f32_e32 v7, v7, v16
	v_sub_f32_e32 v5, v5, v16
	;; [unrolled: 1-line block ×4, first 2 shown]
	s_delay_alu instid0(VALU_DEP_4) | instskip(NEXT) | instid1(VALU_DEP_3)
	v_dual_sub_f32 v1, v1, v16 :: v_dual_mul_f32 v12, 0x3fb8aa3b, v7
	v_dual_mul_f32 v10, 0x3fb8aa3b, v5 :: v_dual_mul_f32 v11, 0x3fb8aa3b, v6
	s_delay_alu instid0(VALU_DEP_3) | instskip(SKIP_1) | instid1(VALU_DEP_4)
	v_cmp_ngt_f32_e32 vcc_lo, 0xc2ce8ed0, v4
	v_sub_f32_e32 v0, v0, v16
	v_fma_f32 v22, 0x3fb8aa3b, v7, -v12
	s_delay_alu instid0(VALU_DEP_4)
	v_rndne_f32_e32 v19, v10
	v_mul_f32_e32 v9, 0x3fb8aa3b, v4
	v_fma_f32 v18, 0x3fb8aa3b, v5, -v10
	v_rndne_f32_e32 v21, v11
	v_rndne_f32_e32 v23, v12
	v_sub_f32_e32 v10, v10, v19
	v_fma_f32 v13, 0x3fb8aa3b, v4, -v9
	v_rndne_f32_e32 v14, v9
	v_fmac_f32_e32 v18, 0x32a5705f, v5
	v_sub_f32_e32 v2, v2, v16
	s_delay_alu instid0(VALU_DEP_4) | instskip(NEXT) | instid1(VALU_DEP_4)
	v_fmac_f32_e32 v13, 0x32a5705f, v4
	v_sub_f32_e32 v9, v9, v14
	v_fma_f32 v20, 0x3fb8aa3b, v6, -v11
	v_dual_add_f32 v10, v10, v18 :: v_dual_sub_f32 v11, v11, v21
	s_delay_alu instid0(VALU_DEP_2) | instskip(NEXT) | instid1(VALU_DEP_2)
	v_dual_add_f32 v9, v9, v13 :: v_dual_fmac_f32 v20, 0x32a5705f, v6
	v_exp_f32_e32 v10, v10
	v_cvt_i32_f32_e32 v13, v14
	v_cvt_i32_f32_e32 v14, v19
	s_delay_alu instid0(VALU_DEP_3)
	v_exp_f32_e32 v9, v9
	v_dual_fmac_f32 v22, 0x32a5705f, v7 :: v_dual_add_f32 v11, v11, v20
	s_waitcnt_depctr 0xfff
	v_ldexp_f32 v10, v10, v14
	v_exp_f32_e32 v11, v11
	v_ldexp_f32 v9, v9, v13
	v_sub_f32_e32 v12, v12, v23
	v_cvt_i32_f32_e32 v13, v21
	s_delay_alu instid0(VALU_DEP_3)
	v_cndmask_b32_e32 v9, 0, v9, vcc_lo
	v_cmp_ngt_f32_e32 vcc_lo, 0xc2ce8ed0, v5
	s_waitcnt_depctr 0xfff
	v_ldexp_f32 v11, v11, v13
	v_cndmask_b32_e32 v10, 0, v10, vcc_lo
	v_cmp_nlt_f32_e32 vcc_lo, 0x42b17218, v4
	v_cndmask_b32_e32 v4, 0x7f800000, v9, vcc_lo
	v_cmp_nlt_f32_e32 vcc_lo, 0x42b17218, v5
	s_delay_alu instid0(VALU_DEP_4) | instskip(SKIP_3) | instid1(VALU_DEP_4)
	v_cndmask_b32_e32 v5, 0x7f800000, v10, vcc_lo
	v_cmp_ngt_f32_e32 vcc_lo, 0xc2ce8ed0, v6
	v_add_f32_e32 v12, v12, v22
	v_cvt_i32_f32_e32 v10, v23
	v_dual_add_f32 v4, v4, v5 :: v_dual_cndmask_b32 v9, 0, v11
	s_delay_alu instid0(VALU_DEP_3) | instskip(SKIP_2) | instid1(VALU_DEP_3)
	v_exp_f32_e32 v12, v12
	v_cmp_nlt_f32_e32 vcc_lo, 0x42b17218, v6
	v_dual_mul_f32 v6, 0x3fb8aa3b, v0 :: v_dual_mul_f32 v11, 0x3fb8aa3b, v2
	v_cndmask_b32_e32 v5, 0x7f800000, v9, vcc_lo
	v_cmp_ngt_f32_e32 vcc_lo, 0xc2ce8ed0, v7
	s_delay_alu instid0(VALU_DEP_3) | instskip(SKIP_4) | instid1(VALU_DEP_3)
	v_rndne_f32_e32 v13, v11
	s_waitcnt_depctr 0xfff
	v_ldexp_f32 v9, v12, v10
	v_add_f32_e32 v4, v4, v5
	v_fma_f32 v12, 0x3fb8aa3b, v2, -v11
	v_cndmask_b32_e32 v9, 0, v9, vcc_lo
	v_cmp_nlt_f32_e32 vcc_lo, 0x42b17218, v7
	s_delay_alu instid0(VALU_DEP_3) | instskip(NEXT) | instid1(VALU_DEP_3)
	v_fmac_f32_e32 v12, 0x32a5705f, v2
	v_cndmask_b32_e32 v7, 0x7f800000, v9, vcc_lo
	v_mul_f32_e32 v9, 0x3fb8aa3b, v1
	v_fma_f32 v5, 0x3fb8aa3b, v0, -v6
	v_rndne_f32_e32 v10, v6
	v_cmp_ngt_f32_e32 vcc_lo, 0xc2ce8ed0, v0
	v_add_f32_e32 v4, v4, v7
	v_rndne_f32_e32 v7, v9
	s_delay_alu instid0(VALU_DEP_4) | instskip(SKIP_1) | instid1(VALU_DEP_2)
	v_dual_fmac_f32 v5, 0x32a5705f, v0 :: v_dual_sub_f32 v6, v6, v10
	v_cvt_i32_f32_e32 v10, v10
	v_add_f32_e32 v5, v6, v5
	v_fma_f32 v6, 0x3fb8aa3b, v1, -v9
	v_sub_f32_e32 v3, v3, v16
	v_sub_f32_e32 v9, v9, v7
	v_cvt_i32_f32_e32 v7, v7
	v_exp_f32_e32 v5, v5
	v_fmac_f32_e32 v6, 0x32a5705f, v1
	v_mul_f32_e32 v14, 0x3fb8aa3b, v3
	s_delay_alu instid0(VALU_DEP_2) | instskip(NEXT) | instid1(VALU_DEP_2)
	v_dual_add_f32 v6, v9, v6 :: v_dual_sub_f32 v9, v11, v13
	v_fma_f32 v11, 0x3fb8aa3b, v3, -v14
	v_rndne_f32_e32 v16, v14
	s_waitcnt_depctr 0xfff
	v_ldexp_f32 v5, v5, v10
	v_fmac_f32_e32 v11, 0x32a5705f, v3
	v_exp_f32_e32 v6, v6
	s_delay_alu instid0(VALU_DEP_2) | instskip(SKIP_2) | instid1(VALU_DEP_3)
	v_dual_sub_f32 v10, v14, v16 :: v_dual_cndmask_b32 v5, 0, v5
	v_add_f32_e32 v9, v9, v12
	v_cmp_nlt_f32_e32 vcc_lo, 0x42b17218, v0
	v_add_f32_e32 v10, v10, v11
	s_delay_alu instid0(VALU_DEP_3) | instskip(SKIP_1) | instid1(TRANS32_DEP_2)
	v_exp_f32_e32 v9, v9
	v_cndmask_b32_e32 v0, 0x7f800000, v5, vcc_lo
	v_ldexp_f32 v6, v6, v7
	v_cmp_ngt_f32_e32 vcc_lo, 0xc2ce8ed0, v1
	v_cvt_i32_f32_e32 v5, v13
	v_exp_f32_e32 v7, v10
	s_delay_alu instid0(VALU_DEP_3) | instskip(SKIP_2) | instid1(TRANS32_DEP_2)
	v_cndmask_b32_e32 v6, 0, v6, vcc_lo
	v_cmp_nlt_f32_e32 vcc_lo, 0x42b17218, v1
	v_add_f32_e32 v0, v4, v0
	v_ldexp_f32 v4, v9, v5
	v_cvt_i32_f32_e32 v5, v16
	v_cndmask_b32_e32 v1, 0x7f800000, v6, vcc_lo
	v_cmp_ngt_f32_e32 vcc_lo, 0xc2ce8ed0, v2
	s_delay_alu instid0(TRANS32_DEP_1) | instid1(VALU_DEP_3)
	v_ldexp_f32 v5, v7, v5
	v_cndmask_b32_e32 v4, 0, v4, vcc_lo
	v_cmp_nlt_f32_e32 vcc_lo, 0x42b17218, v2
	s_delay_alu instid0(VALU_DEP_2) | instskip(SKIP_3) | instid1(VALU_DEP_2)
	v_dual_add_f32 v0, v0, v1 :: v_dual_cndmask_b32 v1, 0x7f800000, v4
	v_cmp_ngt_f32_e32 vcc_lo, 0xc2ce8ed0, v3
	v_cndmask_b32_e32 v2, 0, v5, vcc_lo
	v_cmp_nlt_f32_e32 vcc_lo, 0x42b17218, v3
	v_dual_add_f32 v0, v0, v1 :: v_dual_cndmask_b32 v1, 0x7f800000, v2
	v_cmp_eq_u32_e32 vcc_lo, 0, v15
	s_delay_alu instid0(VALU_DEP_2) | instskip(NEXT) | instid1(VALU_DEP_1)
	v_add_f32_e32 v0, v0, v1
	v_mov_b32_dpp v1, v0 quad_perm:[1,0,3,2] row_mask:0xf bank_mask:0xf
	s_and_b32 exec_lo, exec_lo, vcc_lo
	s_cbranch_execz .LBB46_21
; %bb.17:
	s_delay_alu instid0(VALU_DEP_1) | instskip(NEXT) | instid1(VALU_DEP_1)
	v_add_f32_e32 v0, v0, v1
	v_add_f32_e32 v0, v17, v0
	s_delay_alu instid0(VALU_DEP_1)
	v_cmp_neq_f32_e32 vcc_lo, 0, v0
	s_and_b32 exec_lo, exec_lo, vcc_lo
	s_cbranch_execz .LBB46_21
; %bb.18:
	s_and_not1_b32 vcc_lo, exec_lo, s3
	s_cbranch_vccnz .LBB46_21
; %bb.19:
	v_div_scale_f32 v1, null, v0, v0, 1.0
	v_div_scale_f32 v4, vcc_lo, 1.0, v0, 1.0
	v_ashrrev_i32_e32 v9, 31, v8
	s_delay_alu instid0(VALU_DEP_3) | instskip(SKIP_2) | instid1(VALU_DEP_1)
	v_rcp_f32_e32 v2, v1
	s_waitcnt_depctr 0xfff
	v_fma_f32 v3, -v1, v2, 1.0
	v_fmac_f32_e32 v2, v3, v2
	s_delay_alu instid0(VALU_DEP_1) | instskip(NEXT) | instid1(VALU_DEP_1)
	v_mul_f32_e32 v3, v4, v2
	v_fma_f32 v5, -v1, v3, v4
	s_delay_alu instid0(VALU_DEP_1) | instskip(NEXT) | instid1(VALU_DEP_1)
	v_fmac_f32_e32 v3, v5, v2
	v_fma_f32 v1, -v1, v3, v4
	s_delay_alu instid0(VALU_DEP_1) | instskip(SKIP_1) | instid1(VALU_DEP_2)
	v_div_fmas_f32 v1, v1, v2, v3
	v_lshlrev_b64 v[3:4], 2, v[8:9]
	v_div_fixup_f32 v2, v1, v0, 1.0
	s_delay_alu instid0(VALU_DEP_2) | instskip(NEXT) | instid1(VALU_DEP_3)
	v_add_co_u32 v0, vcc_lo, s12, v3
	v_add_co_ci_u32_e32 v1, vcc_lo, s13, v4, vcc_lo
.LBB46_20:                              ; =>This Inner Loop Header: Depth=1
	global_load_b32 v3, v[0:1], off
	s_add_i32 s8, s8, -1
	s_delay_alu instid0(SALU_CYCLE_1)
	s_cmp_lg_u32 s8, 0
	s_waitcnt vmcnt(0)
	v_mul_f32_e32 v3, v2, v3
	global_store_b32 v[0:1], v3, off
	v_add_co_u32 v0, vcc_lo, v0, 4
	v_add_co_ci_u32_e32 v1, vcc_lo, 0, v1, vcc_lo
	s_cbranch_scc1 .LBB46_20
.LBB46_21:
	s_nop 0
	s_sendmsg sendmsg(MSG_DEALLOC_VGPRS)
	s_endpgm
	.section	.rodata,"a",@progbits
	.p2align	6, 0x0
	.amdhsa_kernel _ZN4vllm3moe17topkGatingSoftmaxIfLi8ELi16ELi8ELi32ELb0ELi2ELNS0_23SharedExpertScoringFuncE1EEEvPKT_PKbPfiPiS9_iiiiii
		.amdhsa_group_segment_fixed_size 0
		.amdhsa_private_segment_fixed_size 0
		.amdhsa_kernarg_size 72
		.amdhsa_user_sgpr_count 15
		.amdhsa_user_sgpr_dispatch_ptr 0
		.amdhsa_user_sgpr_queue_ptr 0
		.amdhsa_user_sgpr_kernarg_segment_ptr 1
		.amdhsa_user_sgpr_dispatch_id 0
		.amdhsa_user_sgpr_private_segment_size 0
		.amdhsa_wavefront_size32 1
		.amdhsa_uses_dynamic_stack 0
		.amdhsa_enable_private_segment 0
		.amdhsa_system_sgpr_workgroup_id_x 1
		.amdhsa_system_sgpr_workgroup_id_y 0
		.amdhsa_system_sgpr_workgroup_id_z 0
		.amdhsa_system_sgpr_workgroup_info 0
		.amdhsa_system_vgpr_workitem_id 1
		.amdhsa_next_free_vgpr 37
		.amdhsa_next_free_sgpr 19
		.amdhsa_reserve_vcc 1
		.amdhsa_float_round_mode_32 0
		.amdhsa_float_round_mode_16_64 0
		.amdhsa_float_denorm_mode_32 3
		.amdhsa_float_denorm_mode_16_64 3
		.amdhsa_dx10_clamp 1
		.amdhsa_ieee_mode 1
		.amdhsa_fp16_overflow 0
		.amdhsa_workgroup_processor_mode 1
		.amdhsa_memory_ordered 1
		.amdhsa_forward_progress 0
		.amdhsa_shared_vgpr_count 0
		.amdhsa_exception_fp_ieee_invalid_op 0
		.amdhsa_exception_fp_denorm_src 0
		.amdhsa_exception_fp_ieee_div_zero 0
		.amdhsa_exception_fp_ieee_overflow 0
		.amdhsa_exception_fp_ieee_underflow 0
		.amdhsa_exception_fp_ieee_inexact 0
		.amdhsa_exception_int_div_zero 0
	.end_amdhsa_kernel
	.section	.text._ZN4vllm3moe17topkGatingSoftmaxIfLi8ELi16ELi8ELi32ELb0ELi2ELNS0_23SharedExpertScoringFuncE1EEEvPKT_PKbPfiPiS9_iiiiii,"axG",@progbits,_ZN4vllm3moe17topkGatingSoftmaxIfLi8ELi16ELi8ELi32ELb0ELi2ELNS0_23SharedExpertScoringFuncE1EEEvPKT_PKbPfiPiS9_iiiiii,comdat
.Lfunc_end46:
	.size	_ZN4vllm3moe17topkGatingSoftmaxIfLi8ELi16ELi8ELi32ELb0ELi2ELNS0_23SharedExpertScoringFuncE1EEEvPKT_PKbPfiPiS9_iiiiii, .Lfunc_end46-_ZN4vllm3moe17topkGatingSoftmaxIfLi8ELi16ELi8ELi32ELb0ELi2ELNS0_23SharedExpertScoringFuncE1EEEvPKT_PKbPfiPiS9_iiiiii
                                        ; -- End function
	.section	.AMDGPU.csdata,"",@progbits
; Kernel info:
; codeLenInByte = 3432
; NumSgprs: 21
; NumVgprs: 37
; ScratchSize: 0
; MemoryBound: 0
; FloatMode: 240
; IeeeMode: 1
; LDSByteSize: 0 bytes/workgroup (compile time only)
; SGPRBlocks: 2
; VGPRBlocks: 4
; NumSGPRsForWavesPerEU: 21
; NumVGPRsForWavesPerEU: 37
; Occupancy: 16
; WaveLimiterHint : 0
; COMPUTE_PGM_RSRC2:SCRATCH_EN: 0
; COMPUTE_PGM_RSRC2:USER_SGPR: 15
; COMPUTE_PGM_RSRC2:TRAP_HANDLER: 0
; COMPUTE_PGM_RSRC2:TGID_X_EN: 1
; COMPUTE_PGM_RSRC2:TGID_Y_EN: 0
; COMPUTE_PGM_RSRC2:TGID_Z_EN: 0
; COMPUTE_PGM_RSRC2:TIDIG_COMP_CNT: 1
	.section	.text._ZN4vllm3moe17topkGatingSoftmaxIfLi8ELi16ELi8ELi32ELb1ELi4ELNS0_23SharedExpertScoringFuncE1EEEvPKT_PKbPfiPiS9_iiiiii,"axG",@progbits,_ZN4vllm3moe17topkGatingSoftmaxIfLi8ELi16ELi8ELi32ELb1ELi4ELNS0_23SharedExpertScoringFuncE1EEEvPKT_PKbPfiPiS9_iiiiii,comdat
	.protected	_ZN4vllm3moe17topkGatingSoftmaxIfLi8ELi16ELi8ELi32ELb1ELi4ELNS0_23SharedExpertScoringFuncE1EEEvPKT_PKbPfiPiS9_iiiiii ; -- Begin function _ZN4vllm3moe17topkGatingSoftmaxIfLi8ELi16ELi8ELi32ELb1ELi4ELNS0_23SharedExpertScoringFuncE1EEEvPKT_PKbPfiPiS9_iiiiii
	.globl	_ZN4vllm3moe17topkGatingSoftmaxIfLi8ELi16ELi8ELi32ELb1ELi4ELNS0_23SharedExpertScoringFuncE1EEEvPKT_PKbPfiPiS9_iiiiii
	.p2align	8
	.type	_ZN4vllm3moe17topkGatingSoftmaxIfLi8ELi16ELi8ELi32ELb1ELi4ELNS0_23SharedExpertScoringFuncE1EEEvPKT_PKbPfiPiS9_iiiiii,@function
_ZN4vllm3moe17topkGatingSoftmaxIfLi8ELi16ELi8ELi32ELb1ELi4ELNS0_23SharedExpertScoringFuncE1EEEvPKT_PKbPfiPiS9_iiiiii: ; @_ZN4vllm3moe17topkGatingSoftmaxIfLi8ELi16ELi8ELi32ELb1ELi4ELNS0_23SharedExpertScoringFuncE1EEEvPKT_PKbPfiPiS9_iiiiii
; %bb.0:
	s_load_b32 s3, s[0:1], 0x18
	v_bfe_u32 v1, v0, 10, 10
	v_and_b32_e32 v0, 0x3ff, v0
	s_lshl_b32 s17, s15, 7
	s_mov_b32 s2, exec_lo
	s_delay_alu instid0(VALU_DEP_2) | instskip(NEXT) | instid1(VALU_DEP_2)
	v_lshlrev_b32_e32 v14, 4, v1
	v_lshrrev_b32_e32 v22, 1, v0
	s_delay_alu instid0(VALU_DEP_1) | instskip(SKIP_1) | instid1(VALU_DEP_1)
	v_add3_u32 v27, s17, v14, v22
	s_waitcnt lgkmcnt(0)
	v_cmpx_gt_i32_e64 s3, v27
	s_cbranch_execz .LBB47_23
; %bb.1:
	s_clause 0x1
	s_load_b128 s[8:11], s[0:1], 0x0
	s_load_b64 s[12:13], s[0:1], 0x10
	s_waitcnt lgkmcnt(0)
	s_cmp_eq_u64 s[10:11], 0
	s_cbranch_scc1 .LBB47_3
; %bb.2:
	v_ashrrev_i32_e32 v2, 31, v27
	v_add_co_u32 v1, vcc_lo, s10, v27
	s_delay_alu instid0(VALU_DEP_2) | instskip(SKIP_3) | instid1(VALU_DEP_1)
	v_add_co_ci_u32_e32 v2, vcc_lo, s11, v2, vcc_lo
	global_load_u8 v1, v[1:2], off
	s_waitcnt vmcnt(0)
	v_and_b32_e32 v1, 1, v1
	v_cmp_eq_u32_e32 vcc_lo, 1, v1
	s_xor_b32 s2, vcc_lo, -1
	s_delay_alu instid0(SALU_CYCLE_1)
	s_or_not1_b32 s16, s2, exec_lo
	s_branch .LBB47_4
.LBB47_3:
	s_mov_b32 s16, -1
.LBB47_4:
	s_clause 0x1
	s_load_b64 s[14:15], s[0:1], 0x40
	s_load_b128 s[4:7], s[0:1], 0x30
	v_and_b32_e32 v15, 1, v0
	s_delay_alu instid0(VALU_DEP_1)
	v_lshlrev_b32_e32 v0, 5, v15
	v_dual_mov_b32 v12, v15 :: v_dual_lshlrev_b32 v11, 2, v15
	v_lshlrev_b32_e32 v16, 3, v15
	s_waitcnt lgkmcnt(0)
	v_mul_lo_u32 v1, v27, s15
	v_mul_lo_u32 v8, v27, s7
	s_mov_b32 s7, 0
	s_delay_alu instid0(VALU_DEP_2) | instskip(NEXT) | instid1(VALU_DEP_1)
	v_ashrrev_i32_e32 v2, 31, v1
	v_lshlrev_b64 v[9:10], 2, v[1:2]
	s_delay_alu instid0(VALU_DEP_1) | instskip(NEXT) | instid1(VALU_DEP_2)
	v_add_co_u32 v1, vcc_lo, s8, v9
	v_add_co_ci_u32_e32 v2, vcc_lo, s9, v10, vcc_lo
	s_delay_alu instid0(VALU_DEP_2) | instskip(NEXT) | instid1(VALU_DEP_2)
	v_add_co_u32 v4, vcc_lo, v1, v0
	v_add_co_ci_u32_e32 v5, vcc_lo, 0, v2, vcc_lo
	v_add_co_u32 v9, vcc_lo, v9, v11
	v_add_co_ci_u32_e32 v10, vcc_lo, 0, v10, vcc_lo
	s_clause 0x1
	global_load_b128 v[0:3], v[4:5], off offset:16
	global_load_b128 v[4:7], v[4:5], off
	v_add_co_u32 v9, vcc_lo, v9, s8
	v_add_co_ci_u32_e32 v10, vcc_lo, s9, v10, vcc_lo
	v_add_nc_u32_e32 v11, s4, v8
	s_delay_alu instid0(VALU_DEP_3) | instskip(NEXT) | instid1(VALU_DEP_3)
	v_add_co_u32 v9, vcc_lo, v9, 64
	v_add_co_ci_u32_e32 v10, vcc_lo, 0, v10, vcc_lo
.LBB47_5:                               ; =>This Inner Loop Header: Depth=1
	global_load_b32 v13, v[9:10], off
	v_add_co_u32 v9, s2, v9, 8
	s_delay_alu instid0(VALU_DEP_1) | instskip(SKIP_2) | instid1(VALU_DEP_2)
	v_add_co_ci_u32_e64 v10, s2, 0, v10, s2
	v_cmp_lt_u32_e64 s2, 1, v12
	v_add_nc_u32_e32 v24, 2, v12
	s_or_b32 s7, s2, s7
	s_waitcnt vmcnt(0)
	v_mul_f32_e32 v17, 0xbfb8aa3b, v13
	v_cmp_nlt_f32_e32 vcc_lo, 0x42ce8ed0, v13
	s_delay_alu instid0(VALU_DEP_2) | instskip(SKIP_1) | instid1(VALU_DEP_2)
	v_rndne_f32_e32 v18, v17
	v_fma_f32 v19, 0xbfb8aa3b, v13, -v17
	v_sub_f32_e32 v17, v17, v18
	s_delay_alu instid0(VALU_DEP_2) | instskip(SKIP_1) | instid1(VALU_DEP_2)
	v_fmac_f32_e32 v19, 0xb2a5705f, v13
	v_cvt_i32_f32_e32 v18, v18
	v_add_f32_e32 v17, v17, v19
	s_delay_alu instid0(VALU_DEP_1) | instskip(SKIP_2) | instid1(VALU_DEP_1)
	v_exp_f32_e32 v17, v17
	s_waitcnt_depctr 0xfff
	v_ldexp_f32 v17, v17, v18
	v_cndmask_b32_e32 v17, 0, v17, vcc_lo
	v_cmp_ngt_f32_e32 vcc_lo, 0xc2b17218, v13
	s_delay_alu instid0(VALU_DEP_2) | instskip(NEXT) | instid1(VALU_DEP_1)
	v_cndmask_b32_e32 v13, 0x7f800000, v17, vcc_lo
	v_add_f32_e32 v19, 1.0, v13
	s_delay_alu instid0(VALU_DEP_1) | instskip(SKIP_1) | instid1(VALU_DEP_2)
	v_div_scale_f32 v13, null, v19, v19, 1.0
	v_div_scale_f32 v21, vcc_lo, 1.0, v19, 1.0
	v_rcp_f32_e32 v20, v13
	s_waitcnt_depctr 0xfff
	v_fma_f32 v17, -v13, v20, 1.0
	s_delay_alu instid0(VALU_DEP_1) | instskip(SKIP_1) | instid1(VALU_DEP_2)
	v_fmac_f32_e32 v20, v17, v20
	v_add_nc_u32_e32 v17, v11, v12
	v_mul_f32_e32 v23, v21, v20
	s_delay_alu instid0(VALU_DEP_1) | instskip(NEXT) | instid1(VALU_DEP_1)
	v_fma_f32 v18, -v13, v23, v21
	v_fmac_f32_e32 v23, v18, v20
	s_delay_alu instid0(VALU_DEP_4) | instskip(NEXT) | instid1(VALU_DEP_2)
	v_ashrrev_i32_e32 v18, 31, v17
	v_fma_f32 v21, -v13, v23, v21
	s_delay_alu instid0(VALU_DEP_2) | instskip(NEXT) | instid1(VALU_DEP_2)
	v_lshlrev_b64 v[12:13], 2, v[17:18]
	v_div_fmas_f32 v20, v21, v20, v23
	s_delay_alu instid0(VALU_DEP_2) | instskip(NEXT) | instid1(VALU_DEP_3)
	v_add_co_u32 v17, vcc_lo, s12, v12
	v_add_co_ci_u32_e32 v18, vcc_lo, s13, v13, vcc_lo
	s_delay_alu instid0(VALU_DEP_3)
	v_div_fixup_f32 v13, v20, v19, 1.0
	v_mov_b32_e32 v12, v24
	global_store_b32 v[17:18], v13, off
	s_and_not1_b32 exec_lo, exec_lo, s7
	s_cbranch_execnz .LBB47_5
; %bb.6:
	s_or_b32 exec_lo, exec_lo, s7
	v_cmp_lt_f32_e32 vcc_lo, v4, v5
	v_or_b32_e32 v17, 1, v16
	v_or_b32_e32 v18, 2, v16
	;; [unrolled: 1-line block ×4, first 2 shown]
	v_cndmask_b32_e32 v10, v4, v5, vcc_lo
	v_cndmask_b32_e32 v9, v16, v17, vcc_lo
	v_or_b32_e32 v21, 5, v16
	v_or_b32_e32 v23, 6, v16
	;; [unrolled: 1-line block ×3, first 2 shown]
	v_cmp_lt_f32_e32 vcc_lo, v10, v6
	s_cmp_gt_i32 s4, 0
	v_cmp_eq_u32_e64 s2, 0, v15
	s_cselect_b32 s7, -1, 0
	v_cndmask_b32_e32 v10, v10, v6, vcc_lo
	v_cndmask_b32_e32 v9, v9, v18, vcc_lo
	s_delay_alu instid0(VALU_DEP_2) | instskip(SKIP_1) | instid1(VALU_DEP_3)
	v_cmp_lt_f32_e32 vcc_lo, v10, v7
	v_cndmask_b32_e32 v10, v10, v7, vcc_lo
	v_cndmask_b32_e32 v9, v9, v19, vcc_lo
	s_delay_alu instid0(VALU_DEP_2) | instskip(SKIP_1) | instid1(VALU_DEP_3)
	v_cmp_lt_f32_e32 vcc_lo, v10, v0
	;; [unrolled: 4-line block ×3, first 2 shown]
	v_cndmask_b32_e32 v10, v10, v1, vcc_lo
	v_cndmask_b32_e32 v9, v9, v21, vcc_lo
	s_delay_alu instid0(VALU_DEP_2) | instskip(NEXT) | instid1(VALU_DEP_2)
	v_cmp_lt_f32_e32 vcc_lo, v10, v2
	v_dual_cndmask_b32 v10, v10, v2 :: v_dual_cndmask_b32 v9, v9, v23
	s_delay_alu instid0(VALU_DEP_1) | instskip(NEXT) | instid1(VALU_DEP_2)
	v_cmp_lt_f32_e32 vcc_lo, v10, v3
	v_cndmask_b32_e32 v9, v9, v24, vcc_lo
	v_cndmask_b32_e32 v11, v10, v3, vcc_lo
	s_and_b32 vcc_lo, exec_lo, s7
	s_delay_alu instid0(VALU_DEP_2) | instskip(NEXT) | instid1(VALU_DEP_2)
	v_mov_b32_dpp v13, v9 quad_perm:[1,0,3,2] row_mask:0xf bank_mask:0xf
	v_mov_b32_dpp v25, v11 quad_perm:[1,0,3,2] row_mask:0xf bank_mask:0xf
	s_cbranch_vccz .LBB47_18
; %bb.7:
	s_load_b128 s[8:11], s[0:1], 0x20
	s_delay_alu instid0(VALU_DEP_1)
	v_cmp_eq_f32_e32 vcc_lo, v11, v25
	v_cmp_lt_i32_e64 s0, v13, v9
	v_cmp_lt_f32_e64 s1, v11, v25
	v_mul_lo_u32 v10, v27, s14
	v_mul_lo_u32 v12, v27, s4
	v_mov_b32_e32 v26, 0
	s_and_b32 s0, vcc_lo, s0
	s_delay_alu instid0(SALU_CYCLE_1)
	s_or_b32 vcc_lo, s1, s0
	v_cndmask_b32_e32 v28, v9, v13, vcc_lo
	v_cndmask_b32_e32 v25, v11, v25, vcc_lo
	s_and_saveexec_b32 s1, s2
	s_cbranch_execz .LBB47_9
; %bb.8:
	s_delay_alu instid0(VALU_DEP_2) | instskip(SKIP_3) | instid1(VALU_DEP_3)
	v_cmp_le_i32_e32 vcc_lo, s5, v28
	v_cmp_gt_i32_e64 s0, s6, v28
	v_subrev_nc_u32_e32 v35, s5, v28
	v_ashrrev_i32_e32 v13, 31, v12
	s_and_b32 s0, vcc_lo, s0
	s_delay_alu instid0(SALU_CYCLE_1) | instskip(SKIP_1) | instid1(VALU_DEP_2)
	s_and_b32 vcc_lo, s16, s0
	v_sub_f32_e32 v26, v25, v25
	v_lshlrev_b64 v[33:34], 2, v[12:13]
	s_delay_alu instid0(VALU_DEP_2) | instskip(NEXT) | instid1(VALU_DEP_1)
	v_mul_f32_e32 v9, 0x3fb8aa3b, v26
	v_rndne_f32_e32 v31, v9
	v_fma_f32 v11, 0x3fb8aa3b, v26, -v9
	s_delay_alu instid0(VALU_DEP_2) | instskip(NEXT) | instid1(VALU_DEP_2)
	v_sub_f32_e32 v9, v9, v31
	v_fmamk_f32 v11, v26, 0x32a5705f, v11
	s_delay_alu instid0(VALU_DEP_1) | instskip(SKIP_1) | instid1(VALU_DEP_2)
	v_add_f32_e32 v11, v9, v11
	v_ashrrev_i32_e32 v9, 31, v8
	v_exp_f32_e32 v36, v11
	s_delay_alu instid0(VALU_DEP_1) | instskip(SKIP_2) | instid1(VALU_DEP_2)
	v_lshlrev_b64 v[29:30], 2, v[8:9]
	v_ashrrev_i32_e32 v11, 31, v10
	v_cvt_i32_f32_e32 v9, v31
	v_lshlrev_b64 v[31:32], 2, v[10:11]
	v_cndmask_b32_e32 v11, 16, v35, vcc_lo
	v_add_co_u32 v29, vcc_lo, s12, v29
	v_add_co_ci_u32_e32 v30, vcc_lo, s13, v30, vcc_lo
	s_delay_alu instid0(TRANS32_DEP_1) | instskip(SKIP_1) | instid1(VALU_DEP_2)
	v_ldexp_f32 v9, v36, v9
	v_cmp_ngt_f32_e32 vcc_lo, 0xc2ce8ed0, v26
	v_cndmask_b32_e32 v9, 0, v9, vcc_lo
	s_waitcnt lgkmcnt(0)
	v_add_co_u32 v31, vcc_lo, s8, v31
	v_add_co_ci_u32_e32 v32, vcc_lo, s9, v32, vcc_lo
	v_cmp_nlt_f32_e32 vcc_lo, 0x42b17218, v26
	v_cndmask_b32_e32 v26, 0x7f800000, v9, vcc_lo
	v_add_co_u32 v33, vcc_lo, s10, v33
	v_add_co_ci_u32_e32 v34, vcc_lo, s11, v34, vcc_lo
	global_store_b32 v[31:32], v11, off
	global_store_b32 v[29:30], v26, off
	;; [unrolled: 1-line block ×3, first 2 shown]
.LBB47_9:
	s_or_b32 exec_lo, exec_lo, s1
	v_ashrrev_i32_e32 v11, 31, v28
	s_mov_b32 s0, exec_lo
	s_delay_alu instid0(VALU_DEP_1) | instskip(NEXT) | instid1(VALU_DEP_1)
	v_lshrrev_b32_e32 v9, 29, v11
	v_add_nc_u32_e32 v13, v28, v9
	s_delay_alu instid0(VALU_DEP_1) | instskip(SKIP_1) | instid1(VALU_DEP_1)
	v_ashrrev_i32_e32 v9, 3, v13
	v_lshrrev_b32_e32 v13, 31, v13
	v_add_nc_u32_e32 v13, v9, v13
	s_delay_alu instid0(VALU_DEP_1) | instskip(NEXT) | instid1(VALU_DEP_1)
	v_and_b32_e32 v13, -2, v13
	v_sub_nc_u32_e32 v13, v9, v13
	s_delay_alu instid0(VALU_DEP_1)
	v_cmpx_eq_u32_e64 v15, v13
	s_cbranch_execz .LBB47_11
; %bb.10:
	v_lshrrev_b32_e32 v11, 28, v11
	v_lshlrev_b32_e32 v9, 3, v9
	s_delay_alu instid0(VALU_DEP_2) | instskip(NEXT) | instid1(VALU_DEP_2)
	v_add_nc_u32_e32 v11, v28, v11
	v_sub_nc_u32_e32 v9, v28, v9
	s_delay_alu instid0(VALU_DEP_2) | instskip(NEXT) | instid1(VALU_DEP_1)
	v_ashrrev_i32_e32 v11, 4, v11
	v_lshl_add_u32 v9, v11, 3, v9
	s_delay_alu instid0(VALU_DEP_1)
	v_cmp_ne_u32_e32 vcc_lo, 7, v9
	v_cndmask_b32_e32 v3, 0xff800000, v3, vcc_lo
	v_cmp_ne_u32_e32 vcc_lo, 6, v9
	v_cndmask_b32_e32 v2, 0xff800000, v2, vcc_lo
	;; [unrolled: 2-line block ×8, first 2 shown]
.LBB47_11:
	s_or_b32 exec_lo, exec_lo, s0
	s_cmp_eq_u32 s4, 1
	s_cbranch_scc1 .LBB47_19
; %bb.12:
	s_add_i32 s17, s17, s3
	v_add_nc_u32_e32 v9, 1, v12
	v_add3_u32 v22, s17, v22, v14
	v_add_nc_u32_e32 v11, 1, v10
	v_add_nc_u32_e32 v13, 1, v8
	s_add_i32 s14, s4, -1
	s_branch .LBB47_14
.LBB47_13:                              ;   in Loop: Header=BB47_14 Depth=1
	s_or_b32 exec_lo, exec_lo, s0
	v_add_nc_u32_e32 v22, s3, v22
	v_add_nc_u32_e32 v9, 1, v9
	;; [unrolled: 1-line block ×4, first 2 shown]
	s_add_i32 s14, s14, -1
	s_delay_alu instid0(SALU_CYCLE_1)
	s_cmp_eq_u32 s14, 0
	s_cbranch_scc1 .LBB47_19
.LBB47_14:                              ; =>This Inner Loop Header: Depth=1
	v_cmp_gt_f32_e32 vcc_lo, v5, v4
	v_cndmask_b32_e32 v12, v4, v5, vcc_lo
	v_cndmask_b32_e32 v10, v16, v17, vcc_lo
	s_delay_alu instid0(VALU_DEP_2) | instskip(SKIP_1) | instid1(VALU_DEP_3)
	v_cmp_gt_f32_e32 vcc_lo, v6, v12
	v_cndmask_b32_e32 v12, v12, v6, vcc_lo
	v_cndmask_b32_e32 v10, v10, v18, vcc_lo
	s_delay_alu instid0(VALU_DEP_2) | instskip(SKIP_1) | instid1(VALU_DEP_3)
	;; [unrolled: 4-line block ×5, first 2 shown]
	v_cmp_gt_f32_e32 vcc_lo, v2, v12
	v_cndmask_b32_e32 v12, v12, v2, vcc_lo
	v_cndmask_b32_e32 v10, v10, v23, vcc_lo
	s_delay_alu instid0(VALU_DEP_2) | instskip(NEXT) | instid1(VALU_DEP_2)
	v_cmp_gt_f32_e32 vcc_lo, v3, v12
	v_cndmask_b32_e32 v14, v10, v24, vcc_lo
	v_cndmask_b32_e32 v10, v12, v3, vcc_lo
	s_delay_alu instid0(VALU_DEP_2) | instskip(NEXT) | instid1(VALU_DEP_2)
	v_mov_b32_dpp v27, v14 quad_perm:[1,0,3,2] row_mask:0xf bank_mask:0xf
	v_mov_b32_dpp v12, v10 quad_perm:[1,0,3,2] row_mask:0xf bank_mask:0xf
	s_delay_alu instid0(VALU_DEP_2) | instskip(NEXT) | instid1(VALU_DEP_2)
	v_cmp_lt_i32_e32 vcc_lo, v27, v14
	v_cmp_eq_f32_e64 s0, v10, v12
	v_cmp_lt_f32_e64 s1, v10, v12
	s_delay_alu instid0(VALU_DEP_2)
	s_and_b32 s0, s0, vcc_lo
	s_delay_alu instid0(VALU_DEP_1) | instid1(SALU_CYCLE_1)
	s_or_b32 vcc_lo, s1, s0
	v_cndmask_b32_e32 v27, v14, v27, vcc_lo
	s_and_saveexec_b32 s1, s2
	s_cbranch_execz .LBB47_16
; %bb.15:                               ;   in Loop: Header=BB47_14 Depth=1
	v_cndmask_b32_e32 v10, v10, v12, vcc_lo
	s_delay_alu instid0(VALU_DEP_2) | instskip(SKIP_4) | instid1(VALU_DEP_4)
	v_cmp_le_i32_e32 vcc_lo, s5, v27
	v_cmp_gt_i32_e64 s0, s6, v27
	v_ashrrev_i32_e32 v14, 31, v13
	v_subrev_nc_u32_e32 v35, s5, v27
	v_sub_f32_e32 v34, v10, v25
	s_and_b32 s0, vcc_lo, s0
	s_delay_alu instid0(SALU_CYCLE_1) | instskip(NEXT) | instid1(VALU_DEP_1)
	s_and_b32 vcc_lo, s16, s0
	v_mul_f32_e32 v10, 0x3fb8aa3b, v34
	s_delay_alu instid0(VALU_DEP_1) | instskip(SKIP_1) | instid1(VALU_DEP_2)
	v_fma_f32 v12, 0x3fb8aa3b, v34, -v10
	v_rndne_f32_e32 v28, v10
	v_fmac_f32_e32 v12, 0x32a5705f, v34
	s_delay_alu instid0(VALU_DEP_2) | instskip(SKIP_2) | instid1(VALU_DEP_3)
	v_sub_f32_e32 v10, v10, v28
	v_cvt_i32_f32_e32 v33, v28
	v_lshlrev_b64 v[28:29], 2, v[13:14]
	v_add_f32_e32 v10, v10, v12
	v_ashrrev_i32_e32 v12, 31, v11
	s_delay_alu instid0(VALU_DEP_2) | instskip(SKIP_1) | instid1(VALU_DEP_2)
	v_exp_f32_e32 v32, v10
	v_ashrrev_i32_e32 v10, 31, v9
	v_lshlrev_b64 v[30:31], 2, v[11:12]
	s_waitcnt_depctr 0xfff
	v_ldexp_f32 v12, v32, v33
	v_lshlrev_b64 v[32:33], 2, v[9:10]
	v_cndmask_b32_e32 v10, 16, v35, vcc_lo
	v_cmp_ngt_f32_e32 vcc_lo, 0xc2ce8ed0, v34
	s_delay_alu instid0(VALU_DEP_4) | instskip(SKIP_3) | instid1(VALU_DEP_4)
	v_cndmask_b32_e32 v12, 0, v12, vcc_lo
	v_add_co_u32 v28, vcc_lo, s12, v28
	v_add_co_ci_u32_e32 v29, vcc_lo, s13, v29, vcc_lo
	v_cmp_nlt_f32_e32 vcc_lo, 0x42b17218, v34
	v_cndmask_b32_e32 v12, 0x7f800000, v12, vcc_lo
	s_waitcnt lgkmcnt(0)
	v_add_co_u32 v30, vcc_lo, s8, v30
	v_add_co_ci_u32_e32 v31, vcc_lo, s9, v31, vcc_lo
	v_add_co_u32 v32, vcc_lo, s10, v32
	v_add_f32_e32 v26, v26, v12
	v_add_co_ci_u32_e32 v33, vcc_lo, s11, v33, vcc_lo
	global_store_b32 v[28:29], v12, off
	global_store_b32 v[30:31], v10, off
	;; [unrolled: 1-line block ×3, first 2 shown]
.LBB47_16:                              ;   in Loop: Header=BB47_14 Depth=1
	s_or_b32 exec_lo, exec_lo, s1
	s_delay_alu instid0(VALU_DEP_1) | instskip(SKIP_1) | instid1(VALU_DEP_1)
	v_ashrrev_i32_e32 v12, 31, v27
	s_mov_b32 s0, exec_lo
	v_lshrrev_b32_e32 v10, 29, v12
	s_delay_alu instid0(VALU_DEP_1) | instskip(NEXT) | instid1(VALU_DEP_1)
	v_add_nc_u32_e32 v14, v27, v10
	v_ashrrev_i32_e32 v10, 3, v14
	v_lshrrev_b32_e32 v14, 31, v14
	s_delay_alu instid0(VALU_DEP_1) | instskip(NEXT) | instid1(VALU_DEP_1)
	v_add_nc_u32_e32 v14, v10, v14
	v_and_b32_e32 v14, -2, v14
	s_delay_alu instid0(VALU_DEP_1) | instskip(NEXT) | instid1(VALU_DEP_1)
	v_sub_nc_u32_e32 v14, v10, v14
	v_cmpx_eq_u32_e64 v15, v14
	s_cbranch_execz .LBB47_13
; %bb.17:                               ;   in Loop: Header=BB47_14 Depth=1
	v_lshrrev_b32_e32 v12, 28, v12
	v_lshlrev_b32_e32 v10, 3, v10
	s_delay_alu instid0(VALU_DEP_2) | instskip(NEXT) | instid1(VALU_DEP_2)
	v_add_nc_u32_e32 v12, v27, v12
	v_sub_nc_u32_e32 v10, v27, v10
	s_delay_alu instid0(VALU_DEP_2) | instskip(NEXT) | instid1(VALU_DEP_1)
	v_ashrrev_i32_e32 v12, 4, v12
	v_lshl_add_u32 v10, v12, 3, v10
	s_delay_alu instid0(VALU_DEP_1)
	v_cmp_ne_u32_e32 vcc_lo, 7, v10
	v_cndmask_b32_e32 v3, 0xff800000, v3, vcc_lo
	v_cmp_ne_u32_e32 vcc_lo, 6, v10
	v_cndmask_b32_e32 v2, 0xff800000, v2, vcc_lo
	;; [unrolled: 2-line block ×8, first 2 shown]
	s_branch .LBB47_13
.LBB47_18:
	v_mov_b32_e32 v26, 0
.LBB47_19:
	v_cmp_eq_u32_e32 vcc_lo, 0, v15
	s_delay_alu instid0(VALU_DEP_2) | instskip(NEXT) | instid1(VALU_DEP_1)
	v_cmp_neq_f32_e64 s0, 0, v26
	s_and_b32 s0, vcc_lo, s0
	s_delay_alu instid0(SALU_CYCLE_1)
	s_and_b32 exec_lo, exec_lo, s0
	s_cbranch_execz .LBB47_23
; %bb.20:
	s_and_not1_b32 vcc_lo, exec_lo, s7
	s_cbranch_vccnz .LBB47_23
; %bb.21:
	v_div_scale_f32 v0, null, v26, v26, 1.0
	v_div_scale_f32 v3, vcc_lo, 1.0, v26, 1.0
	v_ashrrev_i32_e32 v9, 31, v8
	s_delay_alu instid0(VALU_DEP_3) | instskip(SKIP_2) | instid1(VALU_DEP_1)
	v_rcp_f32_e32 v1, v0
	s_waitcnt_depctr 0xfff
	v_fma_f32 v2, -v0, v1, 1.0
	v_fmac_f32_e32 v1, v2, v1
	s_delay_alu instid0(VALU_DEP_1) | instskip(NEXT) | instid1(VALU_DEP_1)
	v_mul_f32_e32 v2, v3, v1
	v_fma_f32 v4, -v0, v2, v3
	s_delay_alu instid0(VALU_DEP_1) | instskip(NEXT) | instid1(VALU_DEP_1)
	v_fmac_f32_e32 v2, v4, v1
	v_fma_f32 v0, -v0, v2, v3
	s_delay_alu instid0(VALU_DEP_1) | instskip(SKIP_1) | instid1(VALU_DEP_2)
	v_div_fmas_f32 v2, v0, v1, v2
	v_lshlrev_b64 v[0:1], 2, v[8:9]
	v_div_fixup_f32 v2, v2, v26, 1.0
	s_delay_alu instid0(VALU_DEP_2) | instskip(NEXT) | instid1(VALU_DEP_3)
	v_add_co_u32 v0, vcc_lo, s12, v0
	v_add_co_ci_u32_e32 v1, vcc_lo, s13, v1, vcc_lo
.LBB47_22:                              ; =>This Inner Loop Header: Depth=1
	global_load_b32 v3, v[0:1], off
	s_add_i32 s4, s4, -1
	s_delay_alu instid0(SALU_CYCLE_1)
	s_cmp_lg_u32 s4, 0
	s_waitcnt vmcnt(0)
	v_mul_f32_e32 v3, v2, v3
	global_store_b32 v[0:1], v3, off
	v_add_co_u32 v0, vcc_lo, v0, 4
	v_add_co_ci_u32_e32 v1, vcc_lo, 0, v1, vcc_lo
	s_cbranch_scc1 .LBB47_22
.LBB47_23:
	s_nop 0
	s_sendmsg sendmsg(MSG_DEALLOC_VGPRS)
	s_endpgm
	.section	.rodata,"a",@progbits
	.p2align	6, 0x0
	.amdhsa_kernel _ZN4vllm3moe17topkGatingSoftmaxIfLi8ELi16ELi8ELi32ELb1ELi4ELNS0_23SharedExpertScoringFuncE1EEEvPKT_PKbPfiPiS9_iiiiii
		.amdhsa_group_segment_fixed_size 0
		.amdhsa_private_segment_fixed_size 0
		.amdhsa_kernarg_size 72
		.amdhsa_user_sgpr_count 15
		.amdhsa_user_sgpr_dispatch_ptr 0
		.amdhsa_user_sgpr_queue_ptr 0
		.amdhsa_user_sgpr_kernarg_segment_ptr 1
		.amdhsa_user_sgpr_dispatch_id 0
		.amdhsa_user_sgpr_private_segment_size 0
		.amdhsa_wavefront_size32 1
		.amdhsa_uses_dynamic_stack 0
		.amdhsa_enable_private_segment 0
		.amdhsa_system_sgpr_workgroup_id_x 1
		.amdhsa_system_sgpr_workgroup_id_y 0
		.amdhsa_system_sgpr_workgroup_id_z 0
		.amdhsa_system_sgpr_workgroup_info 0
		.amdhsa_system_vgpr_workitem_id 1
		.amdhsa_next_free_vgpr 37
		.amdhsa_next_free_sgpr 18
		.amdhsa_reserve_vcc 1
		.amdhsa_float_round_mode_32 0
		.amdhsa_float_round_mode_16_64 0
		.amdhsa_float_denorm_mode_32 3
		.amdhsa_float_denorm_mode_16_64 3
		.amdhsa_dx10_clamp 1
		.amdhsa_ieee_mode 1
		.amdhsa_fp16_overflow 0
		.amdhsa_workgroup_processor_mode 1
		.amdhsa_memory_ordered 1
		.amdhsa_forward_progress 0
		.amdhsa_shared_vgpr_count 0
		.amdhsa_exception_fp_ieee_invalid_op 0
		.amdhsa_exception_fp_denorm_src 0
		.amdhsa_exception_fp_ieee_div_zero 0
		.amdhsa_exception_fp_ieee_overflow 0
		.amdhsa_exception_fp_ieee_underflow 0
		.amdhsa_exception_fp_ieee_inexact 0
		.amdhsa_exception_int_div_zero 0
	.end_amdhsa_kernel
	.section	.text._ZN4vllm3moe17topkGatingSoftmaxIfLi8ELi16ELi8ELi32ELb1ELi4ELNS0_23SharedExpertScoringFuncE1EEEvPKT_PKbPfiPiS9_iiiiii,"axG",@progbits,_ZN4vllm3moe17topkGatingSoftmaxIfLi8ELi16ELi8ELi32ELb1ELi4ELNS0_23SharedExpertScoringFuncE1EEEvPKT_PKbPfiPiS9_iiiiii,comdat
.Lfunc_end47:
	.size	_ZN4vllm3moe17topkGatingSoftmaxIfLi8ELi16ELi8ELi32ELb1ELi4ELNS0_23SharedExpertScoringFuncE1EEEvPKT_PKbPfiPiS9_iiiiii, .Lfunc_end47-_ZN4vllm3moe17topkGatingSoftmaxIfLi8ELi16ELi8ELi32ELb1ELi4ELNS0_23SharedExpertScoringFuncE1EEEvPKT_PKbPfiPiS9_iiiiii
                                        ; -- End function
	.section	.AMDGPU.csdata,"",@progbits
; Kernel info:
; codeLenInByte = 2308
; NumSgprs: 20
; NumVgprs: 37
; ScratchSize: 0
; MemoryBound: 0
; FloatMode: 240
; IeeeMode: 1
; LDSByteSize: 0 bytes/workgroup (compile time only)
; SGPRBlocks: 2
; VGPRBlocks: 4
; NumSGPRsForWavesPerEU: 20
; NumVGPRsForWavesPerEU: 37
; Occupancy: 16
; WaveLimiterHint : 0
; COMPUTE_PGM_RSRC2:SCRATCH_EN: 0
; COMPUTE_PGM_RSRC2:USER_SGPR: 15
; COMPUTE_PGM_RSRC2:TRAP_HANDLER: 0
; COMPUTE_PGM_RSRC2:TGID_X_EN: 1
; COMPUTE_PGM_RSRC2:TGID_Y_EN: 0
; COMPUTE_PGM_RSRC2:TGID_Z_EN: 0
; COMPUTE_PGM_RSRC2:TIDIG_COMP_CNT: 1
	.section	.text._ZN4vllm3moe17topkGatingSoftmaxIfLi8ELi16ELi8ELi32ELb0ELi4ELNS0_23SharedExpertScoringFuncE1EEEvPKT_PKbPfiPiS9_iiiiii,"axG",@progbits,_ZN4vllm3moe17topkGatingSoftmaxIfLi8ELi16ELi8ELi32ELb0ELi4ELNS0_23SharedExpertScoringFuncE1EEEvPKT_PKbPfiPiS9_iiiiii,comdat
	.protected	_ZN4vllm3moe17topkGatingSoftmaxIfLi8ELi16ELi8ELi32ELb0ELi4ELNS0_23SharedExpertScoringFuncE1EEEvPKT_PKbPfiPiS9_iiiiii ; -- Begin function _ZN4vllm3moe17topkGatingSoftmaxIfLi8ELi16ELi8ELi32ELb0ELi4ELNS0_23SharedExpertScoringFuncE1EEEvPKT_PKbPfiPiS9_iiiiii
	.globl	_ZN4vllm3moe17topkGatingSoftmaxIfLi8ELi16ELi8ELi32ELb0ELi4ELNS0_23SharedExpertScoringFuncE1EEEvPKT_PKbPfiPiS9_iiiiii
	.p2align	8
	.type	_ZN4vllm3moe17topkGatingSoftmaxIfLi8ELi16ELi8ELi32ELb0ELi4ELNS0_23SharedExpertScoringFuncE1EEEvPKT_PKbPfiPiS9_iiiiii,@function
_ZN4vllm3moe17topkGatingSoftmaxIfLi8ELi16ELi8ELi32ELb0ELi4ELNS0_23SharedExpertScoringFuncE1EEEvPKT_PKbPfiPiS9_iiiiii: ; @_ZN4vllm3moe17topkGatingSoftmaxIfLi8ELi16ELi8ELi32ELb0ELi4ELNS0_23SharedExpertScoringFuncE1EEEvPKT_PKbPfiPiS9_iiiiii
; %bb.0:
	s_load_b32 s16, s[0:1], 0x18
	v_bfe_u32 v1, v0, 10, 10
	v_and_b32_e32 v0, 0x3ff, v0
	s_lshl_b32 s18, s15, 7
	s_mov_b32 s2, exec_lo
	s_delay_alu instid0(VALU_DEP_2) | instskip(NEXT) | instid1(VALU_DEP_2)
	v_lshlrev_b32_e32 v14, 4, v1
	v_lshrrev_b32_e32 v24, 1, v0
	s_delay_alu instid0(VALU_DEP_1) | instskip(SKIP_1) | instid1(VALU_DEP_1)
	v_add3_u32 v27, s18, v14, v24
	s_waitcnt lgkmcnt(0)
	v_cmpx_gt_i32_e64 s16, v27
	s_cbranch_execz .LBB48_24
; %bb.1:
	s_clause 0x1
	s_load_b128 s[8:11], s[0:1], 0x0
	s_load_b64 s[12:13], s[0:1], 0x10
	s_waitcnt lgkmcnt(0)
	s_cmp_eq_u64 s[10:11], 0
	s_cbranch_scc1 .LBB48_3
; %bb.2:
	v_ashrrev_i32_e32 v2, 31, v27
	v_add_co_u32 v1, vcc_lo, s10, v27
	s_delay_alu instid0(VALU_DEP_2) | instskip(SKIP_3) | instid1(VALU_DEP_1)
	v_add_co_ci_u32_e32 v2, vcc_lo, s11, v2, vcc_lo
	global_load_u8 v1, v[1:2], off
	s_waitcnt vmcnt(0)
	v_and_b32_e32 v1, 1, v1
	v_cmp_eq_u32_e32 vcc_lo, 1, v1
	s_xor_b32 s2, vcc_lo, -1
	s_delay_alu instid0(SALU_CYCLE_1)
	s_or_not1_b32 s17, s2, exec_lo
	s_branch .LBB48_4
.LBB48_3:
	s_mov_b32 s17, -1
.LBB48_4:
	s_clause 0x1
	s_load_b64 s[14:15], s[0:1], 0x40
	s_load_b128 s[4:7], s[0:1], 0x30
	v_and_b32_e32 v15, 1, v0
	s_mov_b32 s3, 0
	s_delay_alu instid0(VALU_DEP_1)
	v_lshlrev_b32_e32 v0, 5, v15
	v_dual_mov_b32 v12, v15 :: v_dual_lshlrev_b32 v11, 2, v15
	v_lshlrev_b32_e32 v18, 3, v15
	s_waitcnt lgkmcnt(0)
	v_mul_lo_u32 v1, v27, s15
	v_mul_lo_u32 v8, v27, s7
	s_delay_alu instid0(VALU_DEP_2) | instskip(NEXT) | instid1(VALU_DEP_1)
	v_ashrrev_i32_e32 v2, 31, v1
	v_lshlrev_b64 v[9:10], 2, v[1:2]
	s_delay_alu instid0(VALU_DEP_1) | instskip(NEXT) | instid1(VALU_DEP_2)
	v_add_co_u32 v1, vcc_lo, s8, v9
	v_add_co_ci_u32_e32 v2, vcc_lo, s9, v10, vcc_lo
	s_delay_alu instid0(VALU_DEP_2) | instskip(NEXT) | instid1(VALU_DEP_2)
	v_add_co_u32 v4, vcc_lo, v1, v0
	v_add_co_ci_u32_e32 v5, vcc_lo, 0, v2, vcc_lo
	v_add_co_u32 v9, vcc_lo, v9, v11
	v_add_co_ci_u32_e32 v10, vcc_lo, 0, v10, vcc_lo
	s_clause 0x1
	global_load_b128 v[0:3], v[4:5], off offset:16
	global_load_b128 v[4:7], v[4:5], off
	v_add_co_u32 v9, vcc_lo, v9, s8
	v_add_co_ci_u32_e32 v10, vcc_lo, s9, v10, vcc_lo
	v_add_nc_u32_e32 v11, s4, v8
	s_delay_alu instid0(VALU_DEP_3) | instskip(NEXT) | instid1(VALU_DEP_3)
	v_add_co_u32 v9, vcc_lo, v9, 64
	v_add_co_ci_u32_e32 v10, vcc_lo, 0, v10, vcc_lo
.LBB48_5:                               ; =>This Inner Loop Header: Depth=1
	global_load_b32 v13, v[9:10], off
	v_add_co_u32 v9, s2, v9, 8
	s_delay_alu instid0(VALU_DEP_1) | instskip(SKIP_2) | instid1(VALU_DEP_2)
	v_add_co_ci_u32_e64 v10, s2, 0, v10, s2
	v_cmp_lt_u32_e64 s2, 1, v12
	v_add_nc_u32_e32 v23, 2, v12
	s_or_b32 s3, s2, s3
	s_waitcnt vmcnt(0)
	v_mul_f32_e32 v16, 0xbfb8aa3b, v13
	v_cmp_nlt_f32_e32 vcc_lo, 0x42ce8ed0, v13
	s_delay_alu instid0(VALU_DEP_2) | instskip(SKIP_1) | instid1(VALU_DEP_2)
	v_rndne_f32_e32 v17, v16
	v_fma_f32 v19, 0xbfb8aa3b, v13, -v16
	v_sub_f32_e32 v16, v16, v17
	s_delay_alu instid0(VALU_DEP_2) | instskip(SKIP_1) | instid1(VALU_DEP_2)
	v_fmac_f32_e32 v19, 0xb2a5705f, v13
	v_cvt_i32_f32_e32 v17, v17
	v_add_f32_e32 v16, v16, v19
	s_delay_alu instid0(VALU_DEP_1) | instskip(SKIP_2) | instid1(VALU_DEP_1)
	v_exp_f32_e32 v16, v16
	s_waitcnt_depctr 0xfff
	v_ldexp_f32 v16, v16, v17
	v_cndmask_b32_e32 v16, 0, v16, vcc_lo
	v_cmp_ngt_f32_e32 vcc_lo, 0xc2b17218, v13
	s_delay_alu instid0(VALU_DEP_2) | instskip(NEXT) | instid1(VALU_DEP_1)
	v_cndmask_b32_e32 v13, 0x7f800000, v16, vcc_lo
	v_add_f32_e32 v19, 1.0, v13
	s_delay_alu instid0(VALU_DEP_1) | instskip(SKIP_1) | instid1(VALU_DEP_2)
	v_div_scale_f32 v13, null, v19, v19, 1.0
	v_div_scale_f32 v21, vcc_lo, 1.0, v19, 1.0
	v_rcp_f32_e32 v20, v13
	s_waitcnt_depctr 0xfff
	v_fma_f32 v16, -v13, v20, 1.0
	s_delay_alu instid0(VALU_DEP_1) | instskip(SKIP_1) | instid1(VALU_DEP_2)
	v_fmac_f32_e32 v20, v16, v20
	v_add_nc_u32_e32 v16, v11, v12
	v_mul_f32_e32 v22, v21, v20
	s_delay_alu instid0(VALU_DEP_1) | instskip(NEXT) | instid1(VALU_DEP_1)
	v_fma_f32 v17, -v13, v22, v21
	v_fmac_f32_e32 v22, v17, v20
	s_delay_alu instid0(VALU_DEP_4) | instskip(NEXT) | instid1(VALU_DEP_2)
	v_ashrrev_i32_e32 v17, 31, v16
	v_fma_f32 v21, -v13, v22, v21
	s_delay_alu instid0(VALU_DEP_2) | instskip(NEXT) | instid1(VALU_DEP_2)
	v_lshlrev_b64 v[12:13], 2, v[16:17]
	v_div_fmas_f32 v20, v21, v20, v22
	s_delay_alu instid0(VALU_DEP_2) | instskip(SKIP_1) | instid1(VALU_DEP_4)
	v_add_co_u32 v16, vcc_lo, s12, v12
	v_mov_b32_e32 v12, v23
	v_add_co_ci_u32_e32 v17, vcc_lo, s13, v13, vcc_lo
	s_delay_alu instid0(VALU_DEP_4)
	v_div_fixup_f32 v13, v20, v19, 1.0
	global_store_b32 v[16:17], v13, off
	s_and_not1_b32 exec_lo, exec_lo, s3
	s_cbranch_execnz .LBB48_5
; %bb.6:
	s_or_b32 exec_lo, exec_lo, s3
	v_or_b32_e32 v19, 1, v18
	v_cmp_lt_f32_e32 vcc_lo, v4, v5
	v_or_b32_e32 v20, 2, v18
	v_or_b32_e32 v21, 3, v18
	;; [unrolled: 1-line block ×4, first 2 shown]
	v_dual_cndmask_b32 v9, v18, v19 :: v_dual_cndmask_b32 v10, v4, v5
	v_or_b32_e32 v25, 6, v18
	v_or_b32_e32 v26, 7, v18
	s_delay_alu instid0(VALU_DEP_3) | instskip(NEXT) | instid1(VALU_DEP_4)
	v_cmp_lt_f32_e32 vcc_lo, v10, v6
	v_dual_cndmask_b32 v9, v9, v20 :: v_dual_cndmask_b32 v10, v10, v6
	s_delay_alu instid0(VALU_DEP_1) | instskip(NEXT) | instid1(VALU_DEP_2)
	v_cmp_lt_f32_e32 vcc_lo, v10, v7
	v_dual_cndmask_b32 v9, v9, v21 :: v_dual_cndmask_b32 v10, v10, v7
	s_delay_alu instid0(VALU_DEP_1) | instskip(NEXT) | instid1(VALU_DEP_2)
	;; [unrolled: 3-line block ×6, first 2 shown]
	v_mov_b32_dpp v11, v9 quad_perm:[1,0,3,2] row_mask:0xf bank_mask:0xf
	v_mov_b32_dpp v12, v10 quad_perm:[1,0,3,2] row_mask:0xf bank_mask:0xf
	s_delay_alu instid0(VALU_DEP_2) | instskip(NEXT) | instid1(VALU_DEP_2)
	v_cmp_lt_i32_e32 vcc_lo, v11, v9
	v_cmp_eq_f32_e64 s2, v10, v12
	v_cmp_lt_f32_e64 s3, v10, v12
	s_delay_alu instid0(VALU_DEP_2)
	s_and_b32 s2, s2, vcc_lo
	s_delay_alu instid0(VALU_DEP_1) | instid1(SALU_CYCLE_1)
	s_or_b32 s3, s3, s2
	s_cmp_gt_i32 s4, 0
	v_cndmask_b32_e64 v16, v10, v12, s3
	v_cmp_eq_u32_e64 s2, 0, v15
	s_cselect_b32 s7, -1, 0
	s_delay_alu instid0(SALU_CYCLE_1)
	s_and_b32 vcc_lo, exec_lo, s7
	s_cbranch_vccz .LBB48_18
; %bb.7:
	s_load_b128 s[8:11], s[0:1], 0x20
	v_mul_lo_u32 v10, v27, s14
	v_mul_lo_u32 v12, v27, s4
	v_cndmask_b32_e64 v28, v9, v11, s3
	v_mov_b32_e32 v17, 0
	s_and_saveexec_b32 s1, s2
	s_cbranch_execz .LBB48_9
; %bb.8:
	v_sub_f32_e32 v17, v16, v16
	v_cmp_le_i32_e32 vcc_lo, s5, v28
	v_cmp_gt_i32_e64 s0, s6, v28
	v_subrev_nc_u32_e32 v35, s5, v28
	v_ashrrev_i32_e32 v13, 31, v12
	v_mul_f32_e32 v9, 0x3fb8aa3b, v17
	s_delay_alu instid0(VALU_DEP_4) | instskip(NEXT) | instid1(SALU_CYCLE_1)
	s_and_b32 s0, vcc_lo, s0
	s_and_b32 vcc_lo, s17, s0
	s_delay_alu instid0(VALU_DEP_1) | instskip(SKIP_2) | instid1(VALU_DEP_3)
	v_rndne_f32_e32 v31, v9
	v_fma_f32 v11, 0x3fb8aa3b, v17, -v9
	v_lshlrev_b64 v[33:34], 2, v[12:13]
	v_sub_f32_e32 v9, v9, v31
	s_delay_alu instid0(VALU_DEP_3) | instskip(NEXT) | instid1(VALU_DEP_1)
	v_fmamk_f32 v11, v17, 0x32a5705f, v11
	v_add_f32_e32 v11, v9, v11
	v_ashrrev_i32_e32 v9, 31, v8
	s_delay_alu instid0(VALU_DEP_2) | instskip(NEXT) | instid1(VALU_DEP_1)
	v_exp_f32_e32 v36, v11
	v_lshlrev_b64 v[29:30], 2, v[8:9]
	v_ashrrev_i32_e32 v11, 31, v10
	v_cvt_i32_f32_e32 v9, v31
	s_delay_alu instid0(VALU_DEP_2) | instskip(SKIP_3) | instid1(TRANS32_DEP_1)
	v_lshlrev_b64 v[31:32], 2, v[10:11]
	v_cndmask_b32_e32 v11, 16, v35, vcc_lo
	v_add_co_u32 v29, vcc_lo, s12, v29
	v_add_co_ci_u32_e32 v30, vcc_lo, s13, v30, vcc_lo
	v_ldexp_f32 v9, v36, v9
	v_cmp_ngt_f32_e32 vcc_lo, 0xc2ce8ed0, v17
	s_delay_alu instid0(VALU_DEP_2)
	v_cndmask_b32_e32 v9, 0, v9, vcc_lo
	s_waitcnt lgkmcnt(0)
	v_add_co_u32 v31, vcc_lo, s8, v31
	v_add_co_ci_u32_e32 v32, vcc_lo, s9, v32, vcc_lo
	v_cmp_nlt_f32_e32 vcc_lo, 0x42b17218, v17
	v_cndmask_b32_e32 v17, 0x7f800000, v9, vcc_lo
	v_add_co_u32 v33, vcc_lo, s10, v33
	v_add_co_ci_u32_e32 v34, vcc_lo, s11, v34, vcc_lo
	global_store_b32 v[31:32], v11, off
	global_store_b32 v[29:30], v17, off
	global_store_b32 v[33:34], v27, off
.LBB48_9:
	s_or_b32 exec_lo, exec_lo, s1
	v_ashrrev_i32_e32 v11, 31, v28
	s_mov_b32 s0, exec_lo
	s_delay_alu instid0(VALU_DEP_1) | instskip(NEXT) | instid1(VALU_DEP_1)
	v_lshrrev_b32_e32 v9, 29, v11
	v_add_nc_u32_e32 v13, v28, v9
	s_delay_alu instid0(VALU_DEP_1) | instskip(SKIP_1) | instid1(VALU_DEP_1)
	v_ashrrev_i32_e32 v9, 3, v13
	v_lshrrev_b32_e32 v13, 31, v13
	v_add_nc_u32_e32 v13, v9, v13
	s_delay_alu instid0(VALU_DEP_1) | instskip(NEXT) | instid1(VALU_DEP_1)
	v_and_b32_e32 v13, -2, v13
	v_sub_nc_u32_e32 v13, v9, v13
	s_delay_alu instid0(VALU_DEP_1)
	v_cmpx_eq_u32_e64 v15, v13
	s_cbranch_execz .LBB48_11
; %bb.10:
	v_lshrrev_b32_e32 v11, 28, v11
	v_lshlrev_b32_e32 v9, 3, v9
	s_delay_alu instid0(VALU_DEP_2) | instskip(NEXT) | instid1(VALU_DEP_2)
	v_add_nc_u32_e32 v11, v28, v11
	v_sub_nc_u32_e32 v9, v28, v9
	s_delay_alu instid0(VALU_DEP_2) | instskip(NEXT) | instid1(VALU_DEP_1)
	v_ashrrev_i32_e32 v11, 4, v11
	v_lshl_add_u32 v9, v11, 3, v9
	s_delay_alu instid0(VALU_DEP_1)
	v_cmp_ne_u32_e32 vcc_lo, 7, v9
	v_cndmask_b32_e32 v3, 0xff800000, v3, vcc_lo
	v_cmp_ne_u32_e32 vcc_lo, 6, v9
	v_cndmask_b32_e32 v2, 0xff800000, v2, vcc_lo
	;; [unrolled: 2-line block ×8, first 2 shown]
.LBB48_11:
	s_or_b32 exec_lo, exec_lo, s0
	s_cmp_eq_u32 s4, 1
	s_cbranch_scc1 .LBB48_19
; %bb.12:
	s_add_i32 s18, s18, s16
	v_add_nc_u32_e32 v9, 1, v12
	v_add3_u32 v24, s18, v24, v14
	v_add_nc_u32_e32 v11, 1, v10
	v_add_nc_u32_e32 v13, 1, v8
	s_add_i32 s3, s4, -1
	s_branch .LBB48_14
.LBB48_13:                              ;   in Loop: Header=BB48_14 Depth=1
	s_or_b32 exec_lo, exec_lo, s0
	v_add_nc_u32_e32 v24, s16, v24
	v_add_nc_u32_e32 v9, 1, v9
	;; [unrolled: 1-line block ×4, first 2 shown]
	s_add_i32 s3, s3, -1
	s_delay_alu instid0(SALU_CYCLE_1)
	s_cmp_eq_u32 s3, 0
	s_cbranch_scc1 .LBB48_19
.LBB48_14:                              ; =>This Inner Loop Header: Depth=1
	v_cmp_gt_f32_e32 vcc_lo, v5, v4
	v_cndmask_b32_e32 v12, v4, v5, vcc_lo
	v_cndmask_b32_e32 v10, v18, v19, vcc_lo
	s_delay_alu instid0(VALU_DEP_2) | instskip(SKIP_1) | instid1(VALU_DEP_3)
	v_cmp_gt_f32_e32 vcc_lo, v6, v12
	v_cndmask_b32_e32 v12, v12, v6, vcc_lo
	v_cndmask_b32_e32 v10, v10, v20, vcc_lo
	s_delay_alu instid0(VALU_DEP_2) | instskip(SKIP_1) | instid1(VALU_DEP_3)
	;; [unrolled: 4-line block ×5, first 2 shown]
	v_cmp_gt_f32_e32 vcc_lo, v2, v12
	v_cndmask_b32_e32 v12, v12, v2, vcc_lo
	v_cndmask_b32_e32 v10, v10, v25, vcc_lo
	s_delay_alu instid0(VALU_DEP_2) | instskip(NEXT) | instid1(VALU_DEP_2)
	v_cmp_gt_f32_e32 vcc_lo, v3, v12
	v_cndmask_b32_e32 v14, v10, v26, vcc_lo
	v_cndmask_b32_e32 v10, v12, v3, vcc_lo
	s_delay_alu instid0(VALU_DEP_2) | instskip(NEXT) | instid1(VALU_DEP_2)
	v_mov_b32_dpp v27, v14 quad_perm:[1,0,3,2] row_mask:0xf bank_mask:0xf
	v_mov_b32_dpp v12, v10 quad_perm:[1,0,3,2] row_mask:0xf bank_mask:0xf
	s_delay_alu instid0(VALU_DEP_2) | instskip(NEXT) | instid1(VALU_DEP_2)
	v_cmp_lt_i32_e32 vcc_lo, v27, v14
	v_cmp_eq_f32_e64 s0, v10, v12
	v_cmp_lt_f32_e64 s1, v10, v12
	s_delay_alu instid0(VALU_DEP_2)
	s_and_b32 s0, s0, vcc_lo
	s_delay_alu instid0(VALU_DEP_1) | instid1(SALU_CYCLE_1)
	s_or_b32 vcc_lo, s1, s0
	v_cndmask_b32_e32 v27, v14, v27, vcc_lo
	s_and_saveexec_b32 s1, s2
	s_cbranch_execz .LBB48_16
; %bb.15:                               ;   in Loop: Header=BB48_14 Depth=1
	v_cndmask_b32_e32 v10, v10, v12, vcc_lo
	s_delay_alu instid0(VALU_DEP_2) | instskip(SKIP_4) | instid1(VALU_DEP_4)
	v_cmp_le_i32_e32 vcc_lo, s5, v27
	v_cmp_gt_i32_e64 s0, s6, v27
	v_ashrrev_i32_e32 v14, 31, v13
	v_subrev_nc_u32_e32 v35, s5, v27
	v_sub_f32_e32 v34, v10, v16
	s_and_b32 s0, vcc_lo, s0
	s_delay_alu instid0(SALU_CYCLE_1) | instskip(NEXT) | instid1(VALU_DEP_1)
	s_and_b32 vcc_lo, s17, s0
	v_mul_f32_e32 v10, 0x3fb8aa3b, v34
	s_delay_alu instid0(VALU_DEP_1) | instskip(SKIP_1) | instid1(VALU_DEP_2)
	v_fma_f32 v12, 0x3fb8aa3b, v34, -v10
	v_rndne_f32_e32 v28, v10
	v_fmac_f32_e32 v12, 0x32a5705f, v34
	s_delay_alu instid0(VALU_DEP_2) | instskip(SKIP_2) | instid1(VALU_DEP_3)
	v_sub_f32_e32 v10, v10, v28
	v_cvt_i32_f32_e32 v33, v28
	v_lshlrev_b64 v[28:29], 2, v[13:14]
	v_add_f32_e32 v10, v10, v12
	v_ashrrev_i32_e32 v12, 31, v11
	s_delay_alu instid0(VALU_DEP_2) | instskip(SKIP_1) | instid1(VALU_DEP_2)
	v_exp_f32_e32 v32, v10
	v_ashrrev_i32_e32 v10, 31, v9
	v_lshlrev_b64 v[30:31], 2, v[11:12]
	s_waitcnt_depctr 0xfff
	v_ldexp_f32 v12, v32, v33
	v_lshlrev_b64 v[32:33], 2, v[9:10]
	v_cndmask_b32_e32 v10, 16, v35, vcc_lo
	v_cmp_ngt_f32_e32 vcc_lo, 0xc2ce8ed0, v34
	s_delay_alu instid0(VALU_DEP_4) | instskip(SKIP_3) | instid1(VALU_DEP_4)
	v_cndmask_b32_e32 v12, 0, v12, vcc_lo
	v_add_co_u32 v28, vcc_lo, s12, v28
	v_add_co_ci_u32_e32 v29, vcc_lo, s13, v29, vcc_lo
	v_cmp_nlt_f32_e32 vcc_lo, 0x42b17218, v34
	v_cndmask_b32_e32 v12, 0x7f800000, v12, vcc_lo
	s_waitcnt lgkmcnt(0)
	v_add_co_u32 v30, vcc_lo, s8, v30
	v_add_co_ci_u32_e32 v31, vcc_lo, s9, v31, vcc_lo
	s_delay_alu instid0(VALU_DEP_3)
	v_add_f32_e32 v17, v17, v12
	v_add_co_u32 v32, vcc_lo, s10, v32
	v_add_co_ci_u32_e32 v33, vcc_lo, s11, v33, vcc_lo
	global_store_b32 v[28:29], v12, off
	global_store_b32 v[30:31], v10, off
	;; [unrolled: 1-line block ×3, first 2 shown]
.LBB48_16:                              ;   in Loop: Header=BB48_14 Depth=1
	s_or_b32 exec_lo, exec_lo, s1
	s_delay_alu instid0(VALU_DEP_1) | instskip(SKIP_1) | instid1(VALU_DEP_1)
	v_ashrrev_i32_e32 v12, 31, v27
	s_mov_b32 s0, exec_lo
	v_lshrrev_b32_e32 v10, 29, v12
	s_delay_alu instid0(VALU_DEP_1) | instskip(NEXT) | instid1(VALU_DEP_1)
	v_add_nc_u32_e32 v14, v27, v10
	v_ashrrev_i32_e32 v10, 3, v14
	v_lshrrev_b32_e32 v14, 31, v14
	s_delay_alu instid0(VALU_DEP_1) | instskip(NEXT) | instid1(VALU_DEP_1)
	v_add_nc_u32_e32 v14, v10, v14
	v_and_b32_e32 v14, -2, v14
	s_delay_alu instid0(VALU_DEP_1) | instskip(NEXT) | instid1(VALU_DEP_1)
	v_sub_nc_u32_e32 v14, v10, v14
	v_cmpx_eq_u32_e64 v15, v14
	s_cbranch_execz .LBB48_13
; %bb.17:                               ;   in Loop: Header=BB48_14 Depth=1
	v_lshrrev_b32_e32 v12, 28, v12
	v_lshlrev_b32_e32 v10, 3, v10
	s_delay_alu instid0(VALU_DEP_2) | instskip(NEXT) | instid1(VALU_DEP_2)
	v_add_nc_u32_e32 v12, v27, v12
	v_sub_nc_u32_e32 v10, v27, v10
	s_delay_alu instid0(VALU_DEP_2) | instskip(NEXT) | instid1(VALU_DEP_1)
	v_ashrrev_i32_e32 v12, 4, v12
	v_lshl_add_u32 v10, v12, 3, v10
	s_delay_alu instid0(VALU_DEP_1)
	v_cmp_ne_u32_e32 vcc_lo, 7, v10
	v_cndmask_b32_e32 v3, 0xff800000, v3, vcc_lo
	v_cmp_ne_u32_e32 vcc_lo, 6, v10
	v_cndmask_b32_e32 v2, 0xff800000, v2, vcc_lo
	;; [unrolled: 2-line block ×8, first 2 shown]
	s_branch .LBB48_13
.LBB48_18:
	v_mov_b32_e32 v17, 0
.LBB48_19:
	v_sub_f32_e32 v7, v7, v16
	v_sub_f32_e32 v5, v5, v16
	v_sub_f32_e32 v6, v6, v16
	v_sub_f32_e32 v4, v4, v16
	s_delay_alu instid0(VALU_DEP_4) | instskip(NEXT) | instid1(VALU_DEP_3)
	v_dual_sub_f32 v1, v1, v16 :: v_dual_mul_f32 v12, 0x3fb8aa3b, v7
	v_dual_mul_f32 v10, 0x3fb8aa3b, v5 :: v_dual_mul_f32 v11, 0x3fb8aa3b, v6
	s_delay_alu instid0(VALU_DEP_3) | instskip(SKIP_1) | instid1(VALU_DEP_4)
	v_cmp_ngt_f32_e32 vcc_lo, 0xc2ce8ed0, v4
	v_sub_f32_e32 v0, v0, v16
	v_fma_f32 v22, 0x3fb8aa3b, v7, -v12
	s_delay_alu instid0(VALU_DEP_4)
	v_rndne_f32_e32 v19, v10
	v_mul_f32_e32 v9, 0x3fb8aa3b, v4
	v_fma_f32 v18, 0x3fb8aa3b, v5, -v10
	v_rndne_f32_e32 v21, v11
	v_rndne_f32_e32 v23, v12
	v_sub_f32_e32 v10, v10, v19
	v_fma_f32 v13, 0x3fb8aa3b, v4, -v9
	v_rndne_f32_e32 v14, v9
	v_fmac_f32_e32 v18, 0x32a5705f, v5
	v_sub_f32_e32 v2, v2, v16
	s_delay_alu instid0(VALU_DEP_4) | instskip(NEXT) | instid1(VALU_DEP_4)
	v_fmac_f32_e32 v13, 0x32a5705f, v4
	v_sub_f32_e32 v9, v9, v14
	v_fma_f32 v20, 0x3fb8aa3b, v6, -v11
	v_dual_add_f32 v10, v10, v18 :: v_dual_sub_f32 v11, v11, v21
	s_delay_alu instid0(VALU_DEP_2) | instskip(NEXT) | instid1(VALU_DEP_2)
	v_dual_add_f32 v9, v9, v13 :: v_dual_fmac_f32 v20, 0x32a5705f, v6
	v_exp_f32_e32 v10, v10
	v_cvt_i32_f32_e32 v13, v14
	v_cvt_i32_f32_e32 v14, v19
	s_delay_alu instid0(VALU_DEP_3)
	v_exp_f32_e32 v9, v9
	v_dual_fmac_f32 v22, 0x32a5705f, v7 :: v_dual_add_f32 v11, v11, v20
	s_waitcnt_depctr 0xfff
	v_ldexp_f32 v10, v10, v14
	v_exp_f32_e32 v11, v11
	v_ldexp_f32 v9, v9, v13
	v_sub_f32_e32 v12, v12, v23
	v_cvt_i32_f32_e32 v13, v21
	s_delay_alu instid0(VALU_DEP_3)
	v_cndmask_b32_e32 v9, 0, v9, vcc_lo
	v_cmp_ngt_f32_e32 vcc_lo, 0xc2ce8ed0, v5
	s_waitcnt_depctr 0xfff
	v_ldexp_f32 v11, v11, v13
	v_cndmask_b32_e32 v10, 0, v10, vcc_lo
	v_cmp_nlt_f32_e32 vcc_lo, 0x42b17218, v4
	v_cndmask_b32_e32 v4, 0x7f800000, v9, vcc_lo
	v_cmp_nlt_f32_e32 vcc_lo, 0x42b17218, v5
	s_delay_alu instid0(VALU_DEP_4) | instskip(SKIP_3) | instid1(VALU_DEP_4)
	v_cndmask_b32_e32 v5, 0x7f800000, v10, vcc_lo
	v_cmp_ngt_f32_e32 vcc_lo, 0xc2ce8ed0, v6
	v_add_f32_e32 v12, v12, v22
	v_cvt_i32_f32_e32 v10, v23
	v_dual_add_f32 v4, v4, v5 :: v_dual_cndmask_b32 v9, 0, v11
	s_delay_alu instid0(VALU_DEP_3) | instskip(SKIP_2) | instid1(VALU_DEP_3)
	v_exp_f32_e32 v12, v12
	v_cmp_nlt_f32_e32 vcc_lo, 0x42b17218, v6
	v_dual_mul_f32 v6, 0x3fb8aa3b, v0 :: v_dual_mul_f32 v11, 0x3fb8aa3b, v2
	v_cndmask_b32_e32 v5, 0x7f800000, v9, vcc_lo
	v_cmp_ngt_f32_e32 vcc_lo, 0xc2ce8ed0, v7
	s_delay_alu instid0(VALU_DEP_3) | instskip(SKIP_4) | instid1(VALU_DEP_3)
	v_rndne_f32_e32 v13, v11
	s_waitcnt_depctr 0xfff
	v_ldexp_f32 v9, v12, v10
	v_add_f32_e32 v4, v4, v5
	v_fma_f32 v12, 0x3fb8aa3b, v2, -v11
	v_cndmask_b32_e32 v9, 0, v9, vcc_lo
	v_cmp_nlt_f32_e32 vcc_lo, 0x42b17218, v7
	s_delay_alu instid0(VALU_DEP_3) | instskip(NEXT) | instid1(VALU_DEP_3)
	v_fmac_f32_e32 v12, 0x32a5705f, v2
	v_cndmask_b32_e32 v7, 0x7f800000, v9, vcc_lo
	v_mul_f32_e32 v9, 0x3fb8aa3b, v1
	v_fma_f32 v5, 0x3fb8aa3b, v0, -v6
	v_rndne_f32_e32 v10, v6
	v_cmp_ngt_f32_e32 vcc_lo, 0xc2ce8ed0, v0
	v_add_f32_e32 v4, v4, v7
	v_rndne_f32_e32 v7, v9
	s_delay_alu instid0(VALU_DEP_4) | instskip(SKIP_1) | instid1(VALU_DEP_2)
	v_dual_fmac_f32 v5, 0x32a5705f, v0 :: v_dual_sub_f32 v6, v6, v10
	v_cvt_i32_f32_e32 v10, v10
	v_add_f32_e32 v5, v6, v5
	v_fma_f32 v6, 0x3fb8aa3b, v1, -v9
	v_sub_f32_e32 v3, v3, v16
	v_sub_f32_e32 v9, v9, v7
	v_cvt_i32_f32_e32 v7, v7
	v_exp_f32_e32 v5, v5
	v_fmac_f32_e32 v6, 0x32a5705f, v1
	v_mul_f32_e32 v14, 0x3fb8aa3b, v3
	s_delay_alu instid0(VALU_DEP_2) | instskip(NEXT) | instid1(VALU_DEP_2)
	v_dual_add_f32 v6, v9, v6 :: v_dual_sub_f32 v9, v11, v13
	v_fma_f32 v11, 0x3fb8aa3b, v3, -v14
	v_rndne_f32_e32 v16, v14
	s_waitcnt_depctr 0xfff
	v_ldexp_f32 v5, v5, v10
	v_fmac_f32_e32 v11, 0x32a5705f, v3
	v_exp_f32_e32 v6, v6
	s_delay_alu instid0(VALU_DEP_2) | instskip(SKIP_2) | instid1(VALU_DEP_3)
	v_dual_sub_f32 v10, v14, v16 :: v_dual_cndmask_b32 v5, 0, v5
	v_add_f32_e32 v9, v9, v12
	v_cmp_nlt_f32_e32 vcc_lo, 0x42b17218, v0
	v_add_f32_e32 v10, v10, v11
	s_delay_alu instid0(VALU_DEP_3) | instskip(SKIP_1) | instid1(TRANS32_DEP_2)
	v_exp_f32_e32 v9, v9
	v_cndmask_b32_e32 v0, 0x7f800000, v5, vcc_lo
	v_ldexp_f32 v6, v6, v7
	v_cmp_ngt_f32_e32 vcc_lo, 0xc2ce8ed0, v1
	v_cvt_i32_f32_e32 v5, v13
	v_exp_f32_e32 v7, v10
	s_delay_alu instid0(VALU_DEP_3) | instskip(SKIP_2) | instid1(TRANS32_DEP_2)
	v_cndmask_b32_e32 v6, 0, v6, vcc_lo
	v_cmp_nlt_f32_e32 vcc_lo, 0x42b17218, v1
	v_add_f32_e32 v0, v4, v0
	v_ldexp_f32 v4, v9, v5
	v_cvt_i32_f32_e32 v5, v16
	v_cndmask_b32_e32 v1, 0x7f800000, v6, vcc_lo
	v_cmp_ngt_f32_e32 vcc_lo, 0xc2ce8ed0, v2
	s_delay_alu instid0(TRANS32_DEP_1) | instid1(VALU_DEP_3)
	v_ldexp_f32 v5, v7, v5
	v_cndmask_b32_e32 v4, 0, v4, vcc_lo
	v_cmp_nlt_f32_e32 vcc_lo, 0x42b17218, v2
	s_delay_alu instid0(VALU_DEP_2) | instskip(SKIP_3) | instid1(VALU_DEP_2)
	v_dual_add_f32 v0, v0, v1 :: v_dual_cndmask_b32 v1, 0x7f800000, v4
	v_cmp_ngt_f32_e32 vcc_lo, 0xc2ce8ed0, v3
	v_cndmask_b32_e32 v2, 0, v5, vcc_lo
	v_cmp_nlt_f32_e32 vcc_lo, 0x42b17218, v3
	v_dual_add_f32 v0, v0, v1 :: v_dual_cndmask_b32 v1, 0x7f800000, v2
	v_cmp_eq_u32_e32 vcc_lo, 0, v15
	s_delay_alu instid0(VALU_DEP_2) | instskip(NEXT) | instid1(VALU_DEP_1)
	v_add_f32_e32 v0, v0, v1
	v_mov_b32_dpp v1, v0 quad_perm:[1,0,3,2] row_mask:0xf bank_mask:0xf
	s_and_b32 exec_lo, exec_lo, vcc_lo
	s_cbranch_execz .LBB48_24
; %bb.20:
	s_delay_alu instid0(VALU_DEP_1) | instskip(NEXT) | instid1(VALU_DEP_1)
	v_add_f32_e32 v0, v0, v1
	v_add_f32_e32 v0, v17, v0
	s_delay_alu instid0(VALU_DEP_1)
	v_cmp_neq_f32_e32 vcc_lo, 0, v0
	s_and_b32 exec_lo, exec_lo, vcc_lo
	s_cbranch_execz .LBB48_24
; %bb.21:
	s_and_not1_b32 vcc_lo, exec_lo, s7
	s_cbranch_vccnz .LBB48_24
; %bb.22:
	v_div_scale_f32 v1, null, v0, v0, 1.0
	v_div_scale_f32 v4, vcc_lo, 1.0, v0, 1.0
	v_ashrrev_i32_e32 v9, 31, v8
	s_delay_alu instid0(VALU_DEP_3) | instskip(SKIP_2) | instid1(VALU_DEP_1)
	v_rcp_f32_e32 v2, v1
	s_waitcnt_depctr 0xfff
	v_fma_f32 v3, -v1, v2, 1.0
	v_fmac_f32_e32 v2, v3, v2
	s_delay_alu instid0(VALU_DEP_1) | instskip(NEXT) | instid1(VALU_DEP_1)
	v_mul_f32_e32 v3, v4, v2
	v_fma_f32 v5, -v1, v3, v4
	s_delay_alu instid0(VALU_DEP_1) | instskip(NEXT) | instid1(VALU_DEP_1)
	v_fmac_f32_e32 v3, v5, v2
	v_fma_f32 v1, -v1, v3, v4
	s_delay_alu instid0(VALU_DEP_1) | instskip(SKIP_1) | instid1(VALU_DEP_2)
	v_div_fmas_f32 v1, v1, v2, v3
	v_lshlrev_b64 v[3:4], 2, v[8:9]
	v_div_fixup_f32 v2, v1, v0, 1.0
	s_delay_alu instid0(VALU_DEP_2) | instskip(NEXT) | instid1(VALU_DEP_3)
	v_add_co_u32 v0, vcc_lo, s12, v3
	v_add_co_ci_u32_e32 v1, vcc_lo, s13, v4, vcc_lo
.LBB48_23:                              ; =>This Inner Loop Header: Depth=1
	global_load_b32 v3, v[0:1], off
	s_add_i32 s4, s4, -1
	s_delay_alu instid0(SALU_CYCLE_1)
	s_cmp_lg_u32 s4, 0
	s_waitcnt vmcnt(0)
	v_mul_f32_e32 v3, v2, v3
	global_store_b32 v[0:1], v3, off
	v_add_co_u32 v0, vcc_lo, v0, 4
	v_add_co_ci_u32_e32 v1, vcc_lo, 0, v1, vcc_lo
	s_cbranch_scc1 .LBB48_23
.LBB48_24:
	s_nop 0
	s_sendmsg sendmsg(MSG_DEALLOC_VGPRS)
	s_endpgm
	.section	.rodata,"a",@progbits
	.p2align	6, 0x0
	.amdhsa_kernel _ZN4vllm3moe17topkGatingSoftmaxIfLi8ELi16ELi8ELi32ELb0ELi4ELNS0_23SharedExpertScoringFuncE1EEEvPKT_PKbPfiPiS9_iiiiii
		.amdhsa_group_segment_fixed_size 0
		.amdhsa_private_segment_fixed_size 0
		.amdhsa_kernarg_size 72
		.amdhsa_user_sgpr_count 15
		.amdhsa_user_sgpr_dispatch_ptr 0
		.amdhsa_user_sgpr_queue_ptr 0
		.amdhsa_user_sgpr_kernarg_segment_ptr 1
		.amdhsa_user_sgpr_dispatch_id 0
		.amdhsa_user_sgpr_private_segment_size 0
		.amdhsa_wavefront_size32 1
		.amdhsa_uses_dynamic_stack 0
		.amdhsa_enable_private_segment 0
		.amdhsa_system_sgpr_workgroup_id_x 1
		.amdhsa_system_sgpr_workgroup_id_y 0
		.amdhsa_system_sgpr_workgroup_id_z 0
		.amdhsa_system_sgpr_workgroup_info 0
		.amdhsa_system_vgpr_workitem_id 1
		.amdhsa_next_free_vgpr 37
		.amdhsa_next_free_sgpr 19
		.amdhsa_reserve_vcc 1
		.amdhsa_float_round_mode_32 0
		.amdhsa_float_round_mode_16_64 0
		.amdhsa_float_denorm_mode_32 3
		.amdhsa_float_denorm_mode_16_64 3
		.amdhsa_dx10_clamp 1
		.amdhsa_ieee_mode 1
		.amdhsa_fp16_overflow 0
		.amdhsa_workgroup_processor_mode 1
		.amdhsa_memory_ordered 1
		.amdhsa_forward_progress 0
		.amdhsa_shared_vgpr_count 0
		.amdhsa_exception_fp_ieee_invalid_op 0
		.amdhsa_exception_fp_denorm_src 0
		.amdhsa_exception_fp_ieee_div_zero 0
		.amdhsa_exception_fp_ieee_overflow 0
		.amdhsa_exception_fp_ieee_underflow 0
		.amdhsa_exception_fp_ieee_inexact 0
		.amdhsa_exception_int_div_zero 0
	.end_amdhsa_kernel
	.section	.text._ZN4vllm3moe17topkGatingSoftmaxIfLi8ELi16ELi8ELi32ELb0ELi4ELNS0_23SharedExpertScoringFuncE1EEEvPKT_PKbPfiPiS9_iiiiii,"axG",@progbits,_ZN4vllm3moe17topkGatingSoftmaxIfLi8ELi16ELi8ELi32ELb0ELi4ELNS0_23SharedExpertScoringFuncE1EEEvPKT_PKbPfiPiS9_iiiiii,comdat
.Lfunc_end48:
	.size	_ZN4vllm3moe17topkGatingSoftmaxIfLi8ELi16ELi8ELi32ELb0ELi4ELNS0_23SharedExpertScoringFuncE1EEEvPKT_PKbPfiPiS9_iiiiii, .Lfunc_end48-_ZN4vllm3moe17topkGatingSoftmaxIfLi8ELi16ELi8ELi32ELb0ELi4ELNS0_23SharedExpertScoringFuncE1EEEvPKT_PKbPfiPiS9_iiiiii
                                        ; -- End function
	.section	.AMDGPU.csdata,"",@progbits
; Kernel info:
; codeLenInByte = 3160
; NumSgprs: 21
; NumVgprs: 37
; ScratchSize: 0
; MemoryBound: 0
; FloatMode: 240
; IeeeMode: 1
; LDSByteSize: 0 bytes/workgroup (compile time only)
; SGPRBlocks: 2
; VGPRBlocks: 4
; NumSGPRsForWavesPerEU: 21
; NumVGPRsForWavesPerEU: 37
; Occupancy: 16
; WaveLimiterHint : 0
; COMPUTE_PGM_RSRC2:SCRATCH_EN: 0
; COMPUTE_PGM_RSRC2:USER_SGPR: 15
; COMPUTE_PGM_RSRC2:TRAP_HANDLER: 0
; COMPUTE_PGM_RSRC2:TGID_X_EN: 1
; COMPUTE_PGM_RSRC2:TGID_Y_EN: 0
; COMPUTE_PGM_RSRC2:TGID_Z_EN: 0
; COMPUTE_PGM_RSRC2:TIDIG_COMP_CNT: 1
	.section	.text._ZN4vllm3moe17topkGatingSoftmaxIfLi8ELi16ELi8ELi32ELb1ELi8ELNS0_23SharedExpertScoringFuncE1EEEvPKT_PKbPfiPiS9_iiiiii,"axG",@progbits,_ZN4vllm3moe17topkGatingSoftmaxIfLi8ELi16ELi8ELi32ELb1ELi8ELNS0_23SharedExpertScoringFuncE1EEEvPKT_PKbPfiPiS9_iiiiii,comdat
	.protected	_ZN4vllm3moe17topkGatingSoftmaxIfLi8ELi16ELi8ELi32ELb1ELi8ELNS0_23SharedExpertScoringFuncE1EEEvPKT_PKbPfiPiS9_iiiiii ; -- Begin function _ZN4vllm3moe17topkGatingSoftmaxIfLi8ELi16ELi8ELi32ELb1ELi8ELNS0_23SharedExpertScoringFuncE1EEEvPKT_PKbPfiPiS9_iiiiii
	.globl	_ZN4vllm3moe17topkGatingSoftmaxIfLi8ELi16ELi8ELi32ELb1ELi8ELNS0_23SharedExpertScoringFuncE1EEEvPKT_PKbPfiPiS9_iiiiii
	.p2align	8
	.type	_ZN4vllm3moe17topkGatingSoftmaxIfLi8ELi16ELi8ELi32ELb1ELi8ELNS0_23SharedExpertScoringFuncE1EEEvPKT_PKbPfiPiS9_iiiiii,@function
_ZN4vllm3moe17topkGatingSoftmaxIfLi8ELi16ELi8ELi32ELb1ELi8ELNS0_23SharedExpertScoringFuncE1EEEvPKT_PKbPfiPiS9_iiiiii: ; @_ZN4vllm3moe17topkGatingSoftmaxIfLi8ELi16ELi8ELi32ELb1ELi8ELNS0_23SharedExpertScoringFuncE1EEEvPKT_PKbPfiPiS9_iiiiii
; %bb.0:
	s_load_b32 s3, s[0:1], 0x18
	v_bfe_u32 v1, v0, 10, 10
	v_and_b32_e32 v0, 0x3ff, v0
	s_lshl_b32 s17, s15, 7
	s_mov_b32 s2, exec_lo
	s_delay_alu instid0(VALU_DEP_2) | instskip(NEXT) | instid1(VALU_DEP_2)
	v_lshlrev_b32_e32 v14, 4, v1
	v_lshrrev_b32_e32 v22, 1, v0
	s_delay_alu instid0(VALU_DEP_1) | instskip(SKIP_1) | instid1(VALU_DEP_1)
	v_add3_u32 v27, s17, v14, v22
	s_waitcnt lgkmcnt(0)
	v_cmpx_gt_i32_e64 s3, v27
	s_cbranch_execz .LBB49_23
; %bb.1:
	s_clause 0x1
	s_load_b128 s[8:11], s[0:1], 0x0
	s_load_b64 s[12:13], s[0:1], 0x10
	s_waitcnt lgkmcnt(0)
	s_cmp_eq_u64 s[10:11], 0
	s_cbranch_scc1 .LBB49_3
; %bb.2:
	v_ashrrev_i32_e32 v2, 31, v27
	v_add_co_u32 v1, vcc_lo, s10, v27
	s_delay_alu instid0(VALU_DEP_2) | instskip(SKIP_3) | instid1(VALU_DEP_1)
	v_add_co_ci_u32_e32 v2, vcc_lo, s11, v2, vcc_lo
	global_load_u8 v1, v[1:2], off
	s_waitcnt vmcnt(0)
	v_and_b32_e32 v1, 1, v1
	v_cmp_eq_u32_e32 vcc_lo, 1, v1
	s_xor_b32 s2, vcc_lo, -1
	s_delay_alu instid0(SALU_CYCLE_1)
	s_or_not1_b32 s16, s2, exec_lo
	s_branch .LBB49_4
.LBB49_3:
	s_mov_b32 s16, -1
.LBB49_4:
	s_clause 0x1
	s_load_b64 s[14:15], s[0:1], 0x40
	s_load_b128 s[4:7], s[0:1], 0x30
	v_and_b32_e32 v15, 1, v0
	s_delay_alu instid0(VALU_DEP_1)
	v_lshlrev_b32_e32 v0, 5, v15
	v_dual_mov_b32 v12, v15 :: v_dual_lshlrev_b32 v11, 2, v15
	v_lshlrev_b32_e32 v16, 3, v15
	s_waitcnt lgkmcnt(0)
	v_mul_lo_u32 v1, v27, s15
	v_mul_lo_u32 v8, v27, s7
	s_mov_b32 s7, 0
	s_delay_alu instid0(VALU_DEP_2) | instskip(NEXT) | instid1(VALU_DEP_1)
	v_ashrrev_i32_e32 v2, 31, v1
	v_lshlrev_b64 v[9:10], 2, v[1:2]
	s_delay_alu instid0(VALU_DEP_1) | instskip(NEXT) | instid1(VALU_DEP_2)
	v_add_co_u32 v1, vcc_lo, s8, v9
	v_add_co_ci_u32_e32 v2, vcc_lo, s9, v10, vcc_lo
	s_delay_alu instid0(VALU_DEP_2) | instskip(NEXT) | instid1(VALU_DEP_2)
	v_add_co_u32 v4, vcc_lo, v1, v0
	v_add_co_ci_u32_e32 v5, vcc_lo, 0, v2, vcc_lo
	v_add_co_u32 v9, vcc_lo, v9, v11
	v_add_co_ci_u32_e32 v10, vcc_lo, 0, v10, vcc_lo
	s_clause 0x1
	global_load_b128 v[0:3], v[4:5], off offset:16
	global_load_b128 v[4:7], v[4:5], off
	v_add_co_u32 v9, vcc_lo, v9, s8
	v_add_co_ci_u32_e32 v10, vcc_lo, s9, v10, vcc_lo
	v_add_nc_u32_e32 v11, s4, v8
	s_delay_alu instid0(VALU_DEP_3) | instskip(NEXT) | instid1(VALU_DEP_3)
	v_add_co_u32 v9, vcc_lo, v9, 64
	v_add_co_ci_u32_e32 v10, vcc_lo, 0, v10, vcc_lo
.LBB49_5:                               ; =>This Inner Loop Header: Depth=1
	global_load_b32 v13, v[9:10], off
	v_add_co_u32 v9, s2, v9, 8
	s_delay_alu instid0(VALU_DEP_1) | instskip(SKIP_2) | instid1(VALU_DEP_2)
	v_add_co_ci_u32_e64 v10, s2, 0, v10, s2
	v_cmp_lt_u32_e64 s2, 5, v12
	v_add_nc_u32_e32 v24, 2, v12
	s_or_b32 s7, s2, s7
	s_waitcnt vmcnt(0)
	v_mul_f32_e32 v17, 0xbfb8aa3b, v13
	v_cmp_nlt_f32_e32 vcc_lo, 0x42ce8ed0, v13
	s_delay_alu instid0(VALU_DEP_2) | instskip(SKIP_1) | instid1(VALU_DEP_2)
	v_rndne_f32_e32 v18, v17
	v_fma_f32 v19, 0xbfb8aa3b, v13, -v17
	v_sub_f32_e32 v17, v17, v18
	s_delay_alu instid0(VALU_DEP_2) | instskip(SKIP_1) | instid1(VALU_DEP_2)
	v_fmac_f32_e32 v19, 0xb2a5705f, v13
	v_cvt_i32_f32_e32 v18, v18
	v_add_f32_e32 v17, v17, v19
	s_delay_alu instid0(VALU_DEP_1) | instskip(SKIP_2) | instid1(VALU_DEP_1)
	v_exp_f32_e32 v17, v17
	s_waitcnt_depctr 0xfff
	v_ldexp_f32 v17, v17, v18
	v_cndmask_b32_e32 v17, 0, v17, vcc_lo
	v_cmp_ngt_f32_e32 vcc_lo, 0xc2b17218, v13
	s_delay_alu instid0(VALU_DEP_2) | instskip(NEXT) | instid1(VALU_DEP_1)
	v_cndmask_b32_e32 v13, 0x7f800000, v17, vcc_lo
	v_add_f32_e32 v19, 1.0, v13
	s_delay_alu instid0(VALU_DEP_1) | instskip(SKIP_1) | instid1(VALU_DEP_2)
	v_div_scale_f32 v13, null, v19, v19, 1.0
	v_div_scale_f32 v21, vcc_lo, 1.0, v19, 1.0
	v_rcp_f32_e32 v20, v13
	s_waitcnt_depctr 0xfff
	v_fma_f32 v17, -v13, v20, 1.0
	s_delay_alu instid0(VALU_DEP_1) | instskip(SKIP_1) | instid1(VALU_DEP_2)
	v_fmac_f32_e32 v20, v17, v20
	v_add_nc_u32_e32 v17, v11, v12
	v_mul_f32_e32 v23, v21, v20
	s_delay_alu instid0(VALU_DEP_1) | instskip(NEXT) | instid1(VALU_DEP_1)
	v_fma_f32 v18, -v13, v23, v21
	v_fmac_f32_e32 v23, v18, v20
	s_delay_alu instid0(VALU_DEP_4) | instskip(NEXT) | instid1(VALU_DEP_2)
	v_ashrrev_i32_e32 v18, 31, v17
	v_fma_f32 v21, -v13, v23, v21
	s_delay_alu instid0(VALU_DEP_2) | instskip(NEXT) | instid1(VALU_DEP_2)
	v_lshlrev_b64 v[12:13], 2, v[17:18]
	v_div_fmas_f32 v20, v21, v20, v23
	s_delay_alu instid0(VALU_DEP_2) | instskip(NEXT) | instid1(VALU_DEP_3)
	v_add_co_u32 v17, vcc_lo, s12, v12
	v_add_co_ci_u32_e32 v18, vcc_lo, s13, v13, vcc_lo
	s_delay_alu instid0(VALU_DEP_3)
	v_div_fixup_f32 v13, v20, v19, 1.0
	v_mov_b32_e32 v12, v24
	global_store_b32 v[17:18], v13, off
	s_and_not1_b32 exec_lo, exec_lo, s7
	s_cbranch_execnz .LBB49_5
; %bb.6:
	s_or_b32 exec_lo, exec_lo, s7
	v_cmp_lt_f32_e32 vcc_lo, v4, v5
	v_or_b32_e32 v17, 1, v16
	v_or_b32_e32 v18, 2, v16
	;; [unrolled: 1-line block ×4, first 2 shown]
	v_cndmask_b32_e32 v10, v4, v5, vcc_lo
	v_cndmask_b32_e32 v9, v16, v17, vcc_lo
	v_or_b32_e32 v21, 5, v16
	v_or_b32_e32 v23, 6, v16
	v_or_b32_e32 v24, 7, v16
	v_cmp_lt_f32_e32 vcc_lo, v10, v6
	s_cmp_gt_i32 s4, 0
	v_cmp_eq_u32_e64 s2, 0, v15
	s_cselect_b32 s7, -1, 0
	v_cndmask_b32_e32 v10, v10, v6, vcc_lo
	v_cndmask_b32_e32 v9, v9, v18, vcc_lo
	s_delay_alu instid0(VALU_DEP_2) | instskip(SKIP_1) | instid1(VALU_DEP_3)
	v_cmp_lt_f32_e32 vcc_lo, v10, v7
	v_cndmask_b32_e32 v10, v10, v7, vcc_lo
	v_cndmask_b32_e32 v9, v9, v19, vcc_lo
	s_delay_alu instid0(VALU_DEP_2) | instskip(SKIP_1) | instid1(VALU_DEP_3)
	v_cmp_lt_f32_e32 vcc_lo, v10, v0
	;; [unrolled: 4-line block ×3, first 2 shown]
	v_cndmask_b32_e32 v10, v10, v1, vcc_lo
	v_cndmask_b32_e32 v9, v9, v21, vcc_lo
	s_delay_alu instid0(VALU_DEP_2) | instskip(NEXT) | instid1(VALU_DEP_2)
	v_cmp_lt_f32_e32 vcc_lo, v10, v2
	v_dual_cndmask_b32 v10, v10, v2 :: v_dual_cndmask_b32 v9, v9, v23
	s_delay_alu instid0(VALU_DEP_1) | instskip(NEXT) | instid1(VALU_DEP_2)
	v_cmp_lt_f32_e32 vcc_lo, v10, v3
	v_cndmask_b32_e32 v9, v9, v24, vcc_lo
	v_cndmask_b32_e32 v11, v10, v3, vcc_lo
	s_and_b32 vcc_lo, exec_lo, s7
	s_delay_alu instid0(VALU_DEP_2) | instskip(NEXT) | instid1(VALU_DEP_2)
	v_mov_b32_dpp v13, v9 quad_perm:[1,0,3,2] row_mask:0xf bank_mask:0xf
	v_mov_b32_dpp v25, v11 quad_perm:[1,0,3,2] row_mask:0xf bank_mask:0xf
	s_cbranch_vccz .LBB49_18
; %bb.7:
	s_load_b128 s[8:11], s[0:1], 0x20
	s_delay_alu instid0(VALU_DEP_1)
	v_cmp_eq_f32_e32 vcc_lo, v11, v25
	v_cmp_lt_i32_e64 s0, v13, v9
	v_cmp_lt_f32_e64 s1, v11, v25
	v_mul_lo_u32 v10, v27, s14
	v_mul_lo_u32 v12, v27, s4
	v_mov_b32_e32 v26, 0
	s_and_b32 s0, vcc_lo, s0
	s_delay_alu instid0(SALU_CYCLE_1)
	s_or_b32 vcc_lo, s1, s0
	v_cndmask_b32_e32 v28, v9, v13, vcc_lo
	v_cndmask_b32_e32 v25, v11, v25, vcc_lo
	s_and_saveexec_b32 s1, s2
	s_cbranch_execz .LBB49_9
; %bb.8:
	s_delay_alu instid0(VALU_DEP_2) | instskip(SKIP_3) | instid1(VALU_DEP_3)
	v_cmp_le_i32_e32 vcc_lo, s5, v28
	v_cmp_gt_i32_e64 s0, s6, v28
	v_subrev_nc_u32_e32 v35, s5, v28
	v_ashrrev_i32_e32 v13, 31, v12
	s_and_b32 s0, vcc_lo, s0
	s_delay_alu instid0(SALU_CYCLE_1) | instskip(SKIP_1) | instid1(VALU_DEP_2)
	s_and_b32 vcc_lo, s16, s0
	v_sub_f32_e32 v26, v25, v25
	v_lshlrev_b64 v[33:34], 2, v[12:13]
	s_delay_alu instid0(VALU_DEP_2) | instskip(NEXT) | instid1(VALU_DEP_1)
	v_mul_f32_e32 v9, 0x3fb8aa3b, v26
	v_rndne_f32_e32 v31, v9
	v_fma_f32 v11, 0x3fb8aa3b, v26, -v9
	s_delay_alu instid0(VALU_DEP_2) | instskip(NEXT) | instid1(VALU_DEP_2)
	v_sub_f32_e32 v9, v9, v31
	v_fmamk_f32 v11, v26, 0x32a5705f, v11
	s_delay_alu instid0(VALU_DEP_1) | instskip(SKIP_1) | instid1(VALU_DEP_2)
	v_add_f32_e32 v11, v9, v11
	v_ashrrev_i32_e32 v9, 31, v8
	v_exp_f32_e32 v36, v11
	s_delay_alu instid0(VALU_DEP_1) | instskip(SKIP_2) | instid1(VALU_DEP_2)
	v_lshlrev_b64 v[29:30], 2, v[8:9]
	v_ashrrev_i32_e32 v11, 31, v10
	v_cvt_i32_f32_e32 v9, v31
	v_lshlrev_b64 v[31:32], 2, v[10:11]
	v_cndmask_b32_e32 v11, 16, v35, vcc_lo
	v_add_co_u32 v29, vcc_lo, s12, v29
	v_add_co_ci_u32_e32 v30, vcc_lo, s13, v30, vcc_lo
	s_delay_alu instid0(TRANS32_DEP_1) | instskip(SKIP_1) | instid1(VALU_DEP_2)
	v_ldexp_f32 v9, v36, v9
	v_cmp_ngt_f32_e32 vcc_lo, 0xc2ce8ed0, v26
	v_cndmask_b32_e32 v9, 0, v9, vcc_lo
	s_waitcnt lgkmcnt(0)
	v_add_co_u32 v31, vcc_lo, s8, v31
	v_add_co_ci_u32_e32 v32, vcc_lo, s9, v32, vcc_lo
	v_cmp_nlt_f32_e32 vcc_lo, 0x42b17218, v26
	v_cndmask_b32_e32 v26, 0x7f800000, v9, vcc_lo
	v_add_co_u32 v33, vcc_lo, s10, v33
	v_add_co_ci_u32_e32 v34, vcc_lo, s11, v34, vcc_lo
	global_store_b32 v[31:32], v11, off
	global_store_b32 v[29:30], v26, off
	;; [unrolled: 1-line block ×3, first 2 shown]
.LBB49_9:
	s_or_b32 exec_lo, exec_lo, s1
	v_ashrrev_i32_e32 v11, 31, v28
	s_mov_b32 s0, exec_lo
	s_delay_alu instid0(VALU_DEP_1) | instskip(NEXT) | instid1(VALU_DEP_1)
	v_lshrrev_b32_e32 v9, 29, v11
	v_add_nc_u32_e32 v13, v28, v9
	s_delay_alu instid0(VALU_DEP_1) | instskip(SKIP_1) | instid1(VALU_DEP_1)
	v_ashrrev_i32_e32 v9, 3, v13
	v_lshrrev_b32_e32 v13, 31, v13
	v_add_nc_u32_e32 v13, v9, v13
	s_delay_alu instid0(VALU_DEP_1) | instskip(NEXT) | instid1(VALU_DEP_1)
	v_and_b32_e32 v13, -2, v13
	v_sub_nc_u32_e32 v13, v9, v13
	s_delay_alu instid0(VALU_DEP_1)
	v_cmpx_eq_u32_e64 v15, v13
	s_cbranch_execz .LBB49_11
; %bb.10:
	v_lshrrev_b32_e32 v11, 28, v11
	v_lshlrev_b32_e32 v9, 3, v9
	s_delay_alu instid0(VALU_DEP_2) | instskip(NEXT) | instid1(VALU_DEP_2)
	v_add_nc_u32_e32 v11, v28, v11
	v_sub_nc_u32_e32 v9, v28, v9
	s_delay_alu instid0(VALU_DEP_2) | instskip(NEXT) | instid1(VALU_DEP_1)
	v_ashrrev_i32_e32 v11, 4, v11
	v_lshl_add_u32 v9, v11, 3, v9
	s_delay_alu instid0(VALU_DEP_1)
	v_cmp_ne_u32_e32 vcc_lo, 7, v9
	v_cndmask_b32_e32 v3, 0xff800000, v3, vcc_lo
	v_cmp_ne_u32_e32 vcc_lo, 6, v9
	v_cndmask_b32_e32 v2, 0xff800000, v2, vcc_lo
	;; [unrolled: 2-line block ×8, first 2 shown]
.LBB49_11:
	s_or_b32 exec_lo, exec_lo, s0
	s_cmp_eq_u32 s4, 1
	s_cbranch_scc1 .LBB49_19
; %bb.12:
	s_add_i32 s17, s17, s3
	v_add_nc_u32_e32 v9, 1, v12
	v_add3_u32 v22, s17, v22, v14
	v_add_nc_u32_e32 v11, 1, v10
	v_add_nc_u32_e32 v13, 1, v8
	s_add_i32 s14, s4, -1
	s_branch .LBB49_14
.LBB49_13:                              ;   in Loop: Header=BB49_14 Depth=1
	s_or_b32 exec_lo, exec_lo, s0
	v_add_nc_u32_e32 v22, s3, v22
	v_add_nc_u32_e32 v9, 1, v9
	;; [unrolled: 1-line block ×4, first 2 shown]
	s_add_i32 s14, s14, -1
	s_delay_alu instid0(SALU_CYCLE_1)
	s_cmp_eq_u32 s14, 0
	s_cbranch_scc1 .LBB49_19
.LBB49_14:                              ; =>This Inner Loop Header: Depth=1
	v_cmp_gt_f32_e32 vcc_lo, v5, v4
	v_cndmask_b32_e32 v12, v4, v5, vcc_lo
	v_cndmask_b32_e32 v10, v16, v17, vcc_lo
	s_delay_alu instid0(VALU_DEP_2) | instskip(SKIP_1) | instid1(VALU_DEP_3)
	v_cmp_gt_f32_e32 vcc_lo, v6, v12
	v_cndmask_b32_e32 v12, v12, v6, vcc_lo
	v_cndmask_b32_e32 v10, v10, v18, vcc_lo
	s_delay_alu instid0(VALU_DEP_2) | instskip(SKIP_1) | instid1(VALU_DEP_3)
	;; [unrolled: 4-line block ×5, first 2 shown]
	v_cmp_gt_f32_e32 vcc_lo, v2, v12
	v_cndmask_b32_e32 v12, v12, v2, vcc_lo
	v_cndmask_b32_e32 v10, v10, v23, vcc_lo
	s_delay_alu instid0(VALU_DEP_2) | instskip(NEXT) | instid1(VALU_DEP_2)
	v_cmp_gt_f32_e32 vcc_lo, v3, v12
	v_cndmask_b32_e32 v14, v10, v24, vcc_lo
	v_cndmask_b32_e32 v10, v12, v3, vcc_lo
	s_delay_alu instid0(VALU_DEP_2) | instskip(NEXT) | instid1(VALU_DEP_2)
	v_mov_b32_dpp v27, v14 quad_perm:[1,0,3,2] row_mask:0xf bank_mask:0xf
	v_mov_b32_dpp v12, v10 quad_perm:[1,0,3,2] row_mask:0xf bank_mask:0xf
	s_delay_alu instid0(VALU_DEP_2) | instskip(NEXT) | instid1(VALU_DEP_2)
	v_cmp_lt_i32_e32 vcc_lo, v27, v14
	v_cmp_eq_f32_e64 s0, v10, v12
	v_cmp_lt_f32_e64 s1, v10, v12
	s_delay_alu instid0(VALU_DEP_2)
	s_and_b32 s0, s0, vcc_lo
	s_delay_alu instid0(VALU_DEP_1) | instid1(SALU_CYCLE_1)
	s_or_b32 vcc_lo, s1, s0
	v_cndmask_b32_e32 v27, v14, v27, vcc_lo
	s_and_saveexec_b32 s1, s2
	s_cbranch_execz .LBB49_16
; %bb.15:                               ;   in Loop: Header=BB49_14 Depth=1
	v_cndmask_b32_e32 v10, v10, v12, vcc_lo
	s_delay_alu instid0(VALU_DEP_2) | instskip(SKIP_4) | instid1(VALU_DEP_4)
	v_cmp_le_i32_e32 vcc_lo, s5, v27
	v_cmp_gt_i32_e64 s0, s6, v27
	v_ashrrev_i32_e32 v14, 31, v13
	v_subrev_nc_u32_e32 v35, s5, v27
	v_sub_f32_e32 v34, v10, v25
	s_and_b32 s0, vcc_lo, s0
	s_delay_alu instid0(SALU_CYCLE_1) | instskip(NEXT) | instid1(VALU_DEP_1)
	s_and_b32 vcc_lo, s16, s0
	v_mul_f32_e32 v10, 0x3fb8aa3b, v34
	s_delay_alu instid0(VALU_DEP_1) | instskip(SKIP_1) | instid1(VALU_DEP_2)
	v_fma_f32 v12, 0x3fb8aa3b, v34, -v10
	v_rndne_f32_e32 v28, v10
	v_fmac_f32_e32 v12, 0x32a5705f, v34
	s_delay_alu instid0(VALU_DEP_2) | instskip(SKIP_2) | instid1(VALU_DEP_3)
	v_sub_f32_e32 v10, v10, v28
	v_cvt_i32_f32_e32 v33, v28
	v_lshlrev_b64 v[28:29], 2, v[13:14]
	v_add_f32_e32 v10, v10, v12
	v_ashrrev_i32_e32 v12, 31, v11
	s_delay_alu instid0(VALU_DEP_2) | instskip(SKIP_1) | instid1(VALU_DEP_2)
	v_exp_f32_e32 v32, v10
	v_ashrrev_i32_e32 v10, 31, v9
	v_lshlrev_b64 v[30:31], 2, v[11:12]
	s_waitcnt_depctr 0xfff
	v_ldexp_f32 v12, v32, v33
	v_lshlrev_b64 v[32:33], 2, v[9:10]
	v_cndmask_b32_e32 v10, 16, v35, vcc_lo
	v_cmp_ngt_f32_e32 vcc_lo, 0xc2ce8ed0, v34
	s_delay_alu instid0(VALU_DEP_4) | instskip(SKIP_3) | instid1(VALU_DEP_4)
	v_cndmask_b32_e32 v12, 0, v12, vcc_lo
	v_add_co_u32 v28, vcc_lo, s12, v28
	v_add_co_ci_u32_e32 v29, vcc_lo, s13, v29, vcc_lo
	v_cmp_nlt_f32_e32 vcc_lo, 0x42b17218, v34
	v_cndmask_b32_e32 v12, 0x7f800000, v12, vcc_lo
	s_waitcnt lgkmcnt(0)
	v_add_co_u32 v30, vcc_lo, s8, v30
	v_add_co_ci_u32_e32 v31, vcc_lo, s9, v31, vcc_lo
	v_add_co_u32 v32, vcc_lo, s10, v32
	v_add_f32_e32 v26, v26, v12
	v_add_co_ci_u32_e32 v33, vcc_lo, s11, v33, vcc_lo
	global_store_b32 v[28:29], v12, off
	global_store_b32 v[30:31], v10, off
	global_store_b32 v[32:33], v22, off
.LBB49_16:                              ;   in Loop: Header=BB49_14 Depth=1
	s_or_b32 exec_lo, exec_lo, s1
	s_delay_alu instid0(VALU_DEP_1) | instskip(SKIP_1) | instid1(VALU_DEP_1)
	v_ashrrev_i32_e32 v12, 31, v27
	s_mov_b32 s0, exec_lo
	v_lshrrev_b32_e32 v10, 29, v12
	s_delay_alu instid0(VALU_DEP_1) | instskip(NEXT) | instid1(VALU_DEP_1)
	v_add_nc_u32_e32 v14, v27, v10
	v_ashrrev_i32_e32 v10, 3, v14
	v_lshrrev_b32_e32 v14, 31, v14
	s_delay_alu instid0(VALU_DEP_1) | instskip(NEXT) | instid1(VALU_DEP_1)
	v_add_nc_u32_e32 v14, v10, v14
	v_and_b32_e32 v14, -2, v14
	s_delay_alu instid0(VALU_DEP_1) | instskip(NEXT) | instid1(VALU_DEP_1)
	v_sub_nc_u32_e32 v14, v10, v14
	v_cmpx_eq_u32_e64 v15, v14
	s_cbranch_execz .LBB49_13
; %bb.17:                               ;   in Loop: Header=BB49_14 Depth=1
	v_lshrrev_b32_e32 v12, 28, v12
	v_lshlrev_b32_e32 v10, 3, v10
	s_delay_alu instid0(VALU_DEP_2) | instskip(NEXT) | instid1(VALU_DEP_2)
	v_add_nc_u32_e32 v12, v27, v12
	v_sub_nc_u32_e32 v10, v27, v10
	s_delay_alu instid0(VALU_DEP_2) | instskip(NEXT) | instid1(VALU_DEP_1)
	v_ashrrev_i32_e32 v12, 4, v12
	v_lshl_add_u32 v10, v12, 3, v10
	s_delay_alu instid0(VALU_DEP_1)
	v_cmp_ne_u32_e32 vcc_lo, 7, v10
	v_cndmask_b32_e32 v3, 0xff800000, v3, vcc_lo
	v_cmp_ne_u32_e32 vcc_lo, 6, v10
	v_cndmask_b32_e32 v2, 0xff800000, v2, vcc_lo
	v_cmp_ne_u32_e32 vcc_lo, 5, v10
	v_cndmask_b32_e32 v1, 0xff800000, v1, vcc_lo
	v_cmp_ne_u32_e32 vcc_lo, 4, v10
	v_cndmask_b32_e32 v0, 0xff800000, v0, vcc_lo
	v_cmp_ne_u32_e32 vcc_lo, 3, v10
	v_cndmask_b32_e32 v7, 0xff800000, v7, vcc_lo
	v_cmp_ne_u32_e32 vcc_lo, 2, v10
	v_cndmask_b32_e32 v6, 0xff800000, v6, vcc_lo
	v_cmp_ne_u32_e32 vcc_lo, 1, v10
	v_cndmask_b32_e32 v5, 0xff800000, v5, vcc_lo
	v_cmp_ne_u32_e32 vcc_lo, 0, v10
	v_cndmask_b32_e32 v4, 0xff800000, v4, vcc_lo
	s_branch .LBB49_13
.LBB49_18:
	v_mov_b32_e32 v26, 0
.LBB49_19:
	v_cmp_eq_u32_e32 vcc_lo, 0, v15
	s_delay_alu instid0(VALU_DEP_2) | instskip(NEXT) | instid1(VALU_DEP_1)
	v_cmp_neq_f32_e64 s0, 0, v26
	s_and_b32 s0, vcc_lo, s0
	s_delay_alu instid0(SALU_CYCLE_1)
	s_and_b32 exec_lo, exec_lo, s0
	s_cbranch_execz .LBB49_23
; %bb.20:
	s_and_not1_b32 vcc_lo, exec_lo, s7
	s_cbranch_vccnz .LBB49_23
; %bb.21:
	v_div_scale_f32 v0, null, v26, v26, 1.0
	v_div_scale_f32 v3, vcc_lo, 1.0, v26, 1.0
	v_ashrrev_i32_e32 v9, 31, v8
	s_delay_alu instid0(VALU_DEP_3) | instskip(SKIP_2) | instid1(VALU_DEP_1)
	v_rcp_f32_e32 v1, v0
	s_waitcnt_depctr 0xfff
	v_fma_f32 v2, -v0, v1, 1.0
	v_fmac_f32_e32 v1, v2, v1
	s_delay_alu instid0(VALU_DEP_1) | instskip(NEXT) | instid1(VALU_DEP_1)
	v_mul_f32_e32 v2, v3, v1
	v_fma_f32 v4, -v0, v2, v3
	s_delay_alu instid0(VALU_DEP_1) | instskip(NEXT) | instid1(VALU_DEP_1)
	v_fmac_f32_e32 v2, v4, v1
	v_fma_f32 v0, -v0, v2, v3
	s_delay_alu instid0(VALU_DEP_1) | instskip(SKIP_1) | instid1(VALU_DEP_2)
	v_div_fmas_f32 v2, v0, v1, v2
	v_lshlrev_b64 v[0:1], 2, v[8:9]
	v_div_fixup_f32 v2, v2, v26, 1.0
	s_delay_alu instid0(VALU_DEP_2) | instskip(NEXT) | instid1(VALU_DEP_3)
	v_add_co_u32 v0, vcc_lo, s12, v0
	v_add_co_ci_u32_e32 v1, vcc_lo, s13, v1, vcc_lo
.LBB49_22:                              ; =>This Inner Loop Header: Depth=1
	global_load_b32 v3, v[0:1], off
	s_add_i32 s4, s4, -1
	s_delay_alu instid0(SALU_CYCLE_1)
	s_cmp_lg_u32 s4, 0
	s_waitcnt vmcnt(0)
	v_mul_f32_e32 v3, v2, v3
	global_store_b32 v[0:1], v3, off
	v_add_co_u32 v0, vcc_lo, v0, 4
	v_add_co_ci_u32_e32 v1, vcc_lo, 0, v1, vcc_lo
	s_cbranch_scc1 .LBB49_22
.LBB49_23:
	s_nop 0
	s_sendmsg sendmsg(MSG_DEALLOC_VGPRS)
	s_endpgm
	.section	.rodata,"a",@progbits
	.p2align	6, 0x0
	.amdhsa_kernel _ZN4vllm3moe17topkGatingSoftmaxIfLi8ELi16ELi8ELi32ELb1ELi8ELNS0_23SharedExpertScoringFuncE1EEEvPKT_PKbPfiPiS9_iiiiii
		.amdhsa_group_segment_fixed_size 0
		.amdhsa_private_segment_fixed_size 0
		.amdhsa_kernarg_size 72
		.amdhsa_user_sgpr_count 15
		.amdhsa_user_sgpr_dispatch_ptr 0
		.amdhsa_user_sgpr_queue_ptr 0
		.amdhsa_user_sgpr_kernarg_segment_ptr 1
		.amdhsa_user_sgpr_dispatch_id 0
		.amdhsa_user_sgpr_private_segment_size 0
		.amdhsa_wavefront_size32 1
		.amdhsa_uses_dynamic_stack 0
		.amdhsa_enable_private_segment 0
		.amdhsa_system_sgpr_workgroup_id_x 1
		.amdhsa_system_sgpr_workgroup_id_y 0
		.amdhsa_system_sgpr_workgroup_id_z 0
		.amdhsa_system_sgpr_workgroup_info 0
		.amdhsa_system_vgpr_workitem_id 1
		.amdhsa_next_free_vgpr 37
		.amdhsa_next_free_sgpr 18
		.amdhsa_reserve_vcc 1
		.amdhsa_float_round_mode_32 0
		.amdhsa_float_round_mode_16_64 0
		.amdhsa_float_denorm_mode_32 3
		.amdhsa_float_denorm_mode_16_64 3
		.amdhsa_dx10_clamp 1
		.amdhsa_ieee_mode 1
		.amdhsa_fp16_overflow 0
		.amdhsa_workgroup_processor_mode 1
		.amdhsa_memory_ordered 1
		.amdhsa_forward_progress 0
		.amdhsa_shared_vgpr_count 0
		.amdhsa_exception_fp_ieee_invalid_op 0
		.amdhsa_exception_fp_denorm_src 0
		.amdhsa_exception_fp_ieee_div_zero 0
		.amdhsa_exception_fp_ieee_overflow 0
		.amdhsa_exception_fp_ieee_underflow 0
		.amdhsa_exception_fp_ieee_inexact 0
		.amdhsa_exception_int_div_zero 0
	.end_amdhsa_kernel
	.section	.text._ZN4vllm3moe17topkGatingSoftmaxIfLi8ELi16ELi8ELi32ELb1ELi8ELNS0_23SharedExpertScoringFuncE1EEEvPKT_PKbPfiPiS9_iiiiii,"axG",@progbits,_ZN4vllm3moe17topkGatingSoftmaxIfLi8ELi16ELi8ELi32ELb1ELi8ELNS0_23SharedExpertScoringFuncE1EEEvPKT_PKbPfiPiS9_iiiiii,comdat
.Lfunc_end49:
	.size	_ZN4vllm3moe17topkGatingSoftmaxIfLi8ELi16ELi8ELi32ELb1ELi8ELNS0_23SharedExpertScoringFuncE1EEEvPKT_PKbPfiPiS9_iiiiii, .Lfunc_end49-_ZN4vllm3moe17topkGatingSoftmaxIfLi8ELi16ELi8ELi32ELb1ELi8ELNS0_23SharedExpertScoringFuncE1EEEvPKT_PKbPfiPiS9_iiiiii
                                        ; -- End function
	.section	.AMDGPU.csdata,"",@progbits
; Kernel info:
; codeLenInByte = 2308
; NumSgprs: 20
; NumVgprs: 37
; ScratchSize: 0
; MemoryBound: 0
; FloatMode: 240
; IeeeMode: 1
; LDSByteSize: 0 bytes/workgroup (compile time only)
; SGPRBlocks: 2
; VGPRBlocks: 4
; NumSGPRsForWavesPerEU: 20
; NumVGPRsForWavesPerEU: 37
; Occupancy: 16
; WaveLimiterHint : 0
; COMPUTE_PGM_RSRC2:SCRATCH_EN: 0
; COMPUTE_PGM_RSRC2:USER_SGPR: 15
; COMPUTE_PGM_RSRC2:TRAP_HANDLER: 0
; COMPUTE_PGM_RSRC2:TGID_X_EN: 1
; COMPUTE_PGM_RSRC2:TGID_Y_EN: 0
; COMPUTE_PGM_RSRC2:TGID_Z_EN: 0
; COMPUTE_PGM_RSRC2:TIDIG_COMP_CNT: 1
	.section	.text._ZN4vllm3moe17topkGatingSoftmaxIfLi8ELi16ELi8ELi32ELb0ELi8ELNS0_23SharedExpertScoringFuncE1EEEvPKT_PKbPfiPiS9_iiiiii,"axG",@progbits,_ZN4vllm3moe17topkGatingSoftmaxIfLi8ELi16ELi8ELi32ELb0ELi8ELNS0_23SharedExpertScoringFuncE1EEEvPKT_PKbPfiPiS9_iiiiii,comdat
	.protected	_ZN4vllm3moe17topkGatingSoftmaxIfLi8ELi16ELi8ELi32ELb0ELi8ELNS0_23SharedExpertScoringFuncE1EEEvPKT_PKbPfiPiS9_iiiiii ; -- Begin function _ZN4vllm3moe17topkGatingSoftmaxIfLi8ELi16ELi8ELi32ELb0ELi8ELNS0_23SharedExpertScoringFuncE1EEEvPKT_PKbPfiPiS9_iiiiii
	.globl	_ZN4vllm3moe17topkGatingSoftmaxIfLi8ELi16ELi8ELi32ELb0ELi8ELNS0_23SharedExpertScoringFuncE1EEEvPKT_PKbPfiPiS9_iiiiii
	.p2align	8
	.type	_ZN4vllm3moe17topkGatingSoftmaxIfLi8ELi16ELi8ELi32ELb0ELi8ELNS0_23SharedExpertScoringFuncE1EEEvPKT_PKbPfiPiS9_iiiiii,@function
_ZN4vllm3moe17topkGatingSoftmaxIfLi8ELi16ELi8ELi32ELb0ELi8ELNS0_23SharedExpertScoringFuncE1EEEvPKT_PKbPfiPiS9_iiiiii: ; @_ZN4vllm3moe17topkGatingSoftmaxIfLi8ELi16ELi8ELi32ELb0ELi8ELNS0_23SharedExpertScoringFuncE1EEEvPKT_PKbPfiPiS9_iiiiii
; %bb.0:
	s_load_b32 s16, s[0:1], 0x18
	v_bfe_u32 v1, v0, 10, 10
	v_and_b32_e32 v0, 0x3ff, v0
	s_lshl_b32 s18, s15, 7
	s_mov_b32 s2, exec_lo
	s_delay_alu instid0(VALU_DEP_2) | instskip(NEXT) | instid1(VALU_DEP_2)
	v_lshlrev_b32_e32 v14, 4, v1
	v_lshrrev_b32_e32 v24, 1, v0
	s_delay_alu instid0(VALU_DEP_1) | instskip(SKIP_1) | instid1(VALU_DEP_1)
	v_add3_u32 v27, s18, v14, v24
	s_waitcnt lgkmcnt(0)
	v_cmpx_gt_i32_e64 s16, v27
	s_cbranch_execz .LBB50_24
; %bb.1:
	s_clause 0x1
	s_load_b128 s[8:11], s[0:1], 0x0
	s_load_b64 s[12:13], s[0:1], 0x10
	s_waitcnt lgkmcnt(0)
	s_cmp_eq_u64 s[10:11], 0
	s_cbranch_scc1 .LBB50_3
; %bb.2:
	v_ashrrev_i32_e32 v2, 31, v27
	v_add_co_u32 v1, vcc_lo, s10, v27
	s_delay_alu instid0(VALU_DEP_2) | instskip(SKIP_3) | instid1(VALU_DEP_1)
	v_add_co_ci_u32_e32 v2, vcc_lo, s11, v2, vcc_lo
	global_load_u8 v1, v[1:2], off
	s_waitcnt vmcnt(0)
	v_and_b32_e32 v1, 1, v1
	v_cmp_eq_u32_e32 vcc_lo, 1, v1
	s_xor_b32 s2, vcc_lo, -1
	s_delay_alu instid0(SALU_CYCLE_1)
	s_or_not1_b32 s17, s2, exec_lo
	s_branch .LBB50_4
.LBB50_3:
	s_mov_b32 s17, -1
.LBB50_4:
	s_clause 0x1
	s_load_b64 s[14:15], s[0:1], 0x40
	s_load_b128 s[4:7], s[0:1], 0x30
	v_and_b32_e32 v15, 1, v0
	s_mov_b32 s3, 0
	s_delay_alu instid0(VALU_DEP_1)
	v_lshlrev_b32_e32 v0, 5, v15
	v_dual_mov_b32 v12, v15 :: v_dual_lshlrev_b32 v11, 2, v15
	v_lshlrev_b32_e32 v18, 3, v15
	s_waitcnt lgkmcnt(0)
	v_mul_lo_u32 v1, v27, s15
	v_mul_lo_u32 v8, v27, s7
	s_delay_alu instid0(VALU_DEP_2) | instskip(NEXT) | instid1(VALU_DEP_1)
	v_ashrrev_i32_e32 v2, 31, v1
	v_lshlrev_b64 v[9:10], 2, v[1:2]
	s_delay_alu instid0(VALU_DEP_1) | instskip(NEXT) | instid1(VALU_DEP_2)
	v_add_co_u32 v1, vcc_lo, s8, v9
	v_add_co_ci_u32_e32 v2, vcc_lo, s9, v10, vcc_lo
	s_delay_alu instid0(VALU_DEP_2) | instskip(NEXT) | instid1(VALU_DEP_2)
	v_add_co_u32 v4, vcc_lo, v1, v0
	v_add_co_ci_u32_e32 v5, vcc_lo, 0, v2, vcc_lo
	v_add_co_u32 v9, vcc_lo, v9, v11
	v_add_co_ci_u32_e32 v10, vcc_lo, 0, v10, vcc_lo
	s_clause 0x1
	global_load_b128 v[0:3], v[4:5], off offset:16
	global_load_b128 v[4:7], v[4:5], off
	v_add_co_u32 v9, vcc_lo, v9, s8
	v_add_co_ci_u32_e32 v10, vcc_lo, s9, v10, vcc_lo
	v_add_nc_u32_e32 v11, s4, v8
	s_delay_alu instid0(VALU_DEP_3) | instskip(NEXT) | instid1(VALU_DEP_3)
	v_add_co_u32 v9, vcc_lo, v9, 64
	v_add_co_ci_u32_e32 v10, vcc_lo, 0, v10, vcc_lo
.LBB50_5:                               ; =>This Inner Loop Header: Depth=1
	global_load_b32 v13, v[9:10], off
	v_add_co_u32 v9, s2, v9, 8
	s_delay_alu instid0(VALU_DEP_1) | instskip(SKIP_2) | instid1(VALU_DEP_2)
	v_add_co_ci_u32_e64 v10, s2, 0, v10, s2
	v_cmp_lt_u32_e64 s2, 5, v12
	v_add_nc_u32_e32 v23, 2, v12
	s_or_b32 s3, s2, s3
	s_waitcnt vmcnt(0)
	v_mul_f32_e32 v16, 0xbfb8aa3b, v13
	v_cmp_nlt_f32_e32 vcc_lo, 0x42ce8ed0, v13
	s_delay_alu instid0(VALU_DEP_2) | instskip(SKIP_1) | instid1(VALU_DEP_2)
	v_rndne_f32_e32 v17, v16
	v_fma_f32 v19, 0xbfb8aa3b, v13, -v16
	v_sub_f32_e32 v16, v16, v17
	s_delay_alu instid0(VALU_DEP_2) | instskip(SKIP_1) | instid1(VALU_DEP_2)
	v_fmac_f32_e32 v19, 0xb2a5705f, v13
	v_cvt_i32_f32_e32 v17, v17
	v_add_f32_e32 v16, v16, v19
	s_delay_alu instid0(VALU_DEP_1) | instskip(SKIP_2) | instid1(VALU_DEP_1)
	v_exp_f32_e32 v16, v16
	s_waitcnt_depctr 0xfff
	v_ldexp_f32 v16, v16, v17
	v_cndmask_b32_e32 v16, 0, v16, vcc_lo
	v_cmp_ngt_f32_e32 vcc_lo, 0xc2b17218, v13
	s_delay_alu instid0(VALU_DEP_2) | instskip(NEXT) | instid1(VALU_DEP_1)
	v_cndmask_b32_e32 v13, 0x7f800000, v16, vcc_lo
	v_add_f32_e32 v19, 1.0, v13
	s_delay_alu instid0(VALU_DEP_1) | instskip(SKIP_1) | instid1(VALU_DEP_2)
	v_div_scale_f32 v13, null, v19, v19, 1.0
	v_div_scale_f32 v21, vcc_lo, 1.0, v19, 1.0
	v_rcp_f32_e32 v20, v13
	s_waitcnt_depctr 0xfff
	v_fma_f32 v16, -v13, v20, 1.0
	s_delay_alu instid0(VALU_DEP_1) | instskip(SKIP_1) | instid1(VALU_DEP_2)
	v_fmac_f32_e32 v20, v16, v20
	v_add_nc_u32_e32 v16, v11, v12
	v_mul_f32_e32 v22, v21, v20
	s_delay_alu instid0(VALU_DEP_1) | instskip(NEXT) | instid1(VALU_DEP_1)
	v_fma_f32 v17, -v13, v22, v21
	v_fmac_f32_e32 v22, v17, v20
	s_delay_alu instid0(VALU_DEP_4) | instskip(NEXT) | instid1(VALU_DEP_2)
	v_ashrrev_i32_e32 v17, 31, v16
	v_fma_f32 v21, -v13, v22, v21
	s_delay_alu instid0(VALU_DEP_2) | instskip(NEXT) | instid1(VALU_DEP_2)
	v_lshlrev_b64 v[12:13], 2, v[16:17]
	v_div_fmas_f32 v20, v21, v20, v22
	s_delay_alu instid0(VALU_DEP_2) | instskip(SKIP_1) | instid1(VALU_DEP_4)
	v_add_co_u32 v16, vcc_lo, s12, v12
	v_mov_b32_e32 v12, v23
	v_add_co_ci_u32_e32 v17, vcc_lo, s13, v13, vcc_lo
	s_delay_alu instid0(VALU_DEP_4)
	v_div_fixup_f32 v13, v20, v19, 1.0
	global_store_b32 v[16:17], v13, off
	s_and_not1_b32 exec_lo, exec_lo, s3
	s_cbranch_execnz .LBB50_5
; %bb.6:
	s_or_b32 exec_lo, exec_lo, s3
	v_or_b32_e32 v19, 1, v18
	v_cmp_lt_f32_e32 vcc_lo, v4, v5
	v_or_b32_e32 v20, 2, v18
	v_or_b32_e32 v21, 3, v18
	;; [unrolled: 1-line block ×4, first 2 shown]
	v_dual_cndmask_b32 v9, v18, v19 :: v_dual_cndmask_b32 v10, v4, v5
	v_or_b32_e32 v25, 6, v18
	v_or_b32_e32 v26, 7, v18
	s_delay_alu instid0(VALU_DEP_3) | instskip(NEXT) | instid1(VALU_DEP_4)
	v_cmp_lt_f32_e32 vcc_lo, v10, v6
	v_dual_cndmask_b32 v9, v9, v20 :: v_dual_cndmask_b32 v10, v10, v6
	s_delay_alu instid0(VALU_DEP_1) | instskip(NEXT) | instid1(VALU_DEP_2)
	v_cmp_lt_f32_e32 vcc_lo, v10, v7
	v_dual_cndmask_b32 v9, v9, v21 :: v_dual_cndmask_b32 v10, v10, v7
	s_delay_alu instid0(VALU_DEP_1) | instskip(NEXT) | instid1(VALU_DEP_2)
	;; [unrolled: 3-line block ×6, first 2 shown]
	v_mov_b32_dpp v11, v9 quad_perm:[1,0,3,2] row_mask:0xf bank_mask:0xf
	v_mov_b32_dpp v12, v10 quad_perm:[1,0,3,2] row_mask:0xf bank_mask:0xf
	s_delay_alu instid0(VALU_DEP_2) | instskip(NEXT) | instid1(VALU_DEP_2)
	v_cmp_lt_i32_e32 vcc_lo, v11, v9
	v_cmp_eq_f32_e64 s2, v10, v12
	v_cmp_lt_f32_e64 s3, v10, v12
	s_delay_alu instid0(VALU_DEP_2)
	s_and_b32 s2, s2, vcc_lo
	s_delay_alu instid0(VALU_DEP_1) | instid1(SALU_CYCLE_1)
	s_or_b32 s3, s3, s2
	s_cmp_gt_i32 s4, 0
	v_cndmask_b32_e64 v16, v10, v12, s3
	v_cmp_eq_u32_e64 s2, 0, v15
	s_cselect_b32 s7, -1, 0
	s_delay_alu instid0(SALU_CYCLE_1)
	s_and_b32 vcc_lo, exec_lo, s7
	s_cbranch_vccz .LBB50_18
; %bb.7:
	s_load_b128 s[8:11], s[0:1], 0x20
	v_mul_lo_u32 v10, v27, s14
	v_mul_lo_u32 v12, v27, s4
	v_cndmask_b32_e64 v28, v9, v11, s3
	v_mov_b32_e32 v17, 0
	s_and_saveexec_b32 s1, s2
	s_cbranch_execz .LBB50_9
; %bb.8:
	v_sub_f32_e32 v17, v16, v16
	v_cmp_le_i32_e32 vcc_lo, s5, v28
	v_cmp_gt_i32_e64 s0, s6, v28
	v_subrev_nc_u32_e32 v35, s5, v28
	v_ashrrev_i32_e32 v13, 31, v12
	v_mul_f32_e32 v9, 0x3fb8aa3b, v17
	s_delay_alu instid0(VALU_DEP_4) | instskip(NEXT) | instid1(SALU_CYCLE_1)
	s_and_b32 s0, vcc_lo, s0
	s_and_b32 vcc_lo, s17, s0
	s_delay_alu instid0(VALU_DEP_1) | instskip(SKIP_2) | instid1(VALU_DEP_3)
	v_rndne_f32_e32 v31, v9
	v_fma_f32 v11, 0x3fb8aa3b, v17, -v9
	v_lshlrev_b64 v[33:34], 2, v[12:13]
	v_sub_f32_e32 v9, v9, v31
	s_delay_alu instid0(VALU_DEP_3) | instskip(NEXT) | instid1(VALU_DEP_1)
	v_fmamk_f32 v11, v17, 0x32a5705f, v11
	v_add_f32_e32 v11, v9, v11
	v_ashrrev_i32_e32 v9, 31, v8
	s_delay_alu instid0(VALU_DEP_2) | instskip(NEXT) | instid1(VALU_DEP_1)
	v_exp_f32_e32 v36, v11
	v_lshlrev_b64 v[29:30], 2, v[8:9]
	v_ashrrev_i32_e32 v11, 31, v10
	v_cvt_i32_f32_e32 v9, v31
	s_delay_alu instid0(VALU_DEP_2) | instskip(SKIP_3) | instid1(TRANS32_DEP_1)
	v_lshlrev_b64 v[31:32], 2, v[10:11]
	v_cndmask_b32_e32 v11, 16, v35, vcc_lo
	v_add_co_u32 v29, vcc_lo, s12, v29
	v_add_co_ci_u32_e32 v30, vcc_lo, s13, v30, vcc_lo
	v_ldexp_f32 v9, v36, v9
	v_cmp_ngt_f32_e32 vcc_lo, 0xc2ce8ed0, v17
	s_delay_alu instid0(VALU_DEP_2)
	v_cndmask_b32_e32 v9, 0, v9, vcc_lo
	s_waitcnt lgkmcnt(0)
	v_add_co_u32 v31, vcc_lo, s8, v31
	v_add_co_ci_u32_e32 v32, vcc_lo, s9, v32, vcc_lo
	v_cmp_nlt_f32_e32 vcc_lo, 0x42b17218, v17
	v_cndmask_b32_e32 v17, 0x7f800000, v9, vcc_lo
	v_add_co_u32 v33, vcc_lo, s10, v33
	v_add_co_ci_u32_e32 v34, vcc_lo, s11, v34, vcc_lo
	global_store_b32 v[31:32], v11, off
	global_store_b32 v[29:30], v17, off
	;; [unrolled: 1-line block ×3, first 2 shown]
.LBB50_9:
	s_or_b32 exec_lo, exec_lo, s1
	v_ashrrev_i32_e32 v11, 31, v28
	s_mov_b32 s0, exec_lo
	s_delay_alu instid0(VALU_DEP_1) | instskip(NEXT) | instid1(VALU_DEP_1)
	v_lshrrev_b32_e32 v9, 29, v11
	v_add_nc_u32_e32 v13, v28, v9
	s_delay_alu instid0(VALU_DEP_1) | instskip(SKIP_1) | instid1(VALU_DEP_1)
	v_ashrrev_i32_e32 v9, 3, v13
	v_lshrrev_b32_e32 v13, 31, v13
	v_add_nc_u32_e32 v13, v9, v13
	s_delay_alu instid0(VALU_DEP_1) | instskip(NEXT) | instid1(VALU_DEP_1)
	v_and_b32_e32 v13, -2, v13
	v_sub_nc_u32_e32 v13, v9, v13
	s_delay_alu instid0(VALU_DEP_1)
	v_cmpx_eq_u32_e64 v15, v13
	s_cbranch_execz .LBB50_11
; %bb.10:
	v_lshrrev_b32_e32 v11, 28, v11
	v_lshlrev_b32_e32 v9, 3, v9
	s_delay_alu instid0(VALU_DEP_2) | instskip(NEXT) | instid1(VALU_DEP_2)
	v_add_nc_u32_e32 v11, v28, v11
	v_sub_nc_u32_e32 v9, v28, v9
	s_delay_alu instid0(VALU_DEP_2) | instskip(NEXT) | instid1(VALU_DEP_1)
	v_ashrrev_i32_e32 v11, 4, v11
	v_lshl_add_u32 v9, v11, 3, v9
	s_delay_alu instid0(VALU_DEP_1)
	v_cmp_ne_u32_e32 vcc_lo, 7, v9
	v_cndmask_b32_e32 v3, 0xff800000, v3, vcc_lo
	v_cmp_ne_u32_e32 vcc_lo, 6, v9
	v_cndmask_b32_e32 v2, 0xff800000, v2, vcc_lo
	;; [unrolled: 2-line block ×8, first 2 shown]
.LBB50_11:
	s_or_b32 exec_lo, exec_lo, s0
	s_cmp_eq_u32 s4, 1
	s_cbranch_scc1 .LBB50_19
; %bb.12:
	s_add_i32 s18, s18, s16
	v_add_nc_u32_e32 v9, 1, v12
	v_add3_u32 v24, s18, v24, v14
	v_add_nc_u32_e32 v11, 1, v10
	v_add_nc_u32_e32 v13, 1, v8
	s_add_i32 s3, s4, -1
	s_branch .LBB50_14
.LBB50_13:                              ;   in Loop: Header=BB50_14 Depth=1
	s_or_b32 exec_lo, exec_lo, s0
	v_add_nc_u32_e32 v24, s16, v24
	v_add_nc_u32_e32 v9, 1, v9
	;; [unrolled: 1-line block ×4, first 2 shown]
	s_add_i32 s3, s3, -1
	s_delay_alu instid0(SALU_CYCLE_1)
	s_cmp_eq_u32 s3, 0
	s_cbranch_scc1 .LBB50_19
.LBB50_14:                              ; =>This Inner Loop Header: Depth=1
	v_cmp_gt_f32_e32 vcc_lo, v5, v4
	v_cndmask_b32_e32 v12, v4, v5, vcc_lo
	v_cndmask_b32_e32 v10, v18, v19, vcc_lo
	s_delay_alu instid0(VALU_DEP_2) | instskip(SKIP_1) | instid1(VALU_DEP_3)
	v_cmp_gt_f32_e32 vcc_lo, v6, v12
	v_cndmask_b32_e32 v12, v12, v6, vcc_lo
	v_cndmask_b32_e32 v10, v10, v20, vcc_lo
	s_delay_alu instid0(VALU_DEP_2) | instskip(SKIP_1) | instid1(VALU_DEP_3)
	;; [unrolled: 4-line block ×5, first 2 shown]
	v_cmp_gt_f32_e32 vcc_lo, v2, v12
	v_cndmask_b32_e32 v12, v12, v2, vcc_lo
	v_cndmask_b32_e32 v10, v10, v25, vcc_lo
	s_delay_alu instid0(VALU_DEP_2) | instskip(NEXT) | instid1(VALU_DEP_2)
	v_cmp_gt_f32_e32 vcc_lo, v3, v12
	v_cndmask_b32_e32 v14, v10, v26, vcc_lo
	v_cndmask_b32_e32 v10, v12, v3, vcc_lo
	s_delay_alu instid0(VALU_DEP_2) | instskip(NEXT) | instid1(VALU_DEP_2)
	v_mov_b32_dpp v27, v14 quad_perm:[1,0,3,2] row_mask:0xf bank_mask:0xf
	v_mov_b32_dpp v12, v10 quad_perm:[1,0,3,2] row_mask:0xf bank_mask:0xf
	s_delay_alu instid0(VALU_DEP_2) | instskip(NEXT) | instid1(VALU_DEP_2)
	v_cmp_lt_i32_e32 vcc_lo, v27, v14
	v_cmp_eq_f32_e64 s0, v10, v12
	v_cmp_lt_f32_e64 s1, v10, v12
	s_delay_alu instid0(VALU_DEP_2)
	s_and_b32 s0, s0, vcc_lo
	s_delay_alu instid0(VALU_DEP_1) | instid1(SALU_CYCLE_1)
	s_or_b32 vcc_lo, s1, s0
	v_cndmask_b32_e32 v27, v14, v27, vcc_lo
	s_and_saveexec_b32 s1, s2
	s_cbranch_execz .LBB50_16
; %bb.15:                               ;   in Loop: Header=BB50_14 Depth=1
	v_cndmask_b32_e32 v10, v10, v12, vcc_lo
	s_delay_alu instid0(VALU_DEP_2) | instskip(SKIP_4) | instid1(VALU_DEP_4)
	v_cmp_le_i32_e32 vcc_lo, s5, v27
	v_cmp_gt_i32_e64 s0, s6, v27
	v_ashrrev_i32_e32 v14, 31, v13
	v_subrev_nc_u32_e32 v35, s5, v27
	v_sub_f32_e32 v34, v10, v16
	s_and_b32 s0, vcc_lo, s0
	s_delay_alu instid0(SALU_CYCLE_1) | instskip(NEXT) | instid1(VALU_DEP_1)
	s_and_b32 vcc_lo, s17, s0
	v_mul_f32_e32 v10, 0x3fb8aa3b, v34
	s_delay_alu instid0(VALU_DEP_1) | instskip(SKIP_1) | instid1(VALU_DEP_2)
	v_fma_f32 v12, 0x3fb8aa3b, v34, -v10
	v_rndne_f32_e32 v28, v10
	v_fmac_f32_e32 v12, 0x32a5705f, v34
	s_delay_alu instid0(VALU_DEP_2) | instskip(SKIP_2) | instid1(VALU_DEP_3)
	v_sub_f32_e32 v10, v10, v28
	v_cvt_i32_f32_e32 v33, v28
	v_lshlrev_b64 v[28:29], 2, v[13:14]
	v_add_f32_e32 v10, v10, v12
	v_ashrrev_i32_e32 v12, 31, v11
	s_delay_alu instid0(VALU_DEP_2) | instskip(SKIP_1) | instid1(VALU_DEP_2)
	v_exp_f32_e32 v32, v10
	v_ashrrev_i32_e32 v10, 31, v9
	v_lshlrev_b64 v[30:31], 2, v[11:12]
	s_waitcnt_depctr 0xfff
	v_ldexp_f32 v12, v32, v33
	v_lshlrev_b64 v[32:33], 2, v[9:10]
	v_cndmask_b32_e32 v10, 16, v35, vcc_lo
	v_cmp_ngt_f32_e32 vcc_lo, 0xc2ce8ed0, v34
	s_delay_alu instid0(VALU_DEP_4) | instskip(SKIP_3) | instid1(VALU_DEP_4)
	v_cndmask_b32_e32 v12, 0, v12, vcc_lo
	v_add_co_u32 v28, vcc_lo, s12, v28
	v_add_co_ci_u32_e32 v29, vcc_lo, s13, v29, vcc_lo
	v_cmp_nlt_f32_e32 vcc_lo, 0x42b17218, v34
	v_cndmask_b32_e32 v12, 0x7f800000, v12, vcc_lo
	s_waitcnt lgkmcnt(0)
	v_add_co_u32 v30, vcc_lo, s8, v30
	v_add_co_ci_u32_e32 v31, vcc_lo, s9, v31, vcc_lo
	s_delay_alu instid0(VALU_DEP_3)
	v_add_f32_e32 v17, v17, v12
	v_add_co_u32 v32, vcc_lo, s10, v32
	v_add_co_ci_u32_e32 v33, vcc_lo, s11, v33, vcc_lo
	global_store_b32 v[28:29], v12, off
	global_store_b32 v[30:31], v10, off
	global_store_b32 v[32:33], v24, off
.LBB50_16:                              ;   in Loop: Header=BB50_14 Depth=1
	s_or_b32 exec_lo, exec_lo, s1
	s_delay_alu instid0(VALU_DEP_1) | instskip(SKIP_1) | instid1(VALU_DEP_1)
	v_ashrrev_i32_e32 v12, 31, v27
	s_mov_b32 s0, exec_lo
	v_lshrrev_b32_e32 v10, 29, v12
	s_delay_alu instid0(VALU_DEP_1) | instskip(NEXT) | instid1(VALU_DEP_1)
	v_add_nc_u32_e32 v14, v27, v10
	v_ashrrev_i32_e32 v10, 3, v14
	v_lshrrev_b32_e32 v14, 31, v14
	s_delay_alu instid0(VALU_DEP_1) | instskip(NEXT) | instid1(VALU_DEP_1)
	v_add_nc_u32_e32 v14, v10, v14
	v_and_b32_e32 v14, -2, v14
	s_delay_alu instid0(VALU_DEP_1) | instskip(NEXT) | instid1(VALU_DEP_1)
	v_sub_nc_u32_e32 v14, v10, v14
	v_cmpx_eq_u32_e64 v15, v14
	s_cbranch_execz .LBB50_13
; %bb.17:                               ;   in Loop: Header=BB50_14 Depth=1
	v_lshrrev_b32_e32 v12, 28, v12
	v_lshlrev_b32_e32 v10, 3, v10
	s_delay_alu instid0(VALU_DEP_2) | instskip(NEXT) | instid1(VALU_DEP_2)
	v_add_nc_u32_e32 v12, v27, v12
	v_sub_nc_u32_e32 v10, v27, v10
	s_delay_alu instid0(VALU_DEP_2) | instskip(NEXT) | instid1(VALU_DEP_1)
	v_ashrrev_i32_e32 v12, 4, v12
	v_lshl_add_u32 v10, v12, 3, v10
	s_delay_alu instid0(VALU_DEP_1)
	v_cmp_ne_u32_e32 vcc_lo, 7, v10
	v_cndmask_b32_e32 v3, 0xff800000, v3, vcc_lo
	v_cmp_ne_u32_e32 vcc_lo, 6, v10
	v_cndmask_b32_e32 v2, 0xff800000, v2, vcc_lo
	;; [unrolled: 2-line block ×8, first 2 shown]
	s_branch .LBB50_13
.LBB50_18:
	v_mov_b32_e32 v17, 0
.LBB50_19:
	v_sub_f32_e32 v7, v7, v16
	v_sub_f32_e32 v5, v5, v16
	;; [unrolled: 1-line block ×4, first 2 shown]
	s_delay_alu instid0(VALU_DEP_4) | instskip(NEXT) | instid1(VALU_DEP_3)
	v_dual_sub_f32 v1, v1, v16 :: v_dual_mul_f32 v12, 0x3fb8aa3b, v7
	v_dual_mul_f32 v10, 0x3fb8aa3b, v5 :: v_dual_mul_f32 v11, 0x3fb8aa3b, v6
	s_delay_alu instid0(VALU_DEP_3) | instskip(SKIP_1) | instid1(VALU_DEP_4)
	v_cmp_ngt_f32_e32 vcc_lo, 0xc2ce8ed0, v4
	v_sub_f32_e32 v0, v0, v16
	v_fma_f32 v22, 0x3fb8aa3b, v7, -v12
	s_delay_alu instid0(VALU_DEP_4)
	v_rndne_f32_e32 v19, v10
	v_mul_f32_e32 v9, 0x3fb8aa3b, v4
	v_fma_f32 v18, 0x3fb8aa3b, v5, -v10
	v_rndne_f32_e32 v21, v11
	v_rndne_f32_e32 v23, v12
	v_sub_f32_e32 v10, v10, v19
	v_fma_f32 v13, 0x3fb8aa3b, v4, -v9
	v_rndne_f32_e32 v14, v9
	v_fmac_f32_e32 v18, 0x32a5705f, v5
	v_sub_f32_e32 v2, v2, v16
	s_delay_alu instid0(VALU_DEP_4) | instskip(NEXT) | instid1(VALU_DEP_4)
	v_fmac_f32_e32 v13, 0x32a5705f, v4
	v_sub_f32_e32 v9, v9, v14
	v_fma_f32 v20, 0x3fb8aa3b, v6, -v11
	v_dual_add_f32 v10, v10, v18 :: v_dual_sub_f32 v11, v11, v21
	s_delay_alu instid0(VALU_DEP_2) | instskip(NEXT) | instid1(VALU_DEP_2)
	v_dual_add_f32 v9, v9, v13 :: v_dual_fmac_f32 v20, 0x32a5705f, v6
	v_exp_f32_e32 v10, v10
	v_cvt_i32_f32_e32 v13, v14
	v_cvt_i32_f32_e32 v14, v19
	s_delay_alu instid0(VALU_DEP_3)
	v_exp_f32_e32 v9, v9
	v_dual_fmac_f32 v22, 0x32a5705f, v7 :: v_dual_add_f32 v11, v11, v20
	s_waitcnt_depctr 0xfff
	v_ldexp_f32 v10, v10, v14
	v_exp_f32_e32 v11, v11
	v_ldexp_f32 v9, v9, v13
	v_sub_f32_e32 v12, v12, v23
	v_cvt_i32_f32_e32 v13, v21
	s_delay_alu instid0(VALU_DEP_3)
	v_cndmask_b32_e32 v9, 0, v9, vcc_lo
	v_cmp_ngt_f32_e32 vcc_lo, 0xc2ce8ed0, v5
	s_waitcnt_depctr 0xfff
	v_ldexp_f32 v11, v11, v13
	v_cndmask_b32_e32 v10, 0, v10, vcc_lo
	v_cmp_nlt_f32_e32 vcc_lo, 0x42b17218, v4
	v_cndmask_b32_e32 v4, 0x7f800000, v9, vcc_lo
	v_cmp_nlt_f32_e32 vcc_lo, 0x42b17218, v5
	s_delay_alu instid0(VALU_DEP_4) | instskip(SKIP_3) | instid1(VALU_DEP_4)
	v_cndmask_b32_e32 v5, 0x7f800000, v10, vcc_lo
	v_cmp_ngt_f32_e32 vcc_lo, 0xc2ce8ed0, v6
	v_add_f32_e32 v12, v12, v22
	v_cvt_i32_f32_e32 v10, v23
	v_dual_add_f32 v4, v4, v5 :: v_dual_cndmask_b32 v9, 0, v11
	s_delay_alu instid0(VALU_DEP_3) | instskip(SKIP_2) | instid1(VALU_DEP_3)
	v_exp_f32_e32 v12, v12
	v_cmp_nlt_f32_e32 vcc_lo, 0x42b17218, v6
	v_dual_mul_f32 v6, 0x3fb8aa3b, v0 :: v_dual_mul_f32 v11, 0x3fb8aa3b, v2
	v_cndmask_b32_e32 v5, 0x7f800000, v9, vcc_lo
	v_cmp_ngt_f32_e32 vcc_lo, 0xc2ce8ed0, v7
	s_delay_alu instid0(VALU_DEP_3) | instskip(SKIP_4) | instid1(VALU_DEP_3)
	v_rndne_f32_e32 v13, v11
	s_waitcnt_depctr 0xfff
	v_ldexp_f32 v9, v12, v10
	v_add_f32_e32 v4, v4, v5
	v_fma_f32 v12, 0x3fb8aa3b, v2, -v11
	v_cndmask_b32_e32 v9, 0, v9, vcc_lo
	v_cmp_nlt_f32_e32 vcc_lo, 0x42b17218, v7
	s_delay_alu instid0(VALU_DEP_3) | instskip(NEXT) | instid1(VALU_DEP_3)
	v_fmac_f32_e32 v12, 0x32a5705f, v2
	v_cndmask_b32_e32 v7, 0x7f800000, v9, vcc_lo
	v_mul_f32_e32 v9, 0x3fb8aa3b, v1
	v_fma_f32 v5, 0x3fb8aa3b, v0, -v6
	v_rndne_f32_e32 v10, v6
	v_cmp_ngt_f32_e32 vcc_lo, 0xc2ce8ed0, v0
	v_add_f32_e32 v4, v4, v7
	v_rndne_f32_e32 v7, v9
	s_delay_alu instid0(VALU_DEP_4) | instskip(SKIP_1) | instid1(VALU_DEP_2)
	v_dual_fmac_f32 v5, 0x32a5705f, v0 :: v_dual_sub_f32 v6, v6, v10
	v_cvt_i32_f32_e32 v10, v10
	v_add_f32_e32 v5, v6, v5
	v_fma_f32 v6, 0x3fb8aa3b, v1, -v9
	v_sub_f32_e32 v3, v3, v16
	v_sub_f32_e32 v9, v9, v7
	v_cvt_i32_f32_e32 v7, v7
	v_exp_f32_e32 v5, v5
	v_fmac_f32_e32 v6, 0x32a5705f, v1
	v_mul_f32_e32 v14, 0x3fb8aa3b, v3
	s_delay_alu instid0(VALU_DEP_2) | instskip(NEXT) | instid1(VALU_DEP_2)
	v_dual_add_f32 v6, v9, v6 :: v_dual_sub_f32 v9, v11, v13
	v_fma_f32 v11, 0x3fb8aa3b, v3, -v14
	v_rndne_f32_e32 v16, v14
	s_waitcnt_depctr 0xfff
	v_ldexp_f32 v5, v5, v10
	v_fmac_f32_e32 v11, 0x32a5705f, v3
	v_exp_f32_e32 v6, v6
	s_delay_alu instid0(VALU_DEP_2) | instskip(SKIP_2) | instid1(VALU_DEP_3)
	v_dual_sub_f32 v10, v14, v16 :: v_dual_cndmask_b32 v5, 0, v5
	v_add_f32_e32 v9, v9, v12
	v_cmp_nlt_f32_e32 vcc_lo, 0x42b17218, v0
	v_add_f32_e32 v10, v10, v11
	s_delay_alu instid0(VALU_DEP_3) | instskip(SKIP_1) | instid1(TRANS32_DEP_2)
	v_exp_f32_e32 v9, v9
	v_cndmask_b32_e32 v0, 0x7f800000, v5, vcc_lo
	v_ldexp_f32 v6, v6, v7
	v_cmp_ngt_f32_e32 vcc_lo, 0xc2ce8ed0, v1
	v_cvt_i32_f32_e32 v5, v13
	v_exp_f32_e32 v7, v10
	s_delay_alu instid0(VALU_DEP_3) | instskip(SKIP_2) | instid1(TRANS32_DEP_2)
	v_cndmask_b32_e32 v6, 0, v6, vcc_lo
	v_cmp_nlt_f32_e32 vcc_lo, 0x42b17218, v1
	v_add_f32_e32 v0, v4, v0
	v_ldexp_f32 v4, v9, v5
	v_cvt_i32_f32_e32 v5, v16
	v_cndmask_b32_e32 v1, 0x7f800000, v6, vcc_lo
	v_cmp_ngt_f32_e32 vcc_lo, 0xc2ce8ed0, v2
	s_delay_alu instid0(TRANS32_DEP_1) | instid1(VALU_DEP_3)
	v_ldexp_f32 v5, v7, v5
	v_cndmask_b32_e32 v4, 0, v4, vcc_lo
	v_cmp_nlt_f32_e32 vcc_lo, 0x42b17218, v2
	s_delay_alu instid0(VALU_DEP_2) | instskip(SKIP_3) | instid1(VALU_DEP_2)
	v_dual_add_f32 v0, v0, v1 :: v_dual_cndmask_b32 v1, 0x7f800000, v4
	v_cmp_ngt_f32_e32 vcc_lo, 0xc2ce8ed0, v3
	v_cndmask_b32_e32 v2, 0, v5, vcc_lo
	v_cmp_nlt_f32_e32 vcc_lo, 0x42b17218, v3
	v_dual_add_f32 v0, v0, v1 :: v_dual_cndmask_b32 v1, 0x7f800000, v2
	v_cmp_eq_u32_e32 vcc_lo, 0, v15
	s_delay_alu instid0(VALU_DEP_2) | instskip(NEXT) | instid1(VALU_DEP_1)
	v_add_f32_e32 v0, v0, v1
	v_mov_b32_dpp v1, v0 quad_perm:[1,0,3,2] row_mask:0xf bank_mask:0xf
	s_and_b32 exec_lo, exec_lo, vcc_lo
	s_cbranch_execz .LBB50_24
; %bb.20:
	s_delay_alu instid0(VALU_DEP_1) | instskip(NEXT) | instid1(VALU_DEP_1)
	v_add_f32_e32 v0, v0, v1
	v_add_f32_e32 v0, v17, v0
	s_delay_alu instid0(VALU_DEP_1)
	v_cmp_neq_f32_e32 vcc_lo, 0, v0
	s_and_b32 exec_lo, exec_lo, vcc_lo
	s_cbranch_execz .LBB50_24
; %bb.21:
	s_and_not1_b32 vcc_lo, exec_lo, s7
	s_cbranch_vccnz .LBB50_24
; %bb.22:
	v_div_scale_f32 v1, null, v0, v0, 1.0
	v_div_scale_f32 v4, vcc_lo, 1.0, v0, 1.0
	v_ashrrev_i32_e32 v9, 31, v8
	s_delay_alu instid0(VALU_DEP_3) | instskip(SKIP_2) | instid1(VALU_DEP_1)
	v_rcp_f32_e32 v2, v1
	s_waitcnt_depctr 0xfff
	v_fma_f32 v3, -v1, v2, 1.0
	v_fmac_f32_e32 v2, v3, v2
	s_delay_alu instid0(VALU_DEP_1) | instskip(NEXT) | instid1(VALU_DEP_1)
	v_mul_f32_e32 v3, v4, v2
	v_fma_f32 v5, -v1, v3, v4
	s_delay_alu instid0(VALU_DEP_1) | instskip(NEXT) | instid1(VALU_DEP_1)
	v_fmac_f32_e32 v3, v5, v2
	v_fma_f32 v1, -v1, v3, v4
	s_delay_alu instid0(VALU_DEP_1) | instskip(SKIP_1) | instid1(VALU_DEP_2)
	v_div_fmas_f32 v1, v1, v2, v3
	v_lshlrev_b64 v[3:4], 2, v[8:9]
	v_div_fixup_f32 v2, v1, v0, 1.0
	s_delay_alu instid0(VALU_DEP_2) | instskip(NEXT) | instid1(VALU_DEP_3)
	v_add_co_u32 v0, vcc_lo, s12, v3
	v_add_co_ci_u32_e32 v1, vcc_lo, s13, v4, vcc_lo
.LBB50_23:                              ; =>This Inner Loop Header: Depth=1
	global_load_b32 v3, v[0:1], off
	s_add_i32 s4, s4, -1
	s_delay_alu instid0(SALU_CYCLE_1)
	s_cmp_lg_u32 s4, 0
	s_waitcnt vmcnt(0)
	v_mul_f32_e32 v3, v2, v3
	global_store_b32 v[0:1], v3, off
	v_add_co_u32 v0, vcc_lo, v0, 4
	v_add_co_ci_u32_e32 v1, vcc_lo, 0, v1, vcc_lo
	s_cbranch_scc1 .LBB50_23
.LBB50_24:
	s_nop 0
	s_sendmsg sendmsg(MSG_DEALLOC_VGPRS)
	s_endpgm
	.section	.rodata,"a",@progbits
	.p2align	6, 0x0
	.amdhsa_kernel _ZN4vllm3moe17topkGatingSoftmaxIfLi8ELi16ELi8ELi32ELb0ELi8ELNS0_23SharedExpertScoringFuncE1EEEvPKT_PKbPfiPiS9_iiiiii
		.amdhsa_group_segment_fixed_size 0
		.amdhsa_private_segment_fixed_size 0
		.amdhsa_kernarg_size 72
		.amdhsa_user_sgpr_count 15
		.amdhsa_user_sgpr_dispatch_ptr 0
		.amdhsa_user_sgpr_queue_ptr 0
		.amdhsa_user_sgpr_kernarg_segment_ptr 1
		.amdhsa_user_sgpr_dispatch_id 0
		.amdhsa_user_sgpr_private_segment_size 0
		.amdhsa_wavefront_size32 1
		.amdhsa_uses_dynamic_stack 0
		.amdhsa_enable_private_segment 0
		.amdhsa_system_sgpr_workgroup_id_x 1
		.amdhsa_system_sgpr_workgroup_id_y 0
		.amdhsa_system_sgpr_workgroup_id_z 0
		.amdhsa_system_sgpr_workgroup_info 0
		.amdhsa_system_vgpr_workitem_id 1
		.amdhsa_next_free_vgpr 37
		.amdhsa_next_free_sgpr 19
		.amdhsa_reserve_vcc 1
		.amdhsa_float_round_mode_32 0
		.amdhsa_float_round_mode_16_64 0
		.amdhsa_float_denorm_mode_32 3
		.amdhsa_float_denorm_mode_16_64 3
		.amdhsa_dx10_clamp 1
		.amdhsa_ieee_mode 1
		.amdhsa_fp16_overflow 0
		.amdhsa_workgroup_processor_mode 1
		.amdhsa_memory_ordered 1
		.amdhsa_forward_progress 0
		.amdhsa_shared_vgpr_count 0
		.amdhsa_exception_fp_ieee_invalid_op 0
		.amdhsa_exception_fp_denorm_src 0
		.amdhsa_exception_fp_ieee_div_zero 0
		.amdhsa_exception_fp_ieee_overflow 0
		.amdhsa_exception_fp_ieee_underflow 0
		.amdhsa_exception_fp_ieee_inexact 0
		.amdhsa_exception_int_div_zero 0
	.end_amdhsa_kernel
	.section	.text._ZN4vllm3moe17topkGatingSoftmaxIfLi8ELi16ELi8ELi32ELb0ELi8ELNS0_23SharedExpertScoringFuncE1EEEvPKT_PKbPfiPiS9_iiiiii,"axG",@progbits,_ZN4vllm3moe17topkGatingSoftmaxIfLi8ELi16ELi8ELi32ELb0ELi8ELNS0_23SharedExpertScoringFuncE1EEEvPKT_PKbPfiPiS9_iiiiii,comdat
.Lfunc_end50:
	.size	_ZN4vllm3moe17topkGatingSoftmaxIfLi8ELi16ELi8ELi32ELb0ELi8ELNS0_23SharedExpertScoringFuncE1EEEvPKT_PKbPfiPiS9_iiiiii, .Lfunc_end50-_ZN4vllm3moe17topkGatingSoftmaxIfLi8ELi16ELi8ELi32ELb0ELi8ELNS0_23SharedExpertScoringFuncE1EEEvPKT_PKbPfiPiS9_iiiiii
                                        ; -- End function
	.section	.AMDGPU.csdata,"",@progbits
; Kernel info:
; codeLenInByte = 3160
; NumSgprs: 21
; NumVgprs: 37
; ScratchSize: 0
; MemoryBound: 0
; FloatMode: 240
; IeeeMode: 1
; LDSByteSize: 0 bytes/workgroup (compile time only)
; SGPRBlocks: 2
; VGPRBlocks: 4
; NumSGPRsForWavesPerEU: 21
; NumVGPRsForWavesPerEU: 37
; Occupancy: 16
; WaveLimiterHint : 0
; COMPUTE_PGM_RSRC2:SCRATCH_EN: 0
; COMPUTE_PGM_RSRC2:USER_SGPR: 15
; COMPUTE_PGM_RSRC2:TRAP_HANDLER: 0
; COMPUTE_PGM_RSRC2:TGID_X_EN: 1
; COMPUTE_PGM_RSRC2:TGID_Y_EN: 0
; COMPUTE_PGM_RSRC2:TGID_Z_EN: 0
; COMPUTE_PGM_RSRC2:TIDIG_COMP_CNT: 1
	.section	.text._ZN4vllm3moe17topkGatingSoftmaxIfLi8ELi32ELi8ELi32ELb1ELi0ELNS0_23SharedExpertScoringFuncE0EEEvPKT_PKbPfiPiS9_iiiiii,"axG",@progbits,_ZN4vllm3moe17topkGatingSoftmaxIfLi8ELi32ELi8ELi32ELb1ELi0ELNS0_23SharedExpertScoringFuncE0EEEvPKT_PKbPfiPiS9_iiiiii,comdat
	.protected	_ZN4vllm3moe17topkGatingSoftmaxIfLi8ELi32ELi8ELi32ELb1ELi0ELNS0_23SharedExpertScoringFuncE0EEEvPKT_PKbPfiPiS9_iiiiii ; -- Begin function _ZN4vllm3moe17topkGatingSoftmaxIfLi8ELi32ELi8ELi32ELb1ELi0ELNS0_23SharedExpertScoringFuncE0EEEvPKT_PKbPfiPiS9_iiiiii
	.globl	_ZN4vllm3moe17topkGatingSoftmaxIfLi8ELi32ELi8ELi32ELb1ELi0ELNS0_23SharedExpertScoringFuncE0EEEvPKT_PKbPfiPiS9_iiiiii
	.p2align	8
	.type	_ZN4vllm3moe17topkGatingSoftmaxIfLi8ELi32ELi8ELi32ELb1ELi0ELNS0_23SharedExpertScoringFuncE0EEEvPKT_PKbPfiPiS9_iiiiii,@function
_ZN4vllm3moe17topkGatingSoftmaxIfLi8ELi32ELi8ELi32ELb1ELi0ELNS0_23SharedExpertScoringFuncE0EEEvPKT_PKbPfiPiS9_iiiiii: ; @_ZN4vllm3moe17topkGatingSoftmaxIfLi8ELi32ELi8ELi32ELb1ELi0ELNS0_23SharedExpertScoringFuncE0EEEvPKT_PKbPfiPiS9_iiiiii
; %bb.0:
	s_load_b32 s16, s[0:1], 0x18
	v_bfe_u32 v1, v0, 10, 10
	v_and_b32_e32 v0, 0x3ff, v0
	s_lshl_b32 s18, s15, 6
	s_mov_b32 s2, exec_lo
	s_delay_alu instid0(VALU_DEP_2) | instskip(NEXT) | instid1(VALU_DEP_2)
	v_lshlrev_b32_e32 v26, 3, v1
	v_lshrrev_b32_e32 v27, 2, v0
	s_delay_alu instid0(VALU_DEP_1) | instskip(SKIP_1) | instid1(VALU_DEP_1)
	v_add3_u32 v15, s18, v26, v27
	s_waitcnt lgkmcnt(0)
	v_cmpx_gt_i32_e64 s16, v15
	s_cbranch_execz .LBB51_20
; %bb.1:
	s_clause 0x1
	s_load_b128 s[4:7], s[0:1], 0x0
	s_load_b64 s[12:13], s[0:1], 0x10
	s_waitcnt lgkmcnt(0)
	s_cmp_eq_u64 s[6:7], 0
	s_cbranch_scc1 .LBB51_3
; %bb.2:
	v_ashrrev_i32_e32 v2, 31, v15
	v_add_co_u32 v1, vcc_lo, s6, v15
	s_delay_alu instid0(VALU_DEP_2) | instskip(SKIP_3) | instid1(VALU_DEP_1)
	v_add_co_ci_u32_e32 v2, vcc_lo, s7, v2, vcc_lo
	global_load_u8 v1, v[1:2], off
	s_waitcnt vmcnt(0)
	v_and_b32_e32 v1, 1, v1
	v_cmp_eq_u32_e32 vcc_lo, 1, v1
	s_xor_b32 s2, vcc_lo, -1
	s_delay_alu instid0(SALU_CYCLE_1)
	s_or_not1_b32 s17, s2, exec_lo
	s_branch .LBB51_4
.LBB51_3:
	s_mov_b32 s17, -1
.LBB51_4:
	s_load_b64 s[14:15], s[0:1], 0x40
	v_and_b32_e32 v16, 3, v0
	v_mov_b32_e32 v14, 0
	s_waitcnt lgkmcnt(0)
	v_mul_lo_u32 v1, v15, s15
	s_delay_alu instid0(VALU_DEP_1) | instskip(NEXT) | instid1(VALU_DEP_1)
	v_ashrrev_i32_e32 v2, 31, v1
	v_lshlrev_b64 v[0:1], 2, v[1:2]
	v_lshlrev_b32_e32 v2, 5, v16
	s_delay_alu instid0(VALU_DEP_2) | instskip(NEXT) | instid1(VALU_DEP_3)
	v_add_co_u32 v0, vcc_lo, s4, v0
	v_add_co_ci_u32_e32 v1, vcc_lo, s5, v1, vcc_lo
	s_load_b128 s[4:7], s[0:1], 0x30
	s_delay_alu instid0(VALU_DEP_2) | instskip(NEXT) | instid1(VALU_DEP_2)
	v_add_co_u32 v4, vcc_lo, v0, v2
	v_add_co_ci_u32_e32 v5, vcc_lo, 0, v1, vcc_lo
	s_clause 0x1
	global_load_b128 v[0:3], v[4:5], off
	global_load_b128 v[4:7], v[4:5], off offset:16
	s_waitcnt vmcnt(1)
	v_cmp_lt_f32_e32 vcc_lo, v0, v1
	v_cndmask_b32_e32 v9, v0, v1, vcc_lo
	v_lshlrev_b32_e32 v17, 3, v16
	s_delay_alu instid0(VALU_DEP_1) | instskip(SKIP_1) | instid1(VALU_DEP_2)
	v_or_b32_e32 v18, 1, v17
	v_or_b32_e32 v19, 2, v17
	v_cndmask_b32_e32 v8, v17, v18, vcc_lo
	v_cmp_lt_f32_e32 vcc_lo, v9, v2
	s_delay_alu instid0(VALU_DEP_2)
	v_cndmask_b32_e32 v8, v8, v19, vcc_lo
	v_or_b32_e32 v20, 3, v17
	v_cndmask_b32_e32 v9, v9, v2, vcc_lo
	v_or_b32_e32 v21, 4, v17
	v_or_b32_e32 v22, 5, v17
	;; [unrolled: 1-line block ×4, first 2 shown]
	v_cmp_lt_f32_e32 vcc_lo, v9, v3
	v_dual_cndmask_b32 v8, v8, v20 :: v_dual_cndmask_b32 v9, v9, v3
	s_waitcnt vmcnt(0)
	s_delay_alu instid0(VALU_DEP_1) | instskip(NEXT) | instid1(VALU_DEP_2)
	v_cmp_lt_f32_e32 vcc_lo, v9, v4
	v_dual_cndmask_b32 v8, v8, v21 :: v_dual_cndmask_b32 v9, v9, v4
	s_delay_alu instid0(VALU_DEP_1) | instskip(NEXT) | instid1(VALU_DEP_2)
	v_cmp_lt_f32_e32 vcc_lo, v9, v5
	v_dual_cndmask_b32 v8, v8, v22 :: v_dual_cndmask_b32 v9, v9, v5
	s_delay_alu instid0(VALU_DEP_1) | instskip(NEXT) | instid1(VALU_DEP_2)
	v_cmp_lt_f32_e32 vcc_lo, v9, v6
	v_dual_cndmask_b32 v8, v8, v23 :: v_dual_cndmask_b32 v9, v9, v6
	s_delay_alu instid0(VALU_DEP_1) | instskip(NEXT) | instid1(VALU_DEP_2)
	v_cmp_lt_f32_e32 vcc_lo, v9, v7
	v_dual_cndmask_b32 v8, v8, v24 :: v_dual_cndmask_b32 v9, v9, v7
	s_delay_alu instid0(VALU_DEP_1) | instskip(NEXT) | instid1(VALU_DEP_2)
	v_mov_b32_dpp v11, v8 quad_perm:[1,0,3,2] row_mask:0xf bank_mask:0xf
	v_mov_b32_dpp v10, v9 quad_perm:[1,0,3,2] row_mask:0xf bank_mask:0xf
	s_delay_alu instid0(VALU_DEP_2) | instskip(NEXT) | instid1(VALU_DEP_2)
	v_cmp_lt_i32_e32 vcc_lo, v11, v8
	v_cmp_eq_f32_e64 s2, v9, v10
	v_cmp_lt_f32_e64 s3, v9, v10
	s_delay_alu instid0(VALU_DEP_2)
	s_and_b32 s2, s2, vcc_lo
	s_delay_alu instid0(VALU_DEP_1) | instid1(SALU_CYCLE_1)
	s_or_b32 vcc_lo, s3, s2
	s_waitcnt lgkmcnt(0)
	s_cmp_gt_i32 s4, 0
	v_cndmask_b32_e32 v10, v9, v10, vcc_lo
	v_cndmask_b32_e32 v8, v8, v11, vcc_lo
	v_cmp_eq_u32_e32 vcc_lo, 0, v16
	s_cselect_b32 s3, -1, 0
	s_cmp_lt_i32 s4, 1
	v_mov_b32_dpp v12, v10 quad_perm:[2,3,0,1] row_mask:0xf bank_mask:0xf
	v_mov_b32_dpp v25, v8 quad_perm:[2,3,0,1] row_mask:0xf bank_mask:0xf
	s_cbranch_scc1 .LBB51_16
; %bb.5:
	s_load_b128 s[8:11], s[0:1], 0x20
	s_delay_alu instid0(VALU_DEP_2) | instskip(NEXT) | instid1(VALU_DEP_2)
	v_cmp_eq_f32_e64 s0, v10, v12
	v_cmp_lt_i32_e64 s1, v25, v8
	v_cmp_lt_f32_e64 s2, v10, v12
	v_mul_lo_u32 v9, v15, s7
	v_mul_lo_u32 v11, v15, s14
	;; [unrolled: 1-line block ×3, first 2 shown]
	s_and_b32 s0, s0, s1
	v_mov_b32_e32 v14, 0
	s_or_b32 s0, s2, s0
	s_delay_alu instid0(SALU_CYCLE_1)
	v_cndmask_b32_e64 v8, v8, v25, s0
	v_cndmask_b32_e64 v25, v10, v12, s0
	s_and_saveexec_b32 s2, vcc_lo
	s_cbranch_execz .LBB51_7
; %bb.6:
	s_delay_alu instid0(VALU_DEP_1)
	v_sub_f32_e32 v34, v25, v25
	v_cmp_le_i32_e64 s0, s5, v8
	v_cmp_gt_i32_e64 s1, s6, v8
	v_subrev_nc_u32_e32 v35, s5, v8
	v_ashrrev_i32_e32 v14, 31, v13
	v_mul_f32_e32 v10, 0x3fb8aa3b, v34
	s_delay_alu instid0(VALU_DEP_4) | instskip(NEXT) | instid1(SALU_CYCLE_1)
	s_and_b32 s0, s0, s1
	s_and_b32 s0, s17, s0
	s_delay_alu instid0(VALU_DEP_1) | instskip(SKIP_2) | instid1(VALU_DEP_3)
	v_rndne_f32_e32 v30, v10
	v_fma_f32 v12, 0x3fb8aa3b, v34, -v10
	v_lshlrev_b64 v[32:33], 2, v[13:14]
	v_sub_f32_e32 v10, v10, v30
	s_delay_alu instid0(VALU_DEP_3) | instskip(NEXT) | instid1(VALU_DEP_1)
	v_fmamk_f32 v12, v34, 0x32a5705f, v12
	v_add_f32_e32 v12, v10, v12
	v_ashrrev_i32_e32 v10, 31, v9
	s_delay_alu instid0(VALU_DEP_2) | instskip(NEXT) | instid1(VALU_DEP_1)
	v_exp_f32_e32 v36, v12
	v_lshlrev_b64 v[28:29], 2, v[9:10]
	v_ashrrev_i32_e32 v12, 31, v11
	v_cvt_i32_f32_e32 v10, v30
	s_delay_alu instid0(VALU_DEP_2) | instskip(SKIP_2) | instid1(VALU_DEP_1)
	v_lshlrev_b64 v[30:31], 2, v[11:12]
	v_cndmask_b32_e64 v12, 32, v35, s0
	v_add_co_u32 v28, s0, s12, v28
	v_add_co_ci_u32_e64 v29, s0, s13, v29, s0
	s_delay_alu instid0(TRANS32_DEP_1) | instskip(SKIP_1) | instid1(VALU_DEP_1)
	v_ldexp_f32 v10, v36, v10
	v_cmp_ngt_f32_e64 s0, 0xc2ce8ed0, v34
	v_cndmask_b32_e64 v10, 0, v10, s0
	s_waitcnt lgkmcnt(0)
	v_add_co_u32 v30, s0, s8, v30
	s_delay_alu instid0(VALU_DEP_1) | instskip(SKIP_1) | instid1(VALU_DEP_1)
	v_add_co_ci_u32_e64 v31, s0, s9, v31, s0
	v_cmp_nlt_f32_e64 s0, 0x42b17218, v34
	v_cndmask_b32_e64 v14, 0x7f800000, v10, s0
	v_add_co_u32 v32, s0, s10, v32
	s_delay_alu instid0(VALU_DEP_1)
	v_add_co_ci_u32_e64 v33, s0, s11, v33, s0
	global_store_b32 v[30:31], v12, off
	global_store_b32 v[28:29], v14, off
	;; [unrolled: 1-line block ×3, first 2 shown]
.LBB51_7:
	s_or_b32 exec_lo, exec_lo, s2
	v_ashrrev_i32_e32 v12, 31, v8
	s_mov_b32 s1, exec_lo
	s_delay_alu instid0(VALU_DEP_1) | instskip(NEXT) | instid1(VALU_DEP_1)
	v_lshrrev_b32_e32 v10, 29, v12
	v_add_nc_u32_e32 v10, v8, v10
	s_delay_alu instid0(VALU_DEP_1) | instskip(NEXT) | instid1(VALU_DEP_1)
	v_ashrrev_i32_e32 v10, 3, v10
	v_lshrrev_b32_e32 v28, 30, v10
	s_delay_alu instid0(VALU_DEP_1) | instskip(NEXT) | instid1(VALU_DEP_1)
	v_add_nc_u32_e32 v28, v10, v28
	v_and_b32_e32 v28, -4, v28
	s_delay_alu instid0(VALU_DEP_1) | instskip(NEXT) | instid1(VALU_DEP_1)
	v_sub_nc_u32_e32 v28, v10, v28
	v_cmpx_eq_u32_e64 v16, v28
	s_cbranch_execz .LBB51_9
; %bb.8:
	v_lshrrev_b32_e32 v12, 27, v12
	v_lshlrev_b32_e32 v10, 3, v10
	s_delay_alu instid0(VALU_DEP_2) | instskip(NEXT) | instid1(VALU_DEP_2)
	v_add_nc_u32_e32 v12, v8, v12
	v_sub_nc_u32_e32 v8, v8, v10
	s_delay_alu instid0(VALU_DEP_2) | instskip(NEXT) | instid1(VALU_DEP_1)
	v_ashrrev_i32_e32 v10, 5, v12
	v_lshl_add_u32 v8, v10, 3, v8
	s_delay_alu instid0(VALU_DEP_1) | instskip(NEXT) | instid1(VALU_DEP_1)
	v_cmp_ne_u32_e64 s0, 7, v8
	v_cndmask_b32_e64 v7, 0xff800000, v7, s0
	v_cmp_ne_u32_e64 s0, 6, v8
	s_delay_alu instid0(VALU_DEP_1) | instskip(SKIP_1) | instid1(VALU_DEP_1)
	v_cndmask_b32_e64 v6, 0xff800000, v6, s0
	v_cmp_ne_u32_e64 s0, 5, v8
	v_cndmask_b32_e64 v5, 0xff800000, v5, s0
	v_cmp_ne_u32_e64 s0, 4, v8
	s_delay_alu instid0(VALU_DEP_1) | instskip(SKIP_1) | instid1(VALU_DEP_1)
	v_cndmask_b32_e64 v4, 0xff800000, v4, s0
	;; [unrolled: 5-line block ×3, first 2 shown]
	v_cmp_ne_u32_e64 s0, 1, v8
	v_cndmask_b32_e64 v1, 0xff800000, v1, s0
	v_cmp_ne_u32_e64 s0, 0, v8
	s_delay_alu instid0(VALU_DEP_1)
	v_cndmask_b32_e64 v0, 0xff800000, v0, s0
.LBB51_9:
	s_or_b32 exec_lo, exec_lo, s1
	s_cmp_eq_u32 s4, 1
	s_cbranch_scc1 .LBB51_16
; %bb.10:
	s_add_i32 s18, s18, s16
	v_add_nc_u32_e32 v8, 1, v13
	v_add3_u32 v26, s18, v27, v26
	v_add_nc_u32_e32 v10, 1, v11
	v_add_nc_u32_e32 v12, 1, v9
	s_add_i32 s14, s4, -1
	s_branch .LBB51_12
.LBB51_11:                              ;   in Loop: Header=BB51_12 Depth=1
	s_or_b32 exec_lo, exec_lo, s1
	v_add_nc_u32_e32 v26, s16, v26
	v_add_nc_u32_e32 v8, 1, v8
	;; [unrolled: 1-line block ×4, first 2 shown]
	s_add_i32 s14, s14, -1
	s_delay_alu instid0(SALU_CYCLE_1)
	s_cmp_eq_u32 s14, 0
	s_cbranch_scc1 .LBB51_16
.LBB51_12:                              ; =>This Inner Loop Header: Depth=1
	v_cmp_gt_f32_e64 s0, v1, v0
	s_delay_alu instid0(VALU_DEP_1) | instskip(SKIP_1) | instid1(VALU_DEP_2)
	v_cndmask_b32_e64 v11, v0, v1, s0
	v_cndmask_b32_e64 v9, v17, v18, s0
	v_cmp_gt_f32_e64 s0, v2, v11
	s_delay_alu instid0(VALU_DEP_1) | instskip(NEXT) | instid1(VALU_DEP_3)
	v_cndmask_b32_e64 v11, v11, v2, s0
	v_cndmask_b32_e64 v9, v9, v19, s0
	s_delay_alu instid0(VALU_DEP_2) | instskip(NEXT) | instid1(VALU_DEP_1)
	v_cmp_gt_f32_e64 s0, v3, v11
	v_cndmask_b32_e64 v11, v11, v3, s0
	s_delay_alu instid0(VALU_DEP_3) | instskip(NEXT) | instid1(VALU_DEP_2)
	v_cndmask_b32_e64 v9, v9, v20, s0
	v_cmp_gt_f32_e64 s0, v4, v11
	s_delay_alu instid0(VALU_DEP_1) | instskip(NEXT) | instid1(VALU_DEP_3)
	v_cndmask_b32_e64 v11, v11, v4, s0
	v_cndmask_b32_e64 v9, v9, v21, s0
	s_delay_alu instid0(VALU_DEP_2) | instskip(NEXT) | instid1(VALU_DEP_1)
	v_cmp_gt_f32_e64 s0, v5, v11
	v_cndmask_b32_e64 v11, v11, v5, s0
	s_delay_alu instid0(VALU_DEP_3) | instskip(NEXT) | instid1(VALU_DEP_2)
	v_cndmask_b32_e64 v9, v9, v22, s0
	v_cmp_gt_f32_e64 s0, v6, v11
	s_delay_alu instid0(VALU_DEP_1) | instskip(NEXT) | instid1(VALU_DEP_3)
	v_cndmask_b32_e64 v11, v11, v6, s0
	v_cndmask_b32_e64 v9, v9, v23, s0
	s_delay_alu instid0(VALU_DEP_2) | instskip(NEXT) | instid1(VALU_DEP_1)
	v_cmp_gt_f32_e64 s0, v7, v11
	v_cndmask_b32_e64 v13, v9, v24, s0
	v_cndmask_b32_e64 v9, v11, v7, s0
	s_delay_alu instid0(VALU_DEP_2) | instskip(NEXT) | instid1(VALU_DEP_2)
	v_mov_b32_dpp v11, v13 quad_perm:[1,0,3,2] row_mask:0xf bank_mask:0xf
	v_mov_b32_dpp v27, v9 quad_perm:[1,0,3,2] row_mask:0xf bank_mask:0xf
	s_delay_alu instid0(VALU_DEP_2) | instskip(NEXT) | instid1(VALU_DEP_2)
	v_cmp_lt_i32_e64 s0, v11, v13
	v_cmp_eq_f32_e64 s1, v9, v27
	v_cmp_lt_f32_e64 s2, v9, v27
	s_delay_alu instid0(VALU_DEP_2)
	s_and_b32 s0, s1, s0
	s_delay_alu instid0(VALU_DEP_1) | instid1(SALU_CYCLE_1)
	s_or_b32 s0, s2, s0
	s_delay_alu instid0(SALU_CYCLE_1) | instskip(SKIP_1) | instid1(VALU_DEP_2)
	v_cndmask_b32_e64 v9, v9, v27, s0
	v_cndmask_b32_e64 v13, v13, v11, s0
	v_mov_b32_dpp v11, v9 quad_perm:[2,3,0,1] row_mask:0xf bank_mask:0xf
	s_delay_alu instid0(VALU_DEP_2) | instskip(NEXT) | instid1(VALU_DEP_2)
	v_mov_b32_dpp v27, v13 quad_perm:[2,3,0,1] row_mask:0xf bank_mask:0xf
	v_cmp_eq_f32_e64 s0, v9, v11
	s_delay_alu instid0(VALU_DEP_2) | instskip(SKIP_1) | instid1(VALU_DEP_2)
	v_cmp_lt_i32_e64 s1, v27, v13
	v_cmp_lt_f32_e64 s2, v9, v11
	s_and_b32 s0, s0, s1
	s_delay_alu instid0(VALU_DEP_1) | instid1(SALU_CYCLE_1)
	s_or_b32 s0, s2, s0
	s_delay_alu instid0(SALU_CYCLE_1)
	v_cndmask_b32_e64 v27, v13, v27, s0
	s_and_saveexec_b32 s2, vcc_lo
	s_cbranch_execz .LBB51_14
; %bb.13:                               ;   in Loop: Header=BB51_12 Depth=1
	v_cndmask_b32_e64 v9, v9, v11, s0
	s_delay_alu instid0(VALU_DEP_2) | instskip(SKIP_4) | instid1(VALU_DEP_4)
	v_cmp_le_i32_e64 s0, s5, v27
	v_cmp_gt_i32_e64 s1, s6, v27
	v_ashrrev_i32_e32 v13, 31, v12
	v_subrev_nc_u32_e32 v35, s5, v27
	v_sub_f32_e32 v34, v9, v25
	s_and_b32 s0, s0, s1
	s_delay_alu instid0(SALU_CYCLE_1) | instskip(NEXT) | instid1(VALU_DEP_1)
	s_and_b32 s0, s17, s0
	v_mul_f32_e32 v9, 0x3fb8aa3b, v34
	s_delay_alu instid0(VALU_DEP_1) | instskip(SKIP_1) | instid1(VALU_DEP_2)
	v_fma_f32 v11, 0x3fb8aa3b, v34, -v9
	v_rndne_f32_e32 v28, v9
	v_fmac_f32_e32 v11, 0x32a5705f, v34
	s_delay_alu instid0(VALU_DEP_2) | instskip(SKIP_2) | instid1(VALU_DEP_3)
	v_sub_f32_e32 v9, v9, v28
	v_cvt_i32_f32_e32 v33, v28
	v_lshlrev_b64 v[28:29], 2, v[12:13]
	v_add_f32_e32 v9, v9, v11
	v_ashrrev_i32_e32 v11, 31, v10
	s_delay_alu instid0(VALU_DEP_2) | instskip(SKIP_1) | instid1(VALU_DEP_2)
	v_exp_f32_e32 v32, v9
	v_ashrrev_i32_e32 v9, 31, v8
	v_lshlrev_b64 v[30:31], 2, v[10:11]
	s_waitcnt_depctr 0xfff
	v_ldexp_f32 v11, v32, v33
	v_lshlrev_b64 v[32:33], 2, v[8:9]
	v_cndmask_b32_e64 v9, 32, v35, s0
	v_cmp_ngt_f32_e64 s0, 0xc2ce8ed0, v34
	s_delay_alu instid0(VALU_DEP_1) | instskip(SKIP_1) | instid1(VALU_DEP_1)
	v_cndmask_b32_e64 v11, 0, v11, s0
	v_add_co_u32 v28, s0, s12, v28
	v_add_co_ci_u32_e64 v29, s0, s13, v29, s0
	v_cmp_nlt_f32_e64 s0, 0x42b17218, v34
	s_delay_alu instid0(VALU_DEP_1) | instskip(SKIP_2) | instid1(VALU_DEP_1)
	v_cndmask_b32_e64 v11, 0x7f800000, v11, s0
	s_waitcnt lgkmcnt(0)
	v_add_co_u32 v30, s0, s8, v30
	v_add_co_ci_u32_e64 v31, s0, s9, v31, s0
	s_delay_alu instid0(VALU_DEP_3) | instskip(SKIP_1) | instid1(VALU_DEP_1)
	v_add_f32_e32 v14, v14, v11
	v_add_co_u32 v32, s0, s10, v32
	v_add_co_ci_u32_e64 v33, s0, s11, v33, s0
	global_store_b32 v[28:29], v11, off
	global_store_b32 v[30:31], v9, off
	;; [unrolled: 1-line block ×3, first 2 shown]
.LBB51_14:                              ;   in Loop: Header=BB51_12 Depth=1
	s_or_b32 exec_lo, exec_lo, s2
	s_delay_alu instid0(VALU_DEP_1) | instskip(SKIP_1) | instid1(VALU_DEP_1)
	v_ashrrev_i32_e32 v11, 31, v27
	s_mov_b32 s1, exec_lo
	v_lshrrev_b32_e32 v9, 29, v11
	s_delay_alu instid0(VALU_DEP_1) | instskip(NEXT) | instid1(VALU_DEP_1)
	v_add_nc_u32_e32 v9, v27, v9
	v_ashrrev_i32_e32 v9, 3, v9
	s_delay_alu instid0(VALU_DEP_1) | instskip(NEXT) | instid1(VALU_DEP_1)
	v_lshrrev_b32_e32 v13, 30, v9
	v_add_nc_u32_e32 v13, v9, v13
	s_delay_alu instid0(VALU_DEP_1) | instskip(NEXT) | instid1(VALU_DEP_1)
	v_and_b32_e32 v13, -4, v13
	v_sub_nc_u32_e32 v13, v9, v13
	s_delay_alu instid0(VALU_DEP_1)
	v_cmpx_eq_u32_e64 v16, v13
	s_cbranch_execz .LBB51_11
; %bb.15:                               ;   in Loop: Header=BB51_12 Depth=1
	v_lshrrev_b32_e32 v11, 27, v11
	v_lshlrev_b32_e32 v9, 3, v9
	s_delay_alu instid0(VALU_DEP_2) | instskip(NEXT) | instid1(VALU_DEP_2)
	v_add_nc_u32_e32 v11, v27, v11
	v_sub_nc_u32_e32 v9, v27, v9
	s_delay_alu instid0(VALU_DEP_2) | instskip(NEXT) | instid1(VALU_DEP_1)
	v_ashrrev_i32_e32 v11, 5, v11
	v_lshl_add_u32 v9, v11, 3, v9
	s_delay_alu instid0(VALU_DEP_1) | instskip(NEXT) | instid1(VALU_DEP_1)
	v_cmp_ne_u32_e64 s0, 7, v9
	v_cndmask_b32_e64 v7, 0xff800000, v7, s0
	v_cmp_ne_u32_e64 s0, 6, v9
	s_delay_alu instid0(VALU_DEP_1) | instskip(SKIP_1) | instid1(VALU_DEP_1)
	v_cndmask_b32_e64 v6, 0xff800000, v6, s0
	v_cmp_ne_u32_e64 s0, 5, v9
	v_cndmask_b32_e64 v5, 0xff800000, v5, s0
	v_cmp_ne_u32_e64 s0, 4, v9
	s_delay_alu instid0(VALU_DEP_1) | instskip(SKIP_1) | instid1(VALU_DEP_1)
	v_cndmask_b32_e64 v4, 0xff800000, v4, s0
	;; [unrolled: 5-line block ×3, first 2 shown]
	v_cmp_ne_u32_e64 s0, 1, v9
	v_cndmask_b32_e64 v1, 0xff800000, v1, s0
	v_cmp_ne_u32_e64 s0, 0, v9
	s_delay_alu instid0(VALU_DEP_1)
	v_cndmask_b32_e64 v0, 0xff800000, v0, s0
	s_branch .LBB51_11
.LBB51_16:
	v_cmp_eq_u32_e32 vcc_lo, 0, v16
	v_cmp_neq_f32_e64 s0, 0, v14
	s_delay_alu instid0(VALU_DEP_1) | instskip(NEXT) | instid1(SALU_CYCLE_1)
	s_and_b32 s0, vcc_lo, s0
	s_and_b32 exec_lo, exec_lo, s0
	s_cbranch_execz .LBB51_20
; %bb.17:
	s_and_not1_b32 vcc_lo, exec_lo, s3
	s_cbranch_vccnz .LBB51_20
; %bb.18:
	v_div_scale_f32 v1, null, v14, v14, 1.0
	v_div_scale_f32 v3, vcc_lo, 1.0, v14, 1.0
	s_delay_alu instid0(VALU_DEP_2) | instskip(SKIP_2) | instid1(VALU_DEP_1)
	v_rcp_f32_e32 v2, v1
	s_waitcnt_depctr 0xfff
	v_fma_f32 v0, -v1, v2, 1.0
	v_fmac_f32_e32 v2, v0, v2
	v_mul_lo_u32 v0, v15, s7
	s_delay_alu instid0(VALU_DEP_2) | instskip(NEXT) | instid1(VALU_DEP_1)
	v_mul_f32_e32 v4, v3, v2
	v_fma_f32 v5, -v1, v4, v3
	s_delay_alu instid0(VALU_DEP_1) | instskip(NEXT) | instid1(VALU_DEP_1)
	v_fmac_f32_e32 v4, v5, v2
	v_fma_f32 v3, -v1, v4, v3
	v_ashrrev_i32_e32 v1, 31, v0
	s_delay_alu instid0(VALU_DEP_2) | instskip(NEXT) | instid1(VALU_DEP_2)
	v_div_fmas_f32 v2, v3, v2, v4
	v_lshlrev_b64 v[0:1], 2, v[0:1]
	s_delay_alu instid0(VALU_DEP_2) | instskip(NEXT) | instid1(VALU_DEP_2)
	v_div_fixup_f32 v2, v2, v14, 1.0
	v_add_co_u32 v0, vcc_lo, s12, v0
	s_delay_alu instid0(VALU_DEP_3)
	v_add_co_ci_u32_e32 v1, vcc_lo, s13, v1, vcc_lo
.LBB51_19:                              ; =>This Inner Loop Header: Depth=1
	global_load_b32 v3, v[0:1], off
	s_add_i32 s4, s4, -1
	s_delay_alu instid0(SALU_CYCLE_1)
	s_cmp_lg_u32 s4, 0
	s_waitcnt vmcnt(0)
	v_mul_f32_e32 v3, v2, v3
	global_store_b32 v[0:1], v3, off
	v_add_co_u32 v0, vcc_lo, v0, 4
	v_add_co_ci_u32_e32 v1, vcc_lo, 0, v1, vcc_lo
	s_cbranch_scc1 .LBB51_19
.LBB51_20:
	s_nop 0
	s_sendmsg sendmsg(MSG_DEALLOC_VGPRS)
	s_endpgm
	.section	.rodata,"a",@progbits
	.p2align	6, 0x0
	.amdhsa_kernel _ZN4vllm3moe17topkGatingSoftmaxIfLi8ELi32ELi8ELi32ELb1ELi0ELNS0_23SharedExpertScoringFuncE0EEEvPKT_PKbPfiPiS9_iiiiii
		.amdhsa_group_segment_fixed_size 0
		.amdhsa_private_segment_fixed_size 0
		.amdhsa_kernarg_size 72
		.amdhsa_user_sgpr_count 15
		.amdhsa_user_sgpr_dispatch_ptr 0
		.amdhsa_user_sgpr_queue_ptr 0
		.amdhsa_user_sgpr_kernarg_segment_ptr 1
		.amdhsa_user_sgpr_dispatch_id 0
		.amdhsa_user_sgpr_private_segment_size 0
		.amdhsa_wavefront_size32 1
		.amdhsa_uses_dynamic_stack 0
		.amdhsa_enable_private_segment 0
		.amdhsa_system_sgpr_workgroup_id_x 1
		.amdhsa_system_sgpr_workgroup_id_y 0
		.amdhsa_system_sgpr_workgroup_id_z 0
		.amdhsa_system_sgpr_workgroup_info 0
		.amdhsa_system_vgpr_workitem_id 1
		.amdhsa_next_free_vgpr 37
		.amdhsa_next_free_sgpr 19
		.amdhsa_reserve_vcc 1
		.amdhsa_float_round_mode_32 0
		.amdhsa_float_round_mode_16_64 0
		.amdhsa_float_denorm_mode_32 3
		.amdhsa_float_denorm_mode_16_64 3
		.amdhsa_dx10_clamp 1
		.amdhsa_ieee_mode 1
		.amdhsa_fp16_overflow 0
		.amdhsa_workgroup_processor_mode 1
		.amdhsa_memory_ordered 1
		.amdhsa_forward_progress 0
		.amdhsa_shared_vgpr_count 0
		.amdhsa_exception_fp_ieee_invalid_op 0
		.amdhsa_exception_fp_denorm_src 0
		.amdhsa_exception_fp_ieee_div_zero 0
		.amdhsa_exception_fp_ieee_overflow 0
		.amdhsa_exception_fp_ieee_underflow 0
		.amdhsa_exception_fp_ieee_inexact 0
		.amdhsa_exception_int_div_zero 0
	.end_amdhsa_kernel
	.section	.text._ZN4vllm3moe17topkGatingSoftmaxIfLi8ELi32ELi8ELi32ELb1ELi0ELNS0_23SharedExpertScoringFuncE0EEEvPKT_PKbPfiPiS9_iiiiii,"axG",@progbits,_ZN4vllm3moe17topkGatingSoftmaxIfLi8ELi32ELi8ELi32ELb1ELi0ELNS0_23SharedExpertScoringFuncE0EEEvPKT_PKbPfiPiS9_iiiiii,comdat
.Lfunc_end51:
	.size	_ZN4vllm3moe17topkGatingSoftmaxIfLi8ELi32ELi8ELi32ELb1ELi0ELNS0_23SharedExpertScoringFuncE0EEEvPKT_PKbPfiPiS9_iiiiii, .Lfunc_end51-_ZN4vllm3moe17topkGatingSoftmaxIfLi8ELi32ELi8ELi32ELb1ELi0ELNS0_23SharedExpertScoringFuncE0EEEvPKT_PKbPfiPiS9_iiiiii
                                        ; -- End function
	.section	.AMDGPU.csdata,"",@progbits
; Kernel info:
; codeLenInByte = 2472
; NumSgprs: 21
; NumVgprs: 37
; ScratchSize: 0
; MemoryBound: 0
; FloatMode: 240
; IeeeMode: 1
; LDSByteSize: 0 bytes/workgroup (compile time only)
; SGPRBlocks: 2
; VGPRBlocks: 4
; NumSGPRsForWavesPerEU: 21
; NumVGPRsForWavesPerEU: 37
; Occupancy: 16
; WaveLimiterHint : 0
; COMPUTE_PGM_RSRC2:SCRATCH_EN: 0
; COMPUTE_PGM_RSRC2:USER_SGPR: 15
; COMPUTE_PGM_RSRC2:TRAP_HANDLER: 0
; COMPUTE_PGM_RSRC2:TGID_X_EN: 1
; COMPUTE_PGM_RSRC2:TGID_Y_EN: 0
; COMPUTE_PGM_RSRC2:TGID_Z_EN: 0
; COMPUTE_PGM_RSRC2:TIDIG_COMP_CNT: 1
	.section	.text._ZN4vllm3moe17topkGatingSoftmaxIfLi8ELi32ELi8ELi32ELb0ELi0ELNS0_23SharedExpertScoringFuncE0EEEvPKT_PKbPfiPiS9_iiiiii,"axG",@progbits,_ZN4vllm3moe17topkGatingSoftmaxIfLi8ELi32ELi8ELi32ELb0ELi0ELNS0_23SharedExpertScoringFuncE0EEEvPKT_PKbPfiPiS9_iiiiii,comdat
	.protected	_ZN4vllm3moe17topkGatingSoftmaxIfLi8ELi32ELi8ELi32ELb0ELi0ELNS0_23SharedExpertScoringFuncE0EEEvPKT_PKbPfiPiS9_iiiiii ; -- Begin function _ZN4vllm3moe17topkGatingSoftmaxIfLi8ELi32ELi8ELi32ELb0ELi0ELNS0_23SharedExpertScoringFuncE0EEEvPKT_PKbPfiPiS9_iiiiii
	.globl	_ZN4vllm3moe17topkGatingSoftmaxIfLi8ELi32ELi8ELi32ELb0ELi0ELNS0_23SharedExpertScoringFuncE0EEEvPKT_PKbPfiPiS9_iiiiii
	.p2align	8
	.type	_ZN4vllm3moe17topkGatingSoftmaxIfLi8ELi32ELi8ELi32ELb0ELi0ELNS0_23SharedExpertScoringFuncE0EEEvPKT_PKbPfiPiS9_iiiiii,@function
_ZN4vllm3moe17topkGatingSoftmaxIfLi8ELi32ELi8ELi32ELb0ELi0ELNS0_23SharedExpertScoringFuncE0EEEvPKT_PKbPfiPiS9_iiiiii: ; @_ZN4vllm3moe17topkGatingSoftmaxIfLi8ELi32ELi8ELi32ELb0ELi0ELNS0_23SharedExpertScoringFuncE0EEEvPKT_PKbPfiPiS9_iiiiii
; %bb.0:
	s_load_b32 s16, s[0:1], 0x18
	v_bfe_u32 v1, v0, 10, 10
	v_and_b32_e32 v0, 0x3ff, v0
	s_lshl_b32 s18, s15, 6
	s_mov_b32 s2, exec_lo
	s_delay_alu instid0(VALU_DEP_2) | instskip(NEXT) | instid1(VALU_DEP_2)
	v_lshlrev_b32_e32 v26, 3, v1
	v_lshrrev_b32_e32 v27, 2, v0
	s_delay_alu instid0(VALU_DEP_1) | instskip(SKIP_1) | instid1(VALU_DEP_1)
	v_add3_u32 v15, s18, v26, v27
	s_waitcnt lgkmcnt(0)
	v_cmpx_gt_i32_e64 s16, v15
	s_cbranch_execz .LBB52_21
; %bb.1:
	s_clause 0x1
	s_load_b128 s[4:7], s[0:1], 0x0
	s_load_b64 s[12:13], s[0:1], 0x10
	s_waitcnt lgkmcnt(0)
	s_cmp_eq_u64 s[6:7], 0
	s_cbranch_scc1 .LBB52_3
; %bb.2:
	v_ashrrev_i32_e32 v2, 31, v15
	v_add_co_u32 v1, vcc_lo, s6, v15
	s_delay_alu instid0(VALU_DEP_2) | instskip(SKIP_3) | instid1(VALU_DEP_1)
	v_add_co_ci_u32_e32 v2, vcc_lo, s7, v2, vcc_lo
	global_load_u8 v1, v[1:2], off
	s_waitcnt vmcnt(0)
	v_and_b32_e32 v1, 1, v1
	v_cmp_eq_u32_e32 vcc_lo, 1, v1
	s_xor_b32 s2, vcc_lo, -1
	s_delay_alu instid0(SALU_CYCLE_1)
	s_or_not1_b32 s17, s2, exec_lo
	s_branch .LBB52_4
.LBB52_3:
	s_mov_b32 s17, -1
.LBB52_4:
	s_load_b64 s[14:15], s[0:1], 0x40
	v_and_b32_e32 v16, 3, v0
	v_mov_b32_e32 v14, 0
	s_waitcnt lgkmcnt(0)
	v_mul_lo_u32 v1, v15, s15
	s_delay_alu instid0(VALU_DEP_1) | instskip(NEXT) | instid1(VALU_DEP_1)
	v_ashrrev_i32_e32 v2, 31, v1
	v_lshlrev_b64 v[0:1], 2, v[1:2]
	v_lshlrev_b32_e32 v2, 5, v16
	s_delay_alu instid0(VALU_DEP_2) | instskip(NEXT) | instid1(VALU_DEP_3)
	v_add_co_u32 v0, vcc_lo, s4, v0
	v_add_co_ci_u32_e32 v1, vcc_lo, s5, v1, vcc_lo
	s_load_b128 s[4:7], s[0:1], 0x30
	s_delay_alu instid0(VALU_DEP_2) | instskip(NEXT) | instid1(VALU_DEP_2)
	v_add_co_u32 v0, vcc_lo, v0, v2
	v_add_co_ci_u32_e32 v1, vcc_lo, 0, v1, vcc_lo
	s_clause 0x1
	global_load_b128 v[4:7], v[0:1], off
	global_load_b128 v[0:3], v[0:1], off offset:16
	s_waitcnt vmcnt(1)
	v_cmp_lt_f32_e32 vcc_lo, v4, v5
	v_dual_cndmask_b32 v9, v4, v5 :: v_dual_lshlrev_b32 v18, 3, v16
	s_delay_alu instid0(VALU_DEP_1) | instskip(SKIP_1) | instid1(VALU_DEP_2)
	v_or_b32_e32 v19, 1, v18
	v_or_b32_e32 v20, 2, v18
	v_cndmask_b32_e32 v8, v18, v19, vcc_lo
	s_delay_alu instid0(VALU_DEP_4) | instskip(NEXT) | instid1(VALU_DEP_2)
	v_cmp_lt_f32_e32 vcc_lo, v9, v6
	v_dual_cndmask_b32 v9, v9, v6 :: v_dual_cndmask_b32 v8, v8, v20
	s_delay_alu instid0(VALU_DEP_1)
	v_cmp_lt_f32_e32 vcc_lo, v9, v7
	v_cndmask_b32_e32 v9, v9, v7, vcc_lo
	v_or_b32_e32 v21, 3, v18
	v_or_b32_e32 v22, 4, v18
	;; [unrolled: 1-line block ×5, first 2 shown]
	v_cndmask_b32_e32 v8, v8, v21, vcc_lo
	s_waitcnt vmcnt(0)
	v_cmp_lt_f32_e32 vcc_lo, v9, v0
	s_delay_alu instid0(VALU_DEP_2) | instskip(NEXT) | instid1(VALU_DEP_1)
	v_dual_cndmask_b32 v9, v9, v0 :: v_dual_cndmask_b32 v8, v8, v22
	v_cmp_lt_f32_e32 vcc_lo, v9, v1
	s_delay_alu instid0(VALU_DEP_2) | instskip(NEXT) | instid1(VALU_DEP_1)
	v_dual_cndmask_b32 v9, v9, v1 :: v_dual_cndmask_b32 v8, v8, v23
	;; [unrolled: 3-line block ×4, first 2 shown]
	v_mov_b32_dpp v10, v8 quad_perm:[1,0,3,2] row_mask:0xf bank_mask:0xf
	s_delay_alu instid0(VALU_DEP_2) | instskip(NEXT) | instid1(VALU_DEP_2)
	v_mov_b32_dpp v11, v9 quad_perm:[1,0,3,2] row_mask:0xf bank_mask:0xf
	v_cmp_lt_i32_e32 vcc_lo, v10, v8
	s_delay_alu instid0(VALU_DEP_2) | instskip(SKIP_1) | instid1(VALU_DEP_2)
	v_cmp_eq_f32_e64 s2, v9, v11
	v_cmp_lt_f32_e64 s3, v9, v11
	s_and_b32 s2, s2, vcc_lo
	s_delay_alu instid0(VALU_DEP_1) | instid1(SALU_CYCLE_1)
	s_or_b32 vcc_lo, s3, s2
	v_dual_cndmask_b32 v9, v9, v11 :: v_dual_cndmask_b32 v8, v8, v10
	s_delay_alu instid0(VALU_DEP_1) | instskip(NEXT) | instid1(VALU_DEP_2)
	v_mov_b32_dpp v11, v9 quad_perm:[2,3,0,1] row_mask:0xf bank_mask:0xf
	v_mov_b32_dpp v10, v8 quad_perm:[2,3,0,1] row_mask:0xf bank_mask:0xf
	s_delay_alu instid0(VALU_DEP_2) | instskip(NEXT) | instid1(VALU_DEP_2)
	v_cmp_eq_f32_e32 vcc_lo, v9, v11
	v_cmp_lt_i32_e64 s2, v10, v8
	v_cmp_lt_f32_e64 s3, v9, v11
	s_delay_alu instid0(VALU_DEP_2) | instskip(SKIP_1) | instid1(VALU_DEP_2)
	s_and_b32 s2, vcc_lo, s2
	v_cmp_eq_u32_e32 vcc_lo, 0, v16
	s_or_b32 s2, s3, s2
	s_waitcnt lgkmcnt(0)
	s_cmp_gt_i32 s4, 0
	v_cndmask_b32_e64 v17, v9, v11, s2
	s_cselect_b32 s3, -1, 0
	s_cmp_lt_i32 s4, 1
	s_cbranch_scc1 .LBB52_16
; %bb.5:
	s_load_b128 s[8:11], s[0:1], 0x20
	v_mul_lo_u32 v9, v15, s7
	v_mul_lo_u32 v11, v15, s14
	;; [unrolled: 1-line block ×3, first 2 shown]
	v_cndmask_b32_e64 v8, v8, v10, s2
	v_mov_b32_e32 v14, 0
	s_and_saveexec_b32 s2, vcc_lo
	s_cbranch_execz .LBB52_7
; %bb.6:
	v_sub_f32_e32 v34, v17, v17
	v_cmp_le_i32_e64 s0, s5, v8
	v_cmp_gt_i32_e64 s1, s6, v8
	v_subrev_nc_u32_e32 v35, s5, v8
	v_ashrrev_i32_e32 v14, 31, v13
	v_mul_f32_e32 v10, 0x3fb8aa3b, v34
	s_delay_alu instid0(VALU_DEP_4) | instskip(NEXT) | instid1(SALU_CYCLE_1)
	s_and_b32 s0, s0, s1
	s_and_b32 s0, s17, s0
	s_delay_alu instid0(VALU_DEP_1) | instskip(SKIP_2) | instid1(VALU_DEP_3)
	v_rndne_f32_e32 v30, v10
	v_fma_f32 v12, 0x3fb8aa3b, v34, -v10
	v_lshlrev_b64 v[32:33], 2, v[13:14]
	v_sub_f32_e32 v10, v10, v30
	s_delay_alu instid0(VALU_DEP_3) | instskip(NEXT) | instid1(VALU_DEP_1)
	v_fmamk_f32 v12, v34, 0x32a5705f, v12
	v_add_f32_e32 v12, v10, v12
	v_ashrrev_i32_e32 v10, 31, v9
	s_delay_alu instid0(VALU_DEP_2) | instskip(NEXT) | instid1(VALU_DEP_1)
	v_exp_f32_e32 v36, v12
	v_lshlrev_b64 v[28:29], 2, v[9:10]
	v_ashrrev_i32_e32 v12, 31, v11
	v_cvt_i32_f32_e32 v10, v30
	s_delay_alu instid0(VALU_DEP_2) | instskip(SKIP_2) | instid1(VALU_DEP_1)
	v_lshlrev_b64 v[30:31], 2, v[11:12]
	v_cndmask_b32_e64 v12, 32, v35, s0
	v_add_co_u32 v28, s0, s12, v28
	v_add_co_ci_u32_e64 v29, s0, s13, v29, s0
	s_delay_alu instid0(TRANS32_DEP_1) | instskip(SKIP_1) | instid1(VALU_DEP_1)
	v_ldexp_f32 v10, v36, v10
	v_cmp_ngt_f32_e64 s0, 0xc2ce8ed0, v34
	v_cndmask_b32_e64 v10, 0, v10, s0
	s_waitcnt lgkmcnt(0)
	v_add_co_u32 v30, s0, s8, v30
	s_delay_alu instid0(VALU_DEP_1) | instskip(SKIP_1) | instid1(VALU_DEP_1)
	v_add_co_ci_u32_e64 v31, s0, s9, v31, s0
	v_cmp_nlt_f32_e64 s0, 0x42b17218, v34
	v_cndmask_b32_e64 v14, 0x7f800000, v10, s0
	v_add_co_u32 v32, s0, s10, v32
	s_delay_alu instid0(VALU_DEP_1)
	v_add_co_ci_u32_e64 v33, s0, s11, v33, s0
	global_store_b32 v[30:31], v12, off
	global_store_b32 v[28:29], v14, off
	;; [unrolled: 1-line block ×3, first 2 shown]
.LBB52_7:
	s_or_b32 exec_lo, exec_lo, s2
	v_ashrrev_i32_e32 v12, 31, v8
	s_mov_b32 s1, exec_lo
	s_delay_alu instid0(VALU_DEP_1) | instskip(NEXT) | instid1(VALU_DEP_1)
	v_lshrrev_b32_e32 v10, 29, v12
	v_add_nc_u32_e32 v10, v8, v10
	s_delay_alu instid0(VALU_DEP_1) | instskip(NEXT) | instid1(VALU_DEP_1)
	v_ashrrev_i32_e32 v10, 3, v10
	v_lshrrev_b32_e32 v28, 30, v10
	s_delay_alu instid0(VALU_DEP_1) | instskip(NEXT) | instid1(VALU_DEP_1)
	v_add_nc_u32_e32 v28, v10, v28
	v_and_b32_e32 v28, -4, v28
	s_delay_alu instid0(VALU_DEP_1) | instskip(NEXT) | instid1(VALU_DEP_1)
	v_sub_nc_u32_e32 v28, v10, v28
	v_cmpx_eq_u32_e64 v16, v28
	s_cbranch_execz .LBB52_9
; %bb.8:
	v_lshrrev_b32_e32 v12, 27, v12
	v_lshlrev_b32_e32 v10, 3, v10
	s_delay_alu instid0(VALU_DEP_2) | instskip(NEXT) | instid1(VALU_DEP_2)
	v_add_nc_u32_e32 v12, v8, v12
	v_sub_nc_u32_e32 v8, v8, v10
	s_delay_alu instid0(VALU_DEP_2) | instskip(NEXT) | instid1(VALU_DEP_1)
	v_ashrrev_i32_e32 v10, 5, v12
	v_lshl_add_u32 v8, v10, 3, v8
	s_delay_alu instid0(VALU_DEP_1) | instskip(NEXT) | instid1(VALU_DEP_1)
	v_cmp_ne_u32_e64 s0, 7, v8
	v_cndmask_b32_e64 v3, 0xff800000, v3, s0
	v_cmp_ne_u32_e64 s0, 6, v8
	s_delay_alu instid0(VALU_DEP_1) | instskip(SKIP_1) | instid1(VALU_DEP_1)
	v_cndmask_b32_e64 v2, 0xff800000, v2, s0
	v_cmp_ne_u32_e64 s0, 5, v8
	v_cndmask_b32_e64 v1, 0xff800000, v1, s0
	v_cmp_ne_u32_e64 s0, 4, v8
	s_delay_alu instid0(VALU_DEP_1) | instskip(SKIP_1) | instid1(VALU_DEP_1)
	v_cndmask_b32_e64 v0, 0xff800000, v0, s0
	;; [unrolled: 5-line block ×3, first 2 shown]
	v_cmp_ne_u32_e64 s0, 1, v8
	v_cndmask_b32_e64 v5, 0xff800000, v5, s0
	v_cmp_ne_u32_e64 s0, 0, v8
	s_delay_alu instid0(VALU_DEP_1)
	v_cndmask_b32_e64 v4, 0xff800000, v4, s0
.LBB52_9:
	s_or_b32 exec_lo, exec_lo, s1
	s_cmp_eq_u32 s4, 1
	s_cbranch_scc1 .LBB52_16
; %bb.10:
	s_add_i32 s18, s18, s16
	v_add_nc_u32_e32 v8, 1, v13
	v_add3_u32 v26, s18, v27, v26
	v_add_nc_u32_e32 v10, 1, v11
	v_add_nc_u32_e32 v12, 1, v9
	s_add_i32 s14, s4, -1
	s_branch .LBB52_12
.LBB52_11:                              ;   in Loop: Header=BB52_12 Depth=1
	s_or_b32 exec_lo, exec_lo, s1
	v_add_nc_u32_e32 v26, s16, v26
	v_add_nc_u32_e32 v8, 1, v8
	;; [unrolled: 1-line block ×4, first 2 shown]
	s_add_i32 s14, s14, -1
	s_delay_alu instid0(SALU_CYCLE_1)
	s_cmp_eq_u32 s14, 0
	s_cbranch_scc1 .LBB52_16
.LBB52_12:                              ; =>This Inner Loop Header: Depth=1
	v_cmp_gt_f32_e64 s0, v5, v4
	s_delay_alu instid0(VALU_DEP_1) | instskip(SKIP_1) | instid1(VALU_DEP_2)
	v_cndmask_b32_e64 v11, v4, v5, s0
	v_cndmask_b32_e64 v9, v18, v19, s0
	v_cmp_gt_f32_e64 s0, v6, v11
	s_delay_alu instid0(VALU_DEP_1) | instskip(NEXT) | instid1(VALU_DEP_3)
	v_cndmask_b32_e64 v11, v11, v6, s0
	v_cndmask_b32_e64 v9, v9, v20, s0
	s_delay_alu instid0(VALU_DEP_2) | instskip(NEXT) | instid1(VALU_DEP_1)
	v_cmp_gt_f32_e64 s0, v7, v11
	v_cndmask_b32_e64 v11, v11, v7, s0
	s_delay_alu instid0(VALU_DEP_3) | instskip(NEXT) | instid1(VALU_DEP_2)
	v_cndmask_b32_e64 v9, v9, v21, s0
	v_cmp_gt_f32_e64 s0, v0, v11
	s_delay_alu instid0(VALU_DEP_1) | instskip(NEXT) | instid1(VALU_DEP_3)
	v_cndmask_b32_e64 v11, v11, v0, s0
	v_cndmask_b32_e64 v9, v9, v22, s0
	s_delay_alu instid0(VALU_DEP_2) | instskip(NEXT) | instid1(VALU_DEP_1)
	v_cmp_gt_f32_e64 s0, v1, v11
	v_cndmask_b32_e64 v11, v11, v1, s0
	s_delay_alu instid0(VALU_DEP_3) | instskip(NEXT) | instid1(VALU_DEP_2)
	v_cndmask_b32_e64 v9, v9, v23, s0
	v_cmp_gt_f32_e64 s0, v2, v11
	s_delay_alu instid0(VALU_DEP_1) | instskip(NEXT) | instid1(VALU_DEP_3)
	v_cndmask_b32_e64 v11, v11, v2, s0
	v_cndmask_b32_e64 v9, v9, v24, s0
	s_delay_alu instid0(VALU_DEP_2) | instskip(NEXT) | instid1(VALU_DEP_1)
	v_cmp_gt_f32_e64 s0, v3, v11
	v_cndmask_b32_e64 v13, v9, v25, s0
	v_cndmask_b32_e64 v9, v11, v3, s0
	s_delay_alu instid0(VALU_DEP_2) | instskip(NEXT) | instid1(VALU_DEP_2)
	v_mov_b32_dpp v11, v13 quad_perm:[1,0,3,2] row_mask:0xf bank_mask:0xf
	v_mov_b32_dpp v27, v9 quad_perm:[1,0,3,2] row_mask:0xf bank_mask:0xf
	s_delay_alu instid0(VALU_DEP_2) | instskip(NEXT) | instid1(VALU_DEP_2)
	v_cmp_lt_i32_e64 s0, v11, v13
	v_cmp_eq_f32_e64 s1, v9, v27
	v_cmp_lt_f32_e64 s2, v9, v27
	s_delay_alu instid0(VALU_DEP_2)
	s_and_b32 s0, s1, s0
	s_delay_alu instid0(VALU_DEP_1) | instid1(SALU_CYCLE_1)
	s_or_b32 s0, s2, s0
	s_delay_alu instid0(SALU_CYCLE_1) | instskip(SKIP_1) | instid1(VALU_DEP_2)
	v_cndmask_b32_e64 v9, v9, v27, s0
	v_cndmask_b32_e64 v13, v13, v11, s0
	v_mov_b32_dpp v11, v9 quad_perm:[2,3,0,1] row_mask:0xf bank_mask:0xf
	s_delay_alu instid0(VALU_DEP_2) | instskip(NEXT) | instid1(VALU_DEP_2)
	v_mov_b32_dpp v27, v13 quad_perm:[2,3,0,1] row_mask:0xf bank_mask:0xf
	v_cmp_eq_f32_e64 s0, v9, v11
	s_delay_alu instid0(VALU_DEP_2) | instskip(SKIP_1) | instid1(VALU_DEP_2)
	v_cmp_lt_i32_e64 s1, v27, v13
	v_cmp_lt_f32_e64 s2, v9, v11
	s_and_b32 s0, s0, s1
	s_delay_alu instid0(VALU_DEP_1) | instid1(SALU_CYCLE_1)
	s_or_b32 s0, s2, s0
	s_delay_alu instid0(SALU_CYCLE_1)
	v_cndmask_b32_e64 v27, v13, v27, s0
	s_and_saveexec_b32 s2, vcc_lo
	s_cbranch_execz .LBB52_14
; %bb.13:                               ;   in Loop: Header=BB52_12 Depth=1
	v_cndmask_b32_e64 v9, v9, v11, s0
	s_delay_alu instid0(VALU_DEP_2) | instskip(SKIP_4) | instid1(VALU_DEP_4)
	v_cmp_le_i32_e64 s0, s5, v27
	v_cmp_gt_i32_e64 s1, s6, v27
	v_ashrrev_i32_e32 v13, 31, v12
	v_subrev_nc_u32_e32 v35, s5, v27
	v_sub_f32_e32 v34, v9, v17
	s_and_b32 s0, s0, s1
	s_delay_alu instid0(SALU_CYCLE_1) | instskip(NEXT) | instid1(VALU_DEP_1)
	s_and_b32 s0, s17, s0
	v_mul_f32_e32 v9, 0x3fb8aa3b, v34
	s_delay_alu instid0(VALU_DEP_1) | instskip(SKIP_1) | instid1(VALU_DEP_2)
	v_fma_f32 v11, 0x3fb8aa3b, v34, -v9
	v_rndne_f32_e32 v28, v9
	v_fmac_f32_e32 v11, 0x32a5705f, v34
	s_delay_alu instid0(VALU_DEP_2) | instskip(SKIP_2) | instid1(VALU_DEP_3)
	v_sub_f32_e32 v9, v9, v28
	v_cvt_i32_f32_e32 v33, v28
	v_lshlrev_b64 v[28:29], 2, v[12:13]
	v_add_f32_e32 v9, v9, v11
	v_ashrrev_i32_e32 v11, 31, v10
	s_delay_alu instid0(VALU_DEP_2) | instskip(SKIP_1) | instid1(VALU_DEP_2)
	v_exp_f32_e32 v32, v9
	v_ashrrev_i32_e32 v9, 31, v8
	v_lshlrev_b64 v[30:31], 2, v[10:11]
	s_waitcnt_depctr 0xfff
	v_ldexp_f32 v11, v32, v33
	v_lshlrev_b64 v[32:33], 2, v[8:9]
	v_cndmask_b32_e64 v9, 32, v35, s0
	v_cmp_ngt_f32_e64 s0, 0xc2ce8ed0, v34
	s_delay_alu instid0(VALU_DEP_1) | instskip(SKIP_1) | instid1(VALU_DEP_1)
	v_cndmask_b32_e64 v11, 0, v11, s0
	v_add_co_u32 v28, s0, s12, v28
	v_add_co_ci_u32_e64 v29, s0, s13, v29, s0
	v_cmp_nlt_f32_e64 s0, 0x42b17218, v34
	s_delay_alu instid0(VALU_DEP_1) | instskip(SKIP_2) | instid1(VALU_DEP_1)
	v_cndmask_b32_e64 v11, 0x7f800000, v11, s0
	s_waitcnt lgkmcnt(0)
	v_add_co_u32 v30, s0, s8, v30
	v_add_co_ci_u32_e64 v31, s0, s9, v31, s0
	s_delay_alu instid0(VALU_DEP_3) | instskip(SKIP_1) | instid1(VALU_DEP_1)
	v_add_f32_e32 v14, v14, v11
	v_add_co_u32 v32, s0, s10, v32
	v_add_co_ci_u32_e64 v33, s0, s11, v33, s0
	global_store_b32 v[28:29], v11, off
	global_store_b32 v[30:31], v9, off
	;; [unrolled: 1-line block ×3, first 2 shown]
.LBB52_14:                              ;   in Loop: Header=BB52_12 Depth=1
	s_or_b32 exec_lo, exec_lo, s2
	s_delay_alu instid0(VALU_DEP_1) | instskip(SKIP_1) | instid1(VALU_DEP_1)
	v_ashrrev_i32_e32 v11, 31, v27
	s_mov_b32 s1, exec_lo
	v_lshrrev_b32_e32 v9, 29, v11
	s_delay_alu instid0(VALU_DEP_1) | instskip(NEXT) | instid1(VALU_DEP_1)
	v_add_nc_u32_e32 v9, v27, v9
	v_ashrrev_i32_e32 v9, 3, v9
	s_delay_alu instid0(VALU_DEP_1) | instskip(NEXT) | instid1(VALU_DEP_1)
	v_lshrrev_b32_e32 v13, 30, v9
	v_add_nc_u32_e32 v13, v9, v13
	s_delay_alu instid0(VALU_DEP_1) | instskip(NEXT) | instid1(VALU_DEP_1)
	v_and_b32_e32 v13, -4, v13
	v_sub_nc_u32_e32 v13, v9, v13
	s_delay_alu instid0(VALU_DEP_1)
	v_cmpx_eq_u32_e64 v16, v13
	s_cbranch_execz .LBB52_11
; %bb.15:                               ;   in Loop: Header=BB52_12 Depth=1
	v_lshrrev_b32_e32 v11, 27, v11
	v_lshlrev_b32_e32 v9, 3, v9
	s_delay_alu instid0(VALU_DEP_2) | instskip(NEXT) | instid1(VALU_DEP_2)
	v_add_nc_u32_e32 v11, v27, v11
	v_sub_nc_u32_e32 v9, v27, v9
	s_delay_alu instid0(VALU_DEP_2) | instskip(NEXT) | instid1(VALU_DEP_1)
	v_ashrrev_i32_e32 v11, 5, v11
	v_lshl_add_u32 v9, v11, 3, v9
	s_delay_alu instid0(VALU_DEP_1) | instskip(NEXT) | instid1(VALU_DEP_1)
	v_cmp_ne_u32_e64 s0, 7, v9
	v_cndmask_b32_e64 v3, 0xff800000, v3, s0
	v_cmp_ne_u32_e64 s0, 6, v9
	s_delay_alu instid0(VALU_DEP_1) | instskip(SKIP_1) | instid1(VALU_DEP_1)
	v_cndmask_b32_e64 v2, 0xff800000, v2, s0
	v_cmp_ne_u32_e64 s0, 5, v9
	v_cndmask_b32_e64 v1, 0xff800000, v1, s0
	v_cmp_ne_u32_e64 s0, 4, v9
	s_delay_alu instid0(VALU_DEP_1) | instskip(SKIP_1) | instid1(VALU_DEP_1)
	v_cndmask_b32_e64 v0, 0xff800000, v0, s0
	;; [unrolled: 5-line block ×3, first 2 shown]
	v_cmp_ne_u32_e64 s0, 1, v9
	v_cndmask_b32_e64 v5, 0xff800000, v5, s0
	v_cmp_ne_u32_e64 s0, 0, v9
	s_delay_alu instid0(VALU_DEP_1)
	v_cndmask_b32_e64 v4, 0xff800000, v4, s0
	s_branch .LBB52_11
.LBB52_16:
	s_delay_alu instid0(VALU_DEP_1)
	v_sub_f32_e32 v7, v7, v17
	v_sub_f32_e32 v4, v4, v17
	;; [unrolled: 1-line block ×5, first 2 shown]
	v_mul_f32_e32 v11, 0x3fb8aa3b, v7
	v_dual_sub_f32 v5, v5, v17 :: v_dual_mul_f32 v8, 0x3fb8aa3b, v4
	v_cmp_ngt_f32_e32 vcc_lo, 0xc2ce8ed0, v4
	v_sub_f32_e32 v3, v3, v17
	s_delay_alu instid0(VALU_DEP_4) | instskip(NEXT) | instid1(VALU_DEP_4)
	v_rndne_f32_e32 v23, v11
	v_fma_f32 v12, 0x3fb8aa3b, v4, -v8
	v_rndne_f32_e32 v13, v8
	s_delay_alu instid0(VALU_DEP_2) | instskip(NEXT) | instid1(VALU_DEP_2)
	v_fmac_f32_e32 v12, 0x32a5705f, v4
	v_sub_f32_e32 v8, v8, v13
	s_delay_alu instid0(VALU_DEP_1) | instskip(NEXT) | instid1(VALU_DEP_1)
	v_dual_mul_f32 v9, 0x3fb8aa3b, v5 :: v_dual_add_f32 v8, v8, v12
	v_rndne_f32_e32 v19, v9
	v_sub_f32_e32 v6, v6, v17
	v_fma_f32 v18, 0x3fb8aa3b, v5, -v9
	v_cvt_i32_f32_e32 v12, v13
	v_exp_f32_e32 v8, v8
	s_delay_alu instid0(VALU_DEP_3) | instskip(SKIP_3) | instid1(VALU_DEP_4)
	v_dual_sub_f32 v9, v9, v19 :: v_dual_mul_f32 v10, 0x3fb8aa3b, v6
	v_fma_f32 v22, 0x3fb8aa3b, v7, -v11
	v_sub_f32_e32 v11, v11, v23
	v_cvt_i32_f32_e32 v13, v19
	v_fma_f32 v20, 0x3fb8aa3b, v6, -v10
	s_delay_alu instid0(VALU_DEP_4) | instskip(SKIP_1) | instid1(TRANS32_DEP_1)
	v_fmac_f32_e32 v22, 0x32a5705f, v7
	v_fmac_f32_e32 v18, 0x32a5705f, v5
	v_ldexp_f32 v8, v8, v12
	v_rndne_f32_e32 v21, v10
	s_delay_alu instid0(VALU_DEP_4) | instskip(NEXT) | instid1(VALU_DEP_3)
	v_add_f32_e32 v11, v11, v22
	v_dual_add_f32 v9, v9, v18 :: v_dual_cndmask_b32 v8, 0, v8
	v_cmp_ngt_f32_e32 vcc_lo, 0xc2ce8ed0, v5
	s_delay_alu instid0(VALU_DEP_4) | instskip(SKIP_1) | instid1(VALU_DEP_4)
	v_sub_f32_e32 v10, v10, v21
	v_cvt_i32_f32_e32 v12, v21
	v_exp_f32_e32 v9, v9
	v_exp_f32_e32 v11, v11
	s_waitcnt_depctr 0xfff
	v_ldexp_f32 v9, v9, v13
	v_fmac_f32_e32 v20, 0x32a5705f, v6
	v_mul_f32_e32 v13, 0x3fb8aa3b, v3
	s_delay_alu instid0(VALU_DEP_3) | instskip(SKIP_1) | instid1(VALU_DEP_3)
	v_cndmask_b32_e32 v9, 0, v9, vcc_lo
	v_cmp_nlt_f32_e32 vcc_lo, 0x42b17218, v4
	v_rndne_f32_e32 v17, v13
	v_cndmask_b32_e32 v4, 0x7f800000, v8, vcc_lo
	v_cmp_nlt_f32_e32 vcc_lo, 0x42b17218, v5
	v_dual_add_f32 v10, v10, v20 :: v_dual_cndmask_b32 v5, 0x7f800000, v9
	s_delay_alu instid0(VALU_DEP_1) | instskip(SKIP_2) | instid1(VALU_DEP_3)
	v_exp_f32_e32 v10, v10
	v_cmp_ngt_f32_e32 vcc_lo, 0xc2ce8ed0, v6
	v_cvt_i32_f32_e32 v9, v23
	v_add_f32_e32 v4, v4, v5
	s_waitcnt_depctr 0xfff
	v_ldexp_f32 v10, v10, v12
	s_delay_alu instid0(VALU_DEP_1) | instskip(SKIP_2) | instid1(VALU_DEP_3)
	v_cndmask_b32_e32 v8, 0, v10, vcc_lo
	v_cmp_nlt_f32_e32 vcc_lo, 0x42b17218, v6
	v_mul_f32_e32 v10, 0x3fb8aa3b, v2
	v_cndmask_b32_e32 v5, 0x7f800000, v8, vcc_lo
	v_ldexp_f32 v8, v11, v9
	v_cmp_ngt_f32_e32 vcc_lo, 0xc2ce8ed0, v7
	s_delay_alu instid0(VALU_DEP_4)
	v_fma_f32 v11, 0x3fb8aa3b, v2, -v10
	v_rndne_f32_e32 v12, v10
	v_add_f32_e32 v4, v4, v5
	v_cndmask_b32_e32 v8, 0, v8, vcc_lo
	v_cmp_nlt_f32_e32 vcc_lo, 0x42b17218, v7
	v_fmac_f32_e32 v11, 0x32a5705f, v2
	s_delay_alu instid0(VALU_DEP_3) | instskip(SKIP_3) | instid1(VALU_DEP_4)
	v_cndmask_b32_e32 v7, 0x7f800000, v8, vcc_lo
	v_mul_f32_e32 v6, 0x3fb8aa3b, v0
	v_mul_f32_e32 v8, 0x3fb8aa3b, v1
	v_cmp_ngt_f32_e32 vcc_lo, 0xc2ce8ed0, v0
	v_add_f32_e32 v4, v4, v7
	s_delay_alu instid0(VALU_DEP_4) | instskip(SKIP_2) | instid1(VALU_DEP_2)
	v_fma_f32 v5, 0x3fb8aa3b, v0, -v6
	v_rndne_f32_e32 v9, v6
	v_rndne_f32_e32 v7, v8
	v_dual_fmac_f32 v5, 0x32a5705f, v0 :: v_dual_sub_f32 v6, v6, v9
	v_cvt_i32_f32_e32 v9, v9
	s_delay_alu instid0(VALU_DEP_2) | instskip(SKIP_3) | instid1(VALU_DEP_4)
	v_add_f32_e32 v5, v6, v5
	v_fma_f32 v6, 0x3fb8aa3b, v1, -v8
	v_sub_f32_e32 v8, v8, v7
	v_cvt_i32_f32_e32 v7, v7
	v_exp_f32_e32 v5, v5
	s_delay_alu instid0(VALU_DEP_3) | instskip(NEXT) | instid1(VALU_DEP_1)
	v_fmac_f32_e32 v6, 0x32a5705f, v1
	v_add_f32_e32 v6, v8, v6
	v_sub_f32_e32 v8, v10, v12
	v_fma_f32 v10, 0x3fb8aa3b, v3, -v13
	s_waitcnt_depctr 0xfff
	v_ldexp_f32 v5, v5, v9
	v_exp_f32_e32 v6, v6
	v_add_f32_e32 v8, v8, v11
	v_dual_fmac_f32 v10, 0x32a5705f, v3 :: v_dual_sub_f32 v9, v13, v17
	s_delay_alu instid0(VALU_DEP_3) | instskip(SKIP_1) | instid1(VALU_DEP_4)
	v_cndmask_b32_e32 v5, 0, v5, vcc_lo
	v_cmp_nlt_f32_e32 vcc_lo, 0x42b17218, v0
	v_exp_f32_e32 v8, v8
	s_delay_alu instid0(VALU_DEP_3) | instskip(NEXT) | instid1(TRANS32_DEP_2)
	v_add_f32_e32 v9, v9, v10
	v_ldexp_f32 v6, v6, v7
	v_cndmask_b32_e32 v0, 0x7f800000, v5, vcc_lo
	v_cmp_ngt_f32_e32 vcc_lo, 0xc2ce8ed0, v1
	v_cvt_i32_f32_e32 v5, v12
	v_exp_f32_e32 v7, v9
	s_delay_alu instid0(VALU_DEP_3) | instskip(SKIP_4) | instid1(VALU_DEP_4)
	v_add_f32_e32 v0, v4, v0
	v_cndmask_b32_e32 v6, 0, v6, vcc_lo
	v_cmp_nlt_f32_e32 vcc_lo, 0x42b17218, v1
	v_ldexp_f32 v4, v8, v5
	v_cvt_i32_f32_e32 v5, v17
	v_cndmask_b32_e32 v1, 0x7f800000, v6, vcc_lo
	v_cmp_ngt_f32_e32 vcc_lo, 0xc2ce8ed0, v2
	s_delay_alu instid0(TRANS32_DEP_1) | instid1(VALU_DEP_3)
	v_ldexp_f32 v5, v7, v5
	s_delay_alu instid0(VALU_DEP_3) | instskip(SKIP_2) | instid1(VALU_DEP_2)
	v_add_f32_e32 v0, v0, v1
	v_cndmask_b32_e32 v4, 0, v4, vcc_lo
	v_cmp_nlt_f32_e32 vcc_lo, 0x42b17218, v2
	v_cndmask_b32_e32 v1, 0x7f800000, v4, vcc_lo
	v_cmp_ngt_f32_e32 vcc_lo, 0xc2ce8ed0, v3
	s_delay_alu instid0(VALU_DEP_2) | instskip(SKIP_2) | instid1(VALU_DEP_2)
	v_add_f32_e32 v0, v0, v1
	v_cndmask_b32_e32 v2, 0, v5, vcc_lo
	v_cmp_nlt_f32_e32 vcc_lo, 0x42b17218, v3
	v_cndmask_b32_e32 v1, 0x7f800000, v2, vcc_lo
	v_cmp_eq_u32_e32 vcc_lo, 0, v16
	s_delay_alu instid0(VALU_DEP_2) | instskip(NEXT) | instid1(VALU_DEP_1)
	v_add_f32_e32 v0, v0, v1
	v_mov_b32_dpp v1, v0 quad_perm:[1,0,3,2] row_mask:0xf bank_mask:0xf
	s_delay_alu instid0(VALU_DEP_1) | instskip(NEXT) | instid1(VALU_DEP_1)
	v_add_f32_e32 v0, v0, v1
	v_mov_b32_dpp v1, v0 quad_perm:[2,3,0,1] row_mask:0xf bank_mask:0xf
	s_and_b32 exec_lo, exec_lo, vcc_lo
	s_cbranch_execz .LBB52_21
; %bb.17:
	s_delay_alu instid0(VALU_DEP_1) | instskip(NEXT) | instid1(VALU_DEP_1)
	v_add_f32_e32 v0, v0, v1
	v_add_f32_e32 v0, v14, v0
	s_delay_alu instid0(VALU_DEP_1)
	v_cmp_neq_f32_e32 vcc_lo, 0, v0
	s_and_b32 exec_lo, exec_lo, vcc_lo
	s_cbranch_execz .LBB52_21
; %bb.18:
	s_and_not1_b32 vcc_lo, exec_lo, s3
	s_cbranch_vccnz .LBB52_21
; %bb.19:
	v_div_scale_f32 v2, null, v0, v0, 1.0
	v_div_scale_f32 v4, vcc_lo, 1.0, v0, 1.0
	s_delay_alu instid0(VALU_DEP_2) | instskip(SKIP_2) | instid1(VALU_DEP_1)
	v_rcp_f32_e32 v3, v2
	s_waitcnt_depctr 0xfff
	v_fma_f32 v1, -v2, v3, 1.0
	v_fmac_f32_e32 v3, v1, v3
	v_mul_lo_u32 v1, v15, s7
	s_delay_alu instid0(VALU_DEP_2) | instskip(NEXT) | instid1(VALU_DEP_1)
	v_mul_f32_e32 v5, v4, v3
	v_fma_f32 v6, -v2, v5, v4
	s_delay_alu instid0(VALU_DEP_1) | instskip(NEXT) | instid1(VALU_DEP_1)
	v_fmac_f32_e32 v5, v6, v3
	v_fma_f32 v4, -v2, v5, v4
	v_ashrrev_i32_e32 v2, 31, v1
	s_delay_alu instid0(VALU_DEP_2) | instskip(NEXT) | instid1(VALU_DEP_2)
	v_div_fmas_f32 v5, v4, v3, v5
	v_lshlrev_b64 v[3:4], 2, v[1:2]
	s_delay_alu instid0(VALU_DEP_2) | instskip(NEXT) | instid1(VALU_DEP_2)
	v_div_fixup_f32 v2, v5, v0, 1.0
	v_add_co_u32 v0, vcc_lo, s12, v3
	s_delay_alu instid0(VALU_DEP_3)
	v_add_co_ci_u32_e32 v1, vcc_lo, s13, v4, vcc_lo
.LBB52_20:                              ; =>This Inner Loop Header: Depth=1
	global_load_b32 v3, v[0:1], off
	s_add_i32 s4, s4, -1
	s_delay_alu instid0(SALU_CYCLE_1)
	s_cmp_lg_u32 s4, 0
	s_waitcnt vmcnt(0)
	v_mul_f32_e32 v3, v2, v3
	global_store_b32 v[0:1], v3, off
	v_add_co_u32 v0, vcc_lo, v0, 4
	v_add_co_ci_u32_e32 v1, vcc_lo, 0, v1, vcc_lo
	s_cbranch_scc1 .LBB52_20
.LBB52_21:
	s_nop 0
	s_sendmsg sendmsg(MSG_DEALLOC_VGPRS)
	s_endpgm
	.section	.rodata,"a",@progbits
	.p2align	6, 0x0
	.amdhsa_kernel _ZN4vllm3moe17topkGatingSoftmaxIfLi8ELi32ELi8ELi32ELb0ELi0ELNS0_23SharedExpertScoringFuncE0EEEvPKT_PKbPfiPiS9_iiiiii
		.amdhsa_group_segment_fixed_size 0
		.amdhsa_private_segment_fixed_size 0
		.amdhsa_kernarg_size 72
		.amdhsa_user_sgpr_count 15
		.amdhsa_user_sgpr_dispatch_ptr 0
		.amdhsa_user_sgpr_queue_ptr 0
		.amdhsa_user_sgpr_kernarg_segment_ptr 1
		.amdhsa_user_sgpr_dispatch_id 0
		.amdhsa_user_sgpr_private_segment_size 0
		.amdhsa_wavefront_size32 1
		.amdhsa_uses_dynamic_stack 0
		.amdhsa_enable_private_segment 0
		.amdhsa_system_sgpr_workgroup_id_x 1
		.amdhsa_system_sgpr_workgroup_id_y 0
		.amdhsa_system_sgpr_workgroup_id_z 0
		.amdhsa_system_sgpr_workgroup_info 0
		.amdhsa_system_vgpr_workitem_id 1
		.amdhsa_next_free_vgpr 37
		.amdhsa_next_free_sgpr 19
		.amdhsa_reserve_vcc 1
		.amdhsa_float_round_mode_32 0
		.amdhsa_float_round_mode_16_64 0
		.amdhsa_float_denorm_mode_32 3
		.amdhsa_float_denorm_mode_16_64 3
		.amdhsa_dx10_clamp 1
		.amdhsa_ieee_mode 1
		.amdhsa_fp16_overflow 0
		.amdhsa_workgroup_processor_mode 1
		.amdhsa_memory_ordered 1
		.amdhsa_forward_progress 0
		.amdhsa_shared_vgpr_count 0
		.amdhsa_exception_fp_ieee_invalid_op 0
		.amdhsa_exception_fp_denorm_src 0
		.amdhsa_exception_fp_ieee_div_zero 0
		.amdhsa_exception_fp_ieee_overflow 0
		.amdhsa_exception_fp_ieee_underflow 0
		.amdhsa_exception_fp_ieee_inexact 0
		.amdhsa_exception_int_div_zero 0
	.end_amdhsa_kernel
	.section	.text._ZN4vllm3moe17topkGatingSoftmaxIfLi8ELi32ELi8ELi32ELb0ELi0ELNS0_23SharedExpertScoringFuncE0EEEvPKT_PKbPfiPiS9_iiiiii,"axG",@progbits,_ZN4vllm3moe17topkGatingSoftmaxIfLi8ELi32ELi8ELi32ELb0ELi0ELNS0_23SharedExpertScoringFuncE0EEEvPKT_PKbPfiPiS9_iiiiii,comdat
.Lfunc_end52:
	.size	_ZN4vllm3moe17topkGatingSoftmaxIfLi8ELi32ELi8ELi32ELb0ELi0ELNS0_23SharedExpertScoringFuncE0EEEvPKT_PKbPfiPiS9_iiiiii, .Lfunc_end52-_ZN4vllm3moe17topkGatingSoftmaxIfLi8ELi32ELi8ELi32ELb0ELi0ELNS0_23SharedExpertScoringFuncE0EEEvPKT_PKbPfiPiS9_iiiiii
                                        ; -- End function
	.section	.AMDGPU.csdata,"",@progbits
; Kernel info:
; codeLenInByte = 3340
; NumSgprs: 21
; NumVgprs: 37
; ScratchSize: 0
; MemoryBound: 0
; FloatMode: 240
; IeeeMode: 1
; LDSByteSize: 0 bytes/workgroup (compile time only)
; SGPRBlocks: 2
; VGPRBlocks: 4
; NumSGPRsForWavesPerEU: 21
; NumVGPRsForWavesPerEU: 37
; Occupancy: 16
; WaveLimiterHint : 0
; COMPUTE_PGM_RSRC2:SCRATCH_EN: 0
; COMPUTE_PGM_RSRC2:USER_SGPR: 15
; COMPUTE_PGM_RSRC2:TRAP_HANDLER: 0
; COMPUTE_PGM_RSRC2:TGID_X_EN: 1
; COMPUTE_PGM_RSRC2:TGID_Y_EN: 0
; COMPUTE_PGM_RSRC2:TGID_Z_EN: 0
; COMPUTE_PGM_RSRC2:TIDIG_COMP_CNT: 1
	.section	.text._ZN4vllm3moe17topkGatingSoftmaxIfLi8ELi32ELi8ELi32ELb1ELi1ELNS0_23SharedExpertScoringFuncE1EEEvPKT_PKbPfiPiS9_iiiiii,"axG",@progbits,_ZN4vllm3moe17topkGatingSoftmaxIfLi8ELi32ELi8ELi32ELb1ELi1ELNS0_23SharedExpertScoringFuncE1EEEvPKT_PKbPfiPiS9_iiiiii,comdat
	.protected	_ZN4vllm3moe17topkGatingSoftmaxIfLi8ELi32ELi8ELi32ELb1ELi1ELNS0_23SharedExpertScoringFuncE1EEEvPKT_PKbPfiPiS9_iiiiii ; -- Begin function _ZN4vllm3moe17topkGatingSoftmaxIfLi8ELi32ELi8ELi32ELb1ELi1ELNS0_23SharedExpertScoringFuncE1EEEvPKT_PKbPfiPiS9_iiiiii
	.globl	_ZN4vllm3moe17topkGatingSoftmaxIfLi8ELi32ELi8ELi32ELb1ELi1ELNS0_23SharedExpertScoringFuncE1EEEvPKT_PKbPfiPiS9_iiiiii
	.p2align	8
	.type	_ZN4vllm3moe17topkGatingSoftmaxIfLi8ELi32ELi8ELi32ELb1ELi1ELNS0_23SharedExpertScoringFuncE1EEEvPKT_PKbPfiPiS9_iiiiii,@function
_ZN4vllm3moe17topkGatingSoftmaxIfLi8ELi32ELi8ELi32ELb1ELi1ELNS0_23SharedExpertScoringFuncE1EEEvPKT_PKbPfiPiS9_iiiiii: ; @_ZN4vllm3moe17topkGatingSoftmaxIfLi8ELi32ELi8ELi32ELb1ELi1ELNS0_23SharedExpertScoringFuncE1EEEvPKT_PKbPfiPiS9_iiiiii
; %bb.0:
	s_load_b32 s16, s[0:1], 0x18
	v_bfe_u32 v1, v0, 10, 10
	v_and_b32_e32 v0, 0x3ff, v0
	s_lshl_b32 s18, s15, 6
	s_mov_b32 s2, exec_lo
	s_delay_alu instid0(VALU_DEP_2) | instskip(NEXT) | instid1(VALU_DEP_2)
	v_lshlrev_b32_e32 v25, 3, v1
	v_lshrrev_b32_e32 v26, 2, v0
	s_delay_alu instid0(VALU_DEP_1) | instskip(SKIP_1) | instid1(VALU_DEP_1)
	v_add3_u32 v15, s18, v25, v26
	s_waitcnt lgkmcnt(0)
	v_cmpx_gt_i32_e64 s16, v15
	s_cbranch_execz .LBB53_22
; %bb.1:
	s_clause 0x1
	s_load_b128 s[4:7], s[0:1], 0x0
	s_load_b64 s[12:13], s[0:1], 0x10
	s_waitcnt lgkmcnt(0)
	s_cmp_eq_u64 s[6:7], 0
	s_cbranch_scc1 .LBB53_3
; %bb.2:
	v_ashrrev_i32_e32 v2, 31, v15
	v_add_co_u32 v1, vcc_lo, s6, v15
	s_delay_alu instid0(VALU_DEP_2) | instskip(SKIP_3) | instid1(VALU_DEP_1)
	v_add_co_ci_u32_e32 v2, vcc_lo, s7, v2, vcc_lo
	global_load_u8 v1, v[1:2], off
	s_waitcnt vmcnt(0)
	v_and_b32_e32 v1, 1, v1
	v_cmp_eq_u32_e32 vcc_lo, 1, v1
	s_xor_b32 s2, vcc_lo, -1
	s_delay_alu instid0(SALU_CYCLE_1)
	s_or_not1_b32 s17, s2, exec_lo
	s_branch .LBB53_4
.LBB53_3:
	s_mov_b32 s17, -1
.LBB53_4:
	s_clause 0x1
	s_load_b64 s[14:15], s[0:1], 0x40
	s_load_b128 s[8:11], s[0:1], 0x30
	v_and_b32_e32 v16, 3, v0
	s_delay_alu instid0(VALU_DEP_1) | instskip(SKIP_3) | instid1(VALU_DEP_1)
	v_dual_mov_b32 v14, 0 :: v_dual_lshlrev_b32 v17, 3, v16
	v_cmp_eq_u32_e64 s2, 0, v16
	s_waitcnt lgkmcnt(0)
	v_mul_lo_u32 v1, v15, s15
	v_ashrrev_i32_e32 v2, 31, v1
	s_delay_alu instid0(VALU_DEP_1) | instskip(SKIP_1) | instid1(VALU_DEP_2)
	v_lshlrev_b64 v[0:1], 2, v[1:2]
	v_lshlrev_b32_e32 v2, 5, v16
	v_add_co_u32 v8, vcc_lo, s4, v0
	s_delay_alu instid0(VALU_DEP_3) | instskip(NEXT) | instid1(VALU_DEP_2)
	v_add_co_ci_u32_e32 v9, vcc_lo, s5, v1, vcc_lo
	v_add_co_u32 v4, vcc_lo, v8, v2
	s_delay_alu instid0(VALU_DEP_2)
	v_add_co_ci_u32_e32 v5, vcc_lo, 0, v9, vcc_lo
	s_clause 0x1
	global_load_b128 v[0:3], v[4:5], off offset:16
	global_load_b128 v[4:7], v[4:5], off
	s_and_saveexec_b32 s3, s2
	s_cbranch_execz .LBB53_6
; %bb.5:
	global_load_b32 v8, v[8:9], off offset:128
	s_waitcnt vmcnt(0)
	v_mul_f32_e32 v9, 0xbfb8aa3b, v8
	v_cmp_nlt_f32_e32 vcc_lo, 0x42ce8ed0, v8
	s_delay_alu instid0(VALU_DEP_2) | instskip(SKIP_1) | instid1(VALU_DEP_2)
	v_rndne_f32_e32 v10, v9
	v_fma_f32 v11, 0xbfb8aa3b, v8, -v9
	v_sub_f32_e32 v9, v9, v10
	s_delay_alu instid0(VALU_DEP_2) | instskip(SKIP_1) | instid1(VALU_DEP_2)
	v_fmamk_f32 v11, v8, 0xb2a5705f, v11
	v_cvt_i32_f32_e32 v10, v10
	v_add_f32_e32 v9, v9, v11
	s_delay_alu instid0(VALU_DEP_1) | instskip(SKIP_2) | instid1(VALU_DEP_1)
	v_exp_f32_e32 v9, v9
	s_waitcnt_depctr 0xfff
	v_ldexp_f32 v9, v9, v10
	v_cndmask_b32_e32 v9, 0, v9, vcc_lo
	v_cmp_ngt_f32_e32 vcc_lo, 0xc2b17218, v8
	s_delay_alu instid0(VALU_DEP_2) | instskip(NEXT) | instid1(VALU_DEP_1)
	v_cndmask_b32_e32 v8, 0x7f800000, v9, vcc_lo
	v_add_f32_e32 v10, 1.0, v8
	s_delay_alu instid0(VALU_DEP_1) | instskip(SKIP_1) | instid1(VALU_DEP_2)
	v_div_scale_f32 v11, null, v10, v10, 1.0
	v_div_scale_f32 v13, vcc_lo, 1.0, v10, 1.0
	v_rcp_f32_e32 v12, v11
	s_waitcnt_depctr 0xfff
	v_fma_f32 v8, -v11, v12, 1.0
	s_delay_alu instid0(VALU_DEP_1) | instskip(SKIP_1) | instid1(VALU_DEP_2)
	v_fmac_f32_e32 v12, v8, v12
	v_mad_u64_u32 v[8:9], null, v15, s11, s[8:9]
	v_mul_f32_e32 v18, v13, v12
	s_delay_alu instid0(VALU_DEP_2) | instskip(NEXT) | instid1(VALU_DEP_2)
	v_ashrrev_i32_e32 v9, 31, v8
	v_fma_f32 v19, -v11, v18, v13
	s_delay_alu instid0(VALU_DEP_2) | instskip(NEXT) | instid1(VALU_DEP_2)
	v_lshlrev_b64 v[8:9], 2, v[8:9]
	v_fmac_f32_e32 v18, v19, v12
	s_delay_alu instid0(VALU_DEP_1) | instskip(NEXT) | instid1(VALU_DEP_1)
	v_fma_f32 v11, -v11, v18, v13
	v_div_fmas_f32 v11, v11, v12, v18
	s_delay_alu instid0(VALU_DEP_4) | instskip(SKIP_1) | instid1(VALU_DEP_3)
	v_add_co_u32 v8, vcc_lo, s12, v8
	v_add_co_ci_u32_e32 v9, vcc_lo, s13, v9, vcc_lo
	v_div_fixup_f32 v10, v11, v10, 1.0
	global_store_b32 v[8:9], v10, off
.LBB53_6:
	s_or_b32 exec_lo, exec_lo, s3
	v_or_b32_e32 v18, 1, v17
	s_waitcnt vmcnt(0)
	v_cmp_lt_f32_e32 vcc_lo, v4, v5
	v_or_b32_e32 v19, 2, v17
	v_or_b32_e32 v20, 3, v17
	v_or_b32_e32 v21, 4, v17
	v_or_b32_e32 v22, 5, v17
	v_dual_cndmask_b32 v8, v17, v18 :: v_dual_cndmask_b32 v9, v4, v5
	v_or_b32_e32 v23, 6, v17
	v_or_b32_e32 v24, 7, v17
	s_delay_alu instid0(VALU_DEP_3) | instskip(NEXT) | instid1(VALU_DEP_4)
	v_cmp_lt_f32_e32 vcc_lo, v9, v6
	v_dual_cndmask_b32 v8, v8, v19 :: v_dual_cndmask_b32 v9, v9, v6
	s_delay_alu instid0(VALU_DEP_1) | instskip(NEXT) | instid1(VALU_DEP_2)
	v_cmp_lt_f32_e32 vcc_lo, v9, v7
	v_dual_cndmask_b32 v8, v8, v20 :: v_dual_cndmask_b32 v9, v9, v7
	s_delay_alu instid0(VALU_DEP_1) | instskip(NEXT) | instid1(VALU_DEP_2)
	;; [unrolled: 3-line block ×6, first 2 shown]
	v_mov_b32_dpp v11, v8 quad_perm:[1,0,3,2] row_mask:0xf bank_mask:0xf
	v_mov_b32_dpp v10, v9 quad_perm:[1,0,3,2] row_mask:0xf bank_mask:0xf
	s_delay_alu instid0(VALU_DEP_2) | instskip(NEXT) | instid1(VALU_DEP_2)
	v_cmp_lt_i32_e32 vcc_lo, v11, v8
	v_cmp_eq_f32_e64 s3, v9, v10
	v_cmp_lt_f32_e64 s4, v9, v10
	s_delay_alu instid0(VALU_DEP_2)
	s_and_b32 s3, s3, vcc_lo
	s_delay_alu instid0(VALU_DEP_1) | instid1(SALU_CYCLE_1)
	s_or_b32 vcc_lo, s4, s3
	s_cmp_gt_i32 s8, 0
	v_cndmask_b32_e32 v10, v9, v10, vcc_lo
	v_cndmask_b32_e32 v8, v8, v11, vcc_lo
	s_cselect_b32 s3, -1, 0
	s_delay_alu instid0(SALU_CYCLE_1) | instskip(NEXT) | instid1(VALU_DEP_2)
	s_and_b32 vcc_lo, exec_lo, s3
	v_mov_b32_dpp v12, v10 quad_perm:[2,3,0,1] row_mask:0xf bank_mask:0xf
	s_delay_alu instid0(VALU_DEP_2)
	v_mov_b32_dpp v27, v8 quad_perm:[2,3,0,1] row_mask:0xf bank_mask:0xf
	s_cbranch_vccz .LBB53_18
; %bb.7:
	s_load_b128 s[4:7], s[0:1], 0x20
	s_delay_alu instid0(VALU_DEP_2) | instskip(NEXT) | instid1(VALU_DEP_2)
	v_cmp_eq_f32_e32 vcc_lo, v10, v12
	v_cmp_lt_i32_e64 s0, v27, v8
	v_cmp_lt_f32_e64 s1, v10, v12
	v_mul_lo_u32 v9, v15, s11
	v_mul_lo_u32 v11, v15, s14
	;; [unrolled: 1-line block ×3, first 2 shown]
	s_and_b32 s0, vcc_lo, s0
	v_mov_b32_e32 v14, 0
	s_or_b32 vcc_lo, s1, s0
	v_dual_cndmask_b32 v8, v8, v27 :: v_dual_cndmask_b32 v27, v10, v12
	s_and_saveexec_b32 s1, s2
	s_cbranch_execz .LBB53_9
; %bb.8:
	s_delay_alu instid0(VALU_DEP_1) | instskip(NEXT) | instid1(VALU_DEP_2)
	v_sub_f32_e32 v34, v27, v27
	v_cmp_le_i32_e32 vcc_lo, s9, v8
	v_cmp_gt_i32_e64 s0, s10, v8
	v_subrev_nc_u32_e32 v35, s9, v8
	v_ashrrev_i32_e32 v14, 31, v13
	v_mul_f32_e32 v10, 0x3fb8aa3b, v34
	s_delay_alu instid0(VALU_DEP_4) | instskip(NEXT) | instid1(SALU_CYCLE_1)
	s_and_b32 s0, vcc_lo, s0
	s_and_b32 vcc_lo, s17, s0
	s_delay_alu instid0(VALU_DEP_1) | instskip(SKIP_2) | instid1(VALU_DEP_3)
	v_rndne_f32_e32 v30, v10
	v_fma_f32 v12, 0x3fb8aa3b, v34, -v10
	v_lshlrev_b64 v[32:33], 2, v[13:14]
	v_sub_f32_e32 v10, v10, v30
	s_delay_alu instid0(VALU_DEP_3) | instskip(NEXT) | instid1(VALU_DEP_1)
	v_fmamk_f32 v12, v34, 0x32a5705f, v12
	v_add_f32_e32 v12, v10, v12
	v_ashrrev_i32_e32 v10, 31, v9
	s_delay_alu instid0(VALU_DEP_2) | instskip(NEXT) | instid1(VALU_DEP_1)
	v_exp_f32_e32 v36, v12
	v_lshlrev_b64 v[28:29], 2, v[9:10]
	v_ashrrev_i32_e32 v12, 31, v11
	v_cvt_i32_f32_e32 v10, v30
	s_delay_alu instid0(VALU_DEP_2) | instskip(SKIP_3) | instid1(TRANS32_DEP_1)
	v_lshlrev_b64 v[30:31], 2, v[11:12]
	v_cndmask_b32_e32 v12, 32, v35, vcc_lo
	v_add_co_u32 v28, vcc_lo, s12, v28
	v_add_co_ci_u32_e32 v29, vcc_lo, s13, v29, vcc_lo
	v_ldexp_f32 v10, v36, v10
	v_cmp_ngt_f32_e32 vcc_lo, 0xc2ce8ed0, v34
	s_delay_alu instid0(VALU_DEP_2)
	v_cndmask_b32_e32 v10, 0, v10, vcc_lo
	s_waitcnt lgkmcnt(0)
	v_add_co_u32 v30, vcc_lo, s4, v30
	v_add_co_ci_u32_e32 v31, vcc_lo, s5, v31, vcc_lo
	v_cmp_nlt_f32_e32 vcc_lo, 0x42b17218, v34
	v_cndmask_b32_e32 v14, 0x7f800000, v10, vcc_lo
	v_add_co_u32 v32, vcc_lo, s6, v32
	v_add_co_ci_u32_e32 v33, vcc_lo, s7, v33, vcc_lo
	global_store_b32 v[30:31], v12, off
	global_store_b32 v[28:29], v14, off
	;; [unrolled: 1-line block ×3, first 2 shown]
.LBB53_9:
	s_or_b32 exec_lo, exec_lo, s1
	s_delay_alu instid0(VALU_DEP_1) | instskip(SKIP_1) | instid1(VALU_DEP_1)
	v_ashrrev_i32_e32 v12, 31, v8
	s_mov_b32 s0, exec_lo
	v_lshrrev_b32_e32 v10, 29, v12
	s_delay_alu instid0(VALU_DEP_1) | instskip(NEXT) | instid1(VALU_DEP_1)
	v_add_nc_u32_e32 v10, v8, v10
	v_ashrrev_i32_e32 v10, 3, v10
	s_delay_alu instid0(VALU_DEP_1) | instskip(NEXT) | instid1(VALU_DEP_1)
	v_lshrrev_b32_e32 v28, 30, v10
	v_add_nc_u32_e32 v28, v10, v28
	s_delay_alu instid0(VALU_DEP_1) | instskip(NEXT) | instid1(VALU_DEP_1)
	v_and_b32_e32 v28, -4, v28
	v_sub_nc_u32_e32 v28, v10, v28
	s_delay_alu instid0(VALU_DEP_1)
	v_cmpx_eq_u32_e64 v16, v28
	s_cbranch_execz .LBB53_11
; %bb.10:
	v_lshrrev_b32_e32 v12, 27, v12
	v_lshlrev_b32_e32 v10, 3, v10
	s_delay_alu instid0(VALU_DEP_2) | instskip(NEXT) | instid1(VALU_DEP_2)
	v_add_nc_u32_e32 v12, v8, v12
	v_sub_nc_u32_e32 v8, v8, v10
	s_delay_alu instid0(VALU_DEP_2) | instskip(NEXT) | instid1(VALU_DEP_1)
	v_ashrrev_i32_e32 v10, 5, v12
	v_lshl_add_u32 v8, v10, 3, v8
	s_delay_alu instid0(VALU_DEP_1)
	v_cmp_ne_u32_e32 vcc_lo, 7, v8
	v_cndmask_b32_e32 v3, 0xff800000, v3, vcc_lo
	v_cmp_ne_u32_e32 vcc_lo, 6, v8
	v_cndmask_b32_e32 v2, 0xff800000, v2, vcc_lo
	;; [unrolled: 2-line block ×8, first 2 shown]
.LBB53_11:
	s_or_b32 exec_lo, exec_lo, s0
	s_cmp_eq_u32 s8, 1
	s_cbranch_scc1 .LBB53_18
; %bb.12:
	s_add_i32 s18, s18, s16
	v_add_nc_u32_e32 v8, 1, v13
	v_add3_u32 v25, s18, v26, v25
	v_add_nc_u32_e32 v10, 1, v11
	v_add_nc_u32_e32 v12, 1, v9
	s_add_i32 s14, s8, -1
	s_branch .LBB53_14
.LBB53_13:                              ;   in Loop: Header=BB53_14 Depth=1
	s_or_b32 exec_lo, exec_lo, s0
	v_add_nc_u32_e32 v25, s16, v25
	v_add_nc_u32_e32 v8, 1, v8
	;; [unrolled: 1-line block ×4, first 2 shown]
	s_add_i32 s14, s14, -1
	s_delay_alu instid0(SALU_CYCLE_1)
	s_cmp_eq_u32 s14, 0
	s_cbranch_scc1 .LBB53_18
.LBB53_14:                              ; =>This Inner Loop Header: Depth=1
	v_cmp_gt_f32_e32 vcc_lo, v5, v4
	v_cndmask_b32_e32 v11, v4, v5, vcc_lo
	v_cndmask_b32_e32 v9, v17, v18, vcc_lo
	s_delay_alu instid0(VALU_DEP_2) | instskip(SKIP_1) | instid1(VALU_DEP_3)
	v_cmp_gt_f32_e32 vcc_lo, v6, v11
	v_cndmask_b32_e32 v11, v11, v6, vcc_lo
	v_cndmask_b32_e32 v9, v9, v19, vcc_lo
	s_delay_alu instid0(VALU_DEP_2) | instskip(SKIP_1) | instid1(VALU_DEP_3)
	;; [unrolled: 4-line block ×5, first 2 shown]
	v_cmp_gt_f32_e32 vcc_lo, v2, v11
	v_cndmask_b32_e32 v11, v11, v2, vcc_lo
	v_cndmask_b32_e32 v9, v9, v23, vcc_lo
	s_delay_alu instid0(VALU_DEP_2) | instskip(NEXT) | instid1(VALU_DEP_2)
	v_cmp_gt_f32_e32 vcc_lo, v3, v11
	v_cndmask_b32_e32 v13, v9, v24, vcc_lo
	v_cndmask_b32_e32 v9, v11, v3, vcc_lo
	s_delay_alu instid0(VALU_DEP_2) | instskip(NEXT) | instid1(VALU_DEP_2)
	v_mov_b32_dpp v11, v13 quad_perm:[1,0,3,2] row_mask:0xf bank_mask:0xf
	v_mov_b32_dpp v26, v9 quad_perm:[1,0,3,2] row_mask:0xf bank_mask:0xf
	s_delay_alu instid0(VALU_DEP_2) | instskip(NEXT) | instid1(VALU_DEP_2)
	v_cmp_lt_i32_e32 vcc_lo, v11, v13
	v_cmp_eq_f32_e64 s0, v9, v26
	v_cmp_lt_f32_e64 s1, v9, v26
	s_delay_alu instid0(VALU_DEP_2)
	s_and_b32 s0, s0, vcc_lo
	s_delay_alu instid0(VALU_DEP_1) | instid1(SALU_CYCLE_1)
	s_or_b32 vcc_lo, s1, s0
	v_cndmask_b32_e32 v9, v9, v26, vcc_lo
	v_cndmask_b32_e32 v13, v13, v11, vcc_lo
	s_delay_alu instid0(VALU_DEP_2) | instskip(NEXT) | instid1(VALU_DEP_2)
	v_mov_b32_dpp v11, v9 quad_perm:[2,3,0,1] row_mask:0xf bank_mask:0xf
	v_mov_b32_dpp v26, v13 quad_perm:[2,3,0,1] row_mask:0xf bank_mask:0xf
	s_delay_alu instid0(VALU_DEP_2) | instskip(NEXT) | instid1(VALU_DEP_2)
	v_cmp_eq_f32_e32 vcc_lo, v9, v11
	v_cmp_lt_i32_e64 s0, v26, v13
	v_cmp_lt_f32_e64 s1, v9, v11
	s_delay_alu instid0(VALU_DEP_2)
	s_and_b32 s0, vcc_lo, s0
	s_delay_alu instid0(VALU_DEP_1) | instid1(SALU_CYCLE_1)
	s_or_b32 vcc_lo, s1, s0
	v_cndmask_b32_e32 v26, v13, v26, vcc_lo
	s_and_saveexec_b32 s1, s2
	s_cbranch_execz .LBB53_16
; %bb.15:                               ;   in Loop: Header=BB53_14 Depth=1
	v_cndmask_b32_e32 v9, v9, v11, vcc_lo
	s_delay_alu instid0(VALU_DEP_2) | instskip(SKIP_4) | instid1(VALU_DEP_4)
	v_cmp_le_i32_e32 vcc_lo, s9, v26
	v_cmp_gt_i32_e64 s0, s10, v26
	v_ashrrev_i32_e32 v13, 31, v12
	v_subrev_nc_u32_e32 v35, s9, v26
	v_sub_f32_e32 v34, v9, v27
	s_and_b32 s0, vcc_lo, s0
	s_delay_alu instid0(SALU_CYCLE_1) | instskip(NEXT) | instid1(VALU_DEP_1)
	s_and_b32 vcc_lo, s17, s0
	v_mul_f32_e32 v9, 0x3fb8aa3b, v34
	s_delay_alu instid0(VALU_DEP_1) | instskip(SKIP_1) | instid1(VALU_DEP_2)
	v_fma_f32 v11, 0x3fb8aa3b, v34, -v9
	v_rndne_f32_e32 v28, v9
	v_fmac_f32_e32 v11, 0x32a5705f, v34
	s_delay_alu instid0(VALU_DEP_2) | instskip(SKIP_2) | instid1(VALU_DEP_3)
	v_sub_f32_e32 v9, v9, v28
	v_cvt_i32_f32_e32 v33, v28
	v_lshlrev_b64 v[28:29], 2, v[12:13]
	v_add_f32_e32 v9, v9, v11
	v_ashrrev_i32_e32 v11, 31, v10
	s_delay_alu instid0(VALU_DEP_2) | instskip(SKIP_1) | instid1(VALU_DEP_2)
	v_exp_f32_e32 v32, v9
	v_ashrrev_i32_e32 v9, 31, v8
	v_lshlrev_b64 v[30:31], 2, v[10:11]
	s_waitcnt_depctr 0xfff
	v_ldexp_f32 v11, v32, v33
	v_lshlrev_b64 v[32:33], 2, v[8:9]
	v_cndmask_b32_e32 v9, 32, v35, vcc_lo
	v_cmp_ngt_f32_e32 vcc_lo, 0xc2ce8ed0, v34
	s_delay_alu instid0(VALU_DEP_4) | instskip(SKIP_3) | instid1(VALU_DEP_4)
	v_cndmask_b32_e32 v11, 0, v11, vcc_lo
	v_add_co_u32 v28, vcc_lo, s12, v28
	v_add_co_ci_u32_e32 v29, vcc_lo, s13, v29, vcc_lo
	v_cmp_nlt_f32_e32 vcc_lo, 0x42b17218, v34
	v_cndmask_b32_e32 v11, 0x7f800000, v11, vcc_lo
	s_waitcnt lgkmcnt(0)
	v_add_co_u32 v30, vcc_lo, s4, v30
	v_add_co_ci_u32_e32 v31, vcc_lo, s5, v31, vcc_lo
	s_delay_alu instid0(VALU_DEP_3)
	v_add_f32_e32 v14, v14, v11
	v_add_co_u32 v32, vcc_lo, s6, v32
	v_add_co_ci_u32_e32 v33, vcc_lo, s7, v33, vcc_lo
	global_store_b32 v[28:29], v11, off
	global_store_b32 v[30:31], v9, off
	;; [unrolled: 1-line block ×3, first 2 shown]
.LBB53_16:                              ;   in Loop: Header=BB53_14 Depth=1
	s_or_b32 exec_lo, exec_lo, s1
	s_delay_alu instid0(VALU_DEP_1) | instskip(SKIP_1) | instid1(VALU_DEP_1)
	v_ashrrev_i32_e32 v11, 31, v26
	s_mov_b32 s0, exec_lo
	v_lshrrev_b32_e32 v9, 29, v11
	s_delay_alu instid0(VALU_DEP_1) | instskip(NEXT) | instid1(VALU_DEP_1)
	v_add_nc_u32_e32 v9, v26, v9
	v_ashrrev_i32_e32 v9, 3, v9
	s_delay_alu instid0(VALU_DEP_1) | instskip(NEXT) | instid1(VALU_DEP_1)
	v_lshrrev_b32_e32 v13, 30, v9
	v_add_nc_u32_e32 v13, v9, v13
	s_delay_alu instid0(VALU_DEP_1) | instskip(NEXT) | instid1(VALU_DEP_1)
	v_and_b32_e32 v13, -4, v13
	v_sub_nc_u32_e32 v13, v9, v13
	s_delay_alu instid0(VALU_DEP_1)
	v_cmpx_eq_u32_e64 v16, v13
	s_cbranch_execz .LBB53_13
; %bb.17:                               ;   in Loop: Header=BB53_14 Depth=1
	v_lshrrev_b32_e32 v11, 27, v11
	v_lshlrev_b32_e32 v9, 3, v9
	s_delay_alu instid0(VALU_DEP_2) | instskip(NEXT) | instid1(VALU_DEP_2)
	v_add_nc_u32_e32 v11, v26, v11
	v_sub_nc_u32_e32 v9, v26, v9
	s_delay_alu instid0(VALU_DEP_2) | instskip(NEXT) | instid1(VALU_DEP_1)
	v_ashrrev_i32_e32 v11, 5, v11
	v_lshl_add_u32 v9, v11, 3, v9
	s_delay_alu instid0(VALU_DEP_1)
	v_cmp_ne_u32_e32 vcc_lo, 7, v9
	v_cndmask_b32_e32 v3, 0xff800000, v3, vcc_lo
	v_cmp_ne_u32_e32 vcc_lo, 6, v9
	v_cndmask_b32_e32 v2, 0xff800000, v2, vcc_lo
	;; [unrolled: 2-line block ×8, first 2 shown]
	s_branch .LBB53_13
.LBB53_18:
	v_cmp_neq_f32_e32 vcc_lo, 0, v14
	s_and_b32 s0, s2, vcc_lo
	s_delay_alu instid0(SALU_CYCLE_1)
	s_and_b32 exec_lo, exec_lo, s0
	s_cbranch_execz .LBB53_22
; %bb.19:
	s_and_not1_b32 vcc_lo, exec_lo, s3
	s_cbranch_vccnz .LBB53_22
; %bb.20:
	v_div_scale_f32 v1, null, v14, v14, 1.0
	v_div_scale_f32 v3, vcc_lo, 1.0, v14, 1.0
	s_delay_alu instid0(VALU_DEP_2) | instskip(SKIP_2) | instid1(VALU_DEP_1)
	v_rcp_f32_e32 v2, v1
	s_waitcnt_depctr 0xfff
	v_fma_f32 v0, -v1, v2, 1.0
	v_fmac_f32_e32 v2, v0, v2
	v_mul_lo_u32 v0, v15, s11
	s_delay_alu instid0(VALU_DEP_2) | instskip(NEXT) | instid1(VALU_DEP_1)
	v_mul_f32_e32 v4, v3, v2
	v_fma_f32 v5, -v1, v4, v3
	s_delay_alu instid0(VALU_DEP_1) | instskip(NEXT) | instid1(VALU_DEP_1)
	v_fmac_f32_e32 v4, v5, v2
	v_fma_f32 v3, -v1, v4, v3
	v_ashrrev_i32_e32 v1, 31, v0
	s_delay_alu instid0(VALU_DEP_2) | instskip(NEXT) | instid1(VALU_DEP_2)
	v_div_fmas_f32 v2, v3, v2, v4
	v_lshlrev_b64 v[0:1], 2, v[0:1]
	s_delay_alu instid0(VALU_DEP_2) | instskip(NEXT) | instid1(VALU_DEP_2)
	v_div_fixup_f32 v2, v2, v14, 1.0
	v_add_co_u32 v0, vcc_lo, s12, v0
	s_delay_alu instid0(VALU_DEP_3)
	v_add_co_ci_u32_e32 v1, vcc_lo, s13, v1, vcc_lo
.LBB53_21:                              ; =>This Inner Loop Header: Depth=1
	global_load_b32 v3, v[0:1], off
	s_add_i32 s8, s8, -1
	s_delay_alu instid0(SALU_CYCLE_1)
	s_cmp_lg_u32 s8, 0
	s_waitcnt vmcnt(0)
	v_mul_f32_e32 v3, v2, v3
	global_store_b32 v[0:1], v3, off
	v_add_co_u32 v0, vcc_lo, v0, 4
	v_add_co_ci_u32_e32 v1, vcc_lo, 0, v1, vcc_lo
	s_cbranch_scc1 .LBB53_21
.LBB53_22:
	s_nop 0
	s_sendmsg sendmsg(MSG_DEALLOC_VGPRS)
	s_endpgm
	.section	.rodata,"a",@progbits
	.p2align	6, 0x0
	.amdhsa_kernel _ZN4vllm3moe17topkGatingSoftmaxIfLi8ELi32ELi8ELi32ELb1ELi1ELNS0_23SharedExpertScoringFuncE1EEEvPKT_PKbPfiPiS9_iiiiii
		.amdhsa_group_segment_fixed_size 0
		.amdhsa_private_segment_fixed_size 0
		.amdhsa_kernarg_size 72
		.amdhsa_user_sgpr_count 15
		.amdhsa_user_sgpr_dispatch_ptr 0
		.amdhsa_user_sgpr_queue_ptr 0
		.amdhsa_user_sgpr_kernarg_segment_ptr 1
		.amdhsa_user_sgpr_dispatch_id 0
		.amdhsa_user_sgpr_private_segment_size 0
		.amdhsa_wavefront_size32 1
		.amdhsa_uses_dynamic_stack 0
		.amdhsa_enable_private_segment 0
		.amdhsa_system_sgpr_workgroup_id_x 1
		.amdhsa_system_sgpr_workgroup_id_y 0
		.amdhsa_system_sgpr_workgroup_id_z 0
		.amdhsa_system_sgpr_workgroup_info 0
		.amdhsa_system_vgpr_workitem_id 1
		.amdhsa_next_free_vgpr 37
		.amdhsa_next_free_sgpr 19
		.amdhsa_reserve_vcc 1
		.amdhsa_float_round_mode_32 0
		.amdhsa_float_round_mode_16_64 0
		.amdhsa_float_denorm_mode_32 3
		.amdhsa_float_denorm_mode_16_64 3
		.amdhsa_dx10_clamp 1
		.amdhsa_ieee_mode 1
		.amdhsa_fp16_overflow 0
		.amdhsa_workgroup_processor_mode 1
		.amdhsa_memory_ordered 1
		.amdhsa_forward_progress 0
		.amdhsa_shared_vgpr_count 0
		.amdhsa_exception_fp_ieee_invalid_op 0
		.amdhsa_exception_fp_denorm_src 0
		.amdhsa_exception_fp_ieee_div_zero 0
		.amdhsa_exception_fp_ieee_overflow 0
		.amdhsa_exception_fp_ieee_underflow 0
		.amdhsa_exception_fp_ieee_inexact 0
		.amdhsa_exception_int_div_zero 0
	.end_amdhsa_kernel
	.section	.text._ZN4vllm3moe17topkGatingSoftmaxIfLi8ELi32ELi8ELi32ELb1ELi1ELNS0_23SharedExpertScoringFuncE1EEEvPKT_PKbPfiPiS9_iiiiii,"axG",@progbits,_ZN4vllm3moe17topkGatingSoftmaxIfLi8ELi32ELi8ELi32ELb1ELi1ELNS0_23SharedExpertScoringFuncE1EEEvPKT_PKbPfiPiS9_iiiiii,comdat
.Lfunc_end53:
	.size	_ZN4vllm3moe17topkGatingSoftmaxIfLi8ELi32ELi8ELi32ELb1ELi1ELNS0_23SharedExpertScoringFuncE1EEEvPKT_PKbPfiPiS9_iiiiii, .Lfunc_end53-_ZN4vllm3moe17topkGatingSoftmaxIfLi8ELi32ELi8ELi32ELb1ELi1ELNS0_23SharedExpertScoringFuncE1EEEvPKT_PKbPfiPiS9_iiiiii
                                        ; -- End function
	.section	.AMDGPU.csdata,"",@progbits
; Kernel info:
; codeLenInByte = 2368
; NumSgprs: 21
; NumVgprs: 37
; ScratchSize: 0
; MemoryBound: 0
; FloatMode: 240
; IeeeMode: 1
; LDSByteSize: 0 bytes/workgroup (compile time only)
; SGPRBlocks: 2
; VGPRBlocks: 4
; NumSGPRsForWavesPerEU: 21
; NumVGPRsForWavesPerEU: 37
; Occupancy: 16
; WaveLimiterHint : 0
; COMPUTE_PGM_RSRC2:SCRATCH_EN: 0
; COMPUTE_PGM_RSRC2:USER_SGPR: 15
; COMPUTE_PGM_RSRC2:TRAP_HANDLER: 0
; COMPUTE_PGM_RSRC2:TGID_X_EN: 1
; COMPUTE_PGM_RSRC2:TGID_Y_EN: 0
; COMPUTE_PGM_RSRC2:TGID_Z_EN: 0
; COMPUTE_PGM_RSRC2:TIDIG_COMP_CNT: 1
	.section	.text._ZN4vllm3moe17topkGatingSoftmaxIfLi8ELi32ELi8ELi32ELb0ELi1ELNS0_23SharedExpertScoringFuncE1EEEvPKT_PKbPfiPiS9_iiiiii,"axG",@progbits,_ZN4vllm3moe17topkGatingSoftmaxIfLi8ELi32ELi8ELi32ELb0ELi1ELNS0_23SharedExpertScoringFuncE1EEEvPKT_PKbPfiPiS9_iiiiii,comdat
	.protected	_ZN4vllm3moe17topkGatingSoftmaxIfLi8ELi32ELi8ELi32ELb0ELi1ELNS0_23SharedExpertScoringFuncE1EEEvPKT_PKbPfiPiS9_iiiiii ; -- Begin function _ZN4vllm3moe17topkGatingSoftmaxIfLi8ELi32ELi8ELi32ELb0ELi1ELNS0_23SharedExpertScoringFuncE1EEEvPKT_PKbPfiPiS9_iiiiii
	.globl	_ZN4vllm3moe17topkGatingSoftmaxIfLi8ELi32ELi8ELi32ELb0ELi1ELNS0_23SharedExpertScoringFuncE1EEEvPKT_PKbPfiPiS9_iiiiii
	.p2align	8
	.type	_ZN4vllm3moe17topkGatingSoftmaxIfLi8ELi32ELi8ELi32ELb0ELi1ELNS0_23SharedExpertScoringFuncE1EEEvPKT_PKbPfiPiS9_iiiiii,@function
_ZN4vllm3moe17topkGatingSoftmaxIfLi8ELi32ELi8ELi32ELb0ELi1ELNS0_23SharedExpertScoringFuncE1EEEvPKT_PKbPfiPiS9_iiiiii: ; @_ZN4vllm3moe17topkGatingSoftmaxIfLi8ELi32ELi8ELi32ELb0ELi1ELNS0_23SharedExpertScoringFuncE1EEEvPKT_PKbPfiPiS9_iiiiii
; %bb.0:
	s_load_b32 s16, s[0:1], 0x18
	v_bfe_u32 v1, v0, 10, 10
	v_and_b32_e32 v0, 0x3ff, v0
	s_lshl_b32 s18, s15, 6
	s_mov_b32 s2, exec_lo
	s_delay_alu instid0(VALU_DEP_2) | instskip(NEXT) | instid1(VALU_DEP_2)
	v_lshlrev_b32_e32 v26, 3, v1
	v_lshrrev_b32_e32 v27, 2, v0
	s_delay_alu instid0(VALU_DEP_1) | instskip(SKIP_1) | instid1(VALU_DEP_1)
	v_add3_u32 v15, s18, v26, v27
	s_waitcnt lgkmcnt(0)
	v_cmpx_gt_i32_e64 s16, v15
	s_cbranch_execz .LBB54_23
; %bb.1:
	s_clause 0x1
	s_load_b128 s[4:7], s[0:1], 0x0
	s_load_b64 s[12:13], s[0:1], 0x10
	s_waitcnt lgkmcnt(0)
	s_cmp_eq_u64 s[6:7], 0
	s_cbranch_scc1 .LBB54_3
; %bb.2:
	v_ashrrev_i32_e32 v2, 31, v15
	v_add_co_u32 v1, vcc_lo, s6, v15
	s_delay_alu instid0(VALU_DEP_2) | instskip(SKIP_3) | instid1(VALU_DEP_1)
	v_add_co_ci_u32_e32 v2, vcc_lo, s7, v2, vcc_lo
	global_load_u8 v1, v[1:2], off
	s_waitcnt vmcnt(0)
	v_and_b32_e32 v1, 1, v1
	v_cmp_eq_u32_e32 vcc_lo, 1, v1
	s_xor_b32 s2, vcc_lo, -1
	s_delay_alu instid0(SALU_CYCLE_1)
	s_or_not1_b32 s17, s2, exec_lo
	s_branch .LBB54_4
.LBB54_3:
	s_mov_b32 s17, -1
.LBB54_4:
	s_clause 0x1
	s_load_b64 s[14:15], s[0:1], 0x40
	s_load_b128 s[8:11], s[0:1], 0x30
	v_dual_mov_b32 v14, 0 :: v_dual_and_b32 v17, 3, v0
	s_delay_alu instid0(VALU_DEP_1) | instskip(SKIP_3) | instid1(VALU_DEP_1)
	v_lshlrev_b32_e32 v18, 3, v17
	v_cmp_eq_u32_e64 s2, 0, v17
	s_waitcnt lgkmcnt(0)
	v_mul_lo_u32 v1, v15, s15
	v_ashrrev_i32_e32 v2, 31, v1
	s_delay_alu instid0(VALU_DEP_1) | instskip(SKIP_1) | instid1(VALU_DEP_2)
	v_lshlrev_b64 v[0:1], 2, v[1:2]
	v_lshlrev_b32_e32 v2, 5, v17
	v_add_co_u32 v8, vcc_lo, s4, v0
	s_delay_alu instid0(VALU_DEP_3) | instskip(NEXT) | instid1(VALU_DEP_2)
	v_add_co_ci_u32_e32 v9, vcc_lo, s5, v1, vcc_lo
	v_add_co_u32 v4, vcc_lo, v8, v2
	s_delay_alu instid0(VALU_DEP_2)
	v_add_co_ci_u32_e32 v5, vcc_lo, 0, v9, vcc_lo
	s_clause 0x1
	global_load_b128 v[0:3], v[4:5], off offset:16
	global_load_b128 v[4:7], v[4:5], off
	s_and_saveexec_b32 s3, s2
	s_cbranch_execz .LBB54_6
; %bb.5:
	global_load_b32 v8, v[8:9], off offset:128
	s_waitcnt vmcnt(0)
	v_mul_f32_e32 v9, 0xbfb8aa3b, v8
	v_cmp_nlt_f32_e32 vcc_lo, 0x42ce8ed0, v8
	s_delay_alu instid0(VALU_DEP_2) | instskip(SKIP_1) | instid1(VALU_DEP_2)
	v_rndne_f32_e32 v10, v9
	v_fma_f32 v11, 0xbfb8aa3b, v8, -v9
	v_sub_f32_e32 v9, v9, v10
	s_delay_alu instid0(VALU_DEP_2) | instskip(SKIP_1) | instid1(VALU_DEP_2)
	v_fmamk_f32 v11, v8, 0xb2a5705f, v11
	v_cvt_i32_f32_e32 v10, v10
	v_add_f32_e32 v9, v9, v11
	s_delay_alu instid0(VALU_DEP_1) | instskip(SKIP_2) | instid1(VALU_DEP_1)
	v_exp_f32_e32 v9, v9
	s_waitcnt_depctr 0xfff
	v_ldexp_f32 v9, v9, v10
	v_cndmask_b32_e32 v9, 0, v9, vcc_lo
	v_cmp_ngt_f32_e32 vcc_lo, 0xc2b17218, v8
	s_delay_alu instid0(VALU_DEP_2) | instskip(NEXT) | instid1(VALU_DEP_1)
	v_cndmask_b32_e32 v8, 0x7f800000, v9, vcc_lo
	v_add_f32_e32 v10, 1.0, v8
	s_delay_alu instid0(VALU_DEP_1) | instskip(SKIP_1) | instid1(VALU_DEP_2)
	v_div_scale_f32 v11, null, v10, v10, 1.0
	v_div_scale_f32 v13, vcc_lo, 1.0, v10, 1.0
	v_rcp_f32_e32 v12, v11
	s_waitcnt_depctr 0xfff
	v_fma_f32 v8, -v11, v12, 1.0
	s_delay_alu instid0(VALU_DEP_1) | instskip(SKIP_1) | instid1(VALU_DEP_2)
	v_fmac_f32_e32 v12, v8, v12
	v_mad_u64_u32 v[8:9], null, v15, s11, s[8:9]
	v_mul_f32_e32 v16, v13, v12
	s_delay_alu instid0(VALU_DEP_2) | instskip(NEXT) | instid1(VALU_DEP_2)
	v_ashrrev_i32_e32 v9, 31, v8
	v_fma_f32 v19, -v11, v16, v13
	s_delay_alu instid0(VALU_DEP_2) | instskip(NEXT) | instid1(VALU_DEP_2)
	v_lshlrev_b64 v[8:9], 2, v[8:9]
	v_fmac_f32_e32 v16, v19, v12
	s_delay_alu instid0(VALU_DEP_1) | instskip(NEXT) | instid1(VALU_DEP_1)
	v_fma_f32 v11, -v11, v16, v13
	v_div_fmas_f32 v11, v11, v12, v16
	s_delay_alu instid0(VALU_DEP_4) | instskip(SKIP_1) | instid1(VALU_DEP_3)
	v_add_co_u32 v8, vcc_lo, s12, v8
	v_add_co_ci_u32_e32 v9, vcc_lo, s13, v9, vcc_lo
	v_div_fixup_f32 v10, v11, v10, 1.0
	global_store_b32 v[8:9], v10, off
.LBB54_6:
	s_or_b32 exec_lo, exec_lo, s3
	v_or_b32_e32 v19, 1, v18
	s_waitcnt vmcnt(0)
	v_cmp_lt_f32_e32 vcc_lo, v4, v5
	v_or_b32_e32 v20, 2, v18
	v_or_b32_e32 v21, 3, v18
	;; [unrolled: 1-line block ×4, first 2 shown]
	v_dual_cndmask_b32 v8, v18, v19 :: v_dual_cndmask_b32 v9, v4, v5
	v_or_b32_e32 v24, 6, v18
	v_or_b32_e32 v25, 7, v18
	s_delay_alu instid0(VALU_DEP_3) | instskip(NEXT) | instid1(VALU_DEP_4)
	v_cmp_lt_f32_e32 vcc_lo, v9, v6
	v_dual_cndmask_b32 v8, v8, v20 :: v_dual_cndmask_b32 v9, v9, v6
	s_delay_alu instid0(VALU_DEP_1) | instskip(NEXT) | instid1(VALU_DEP_2)
	v_cmp_lt_f32_e32 vcc_lo, v9, v7
	v_dual_cndmask_b32 v8, v8, v21 :: v_dual_cndmask_b32 v9, v9, v7
	s_delay_alu instid0(VALU_DEP_1) | instskip(NEXT) | instid1(VALU_DEP_2)
	;; [unrolled: 3-line block ×6, first 2 shown]
	v_mov_b32_dpp v11, v8 quad_perm:[1,0,3,2] row_mask:0xf bank_mask:0xf
	v_mov_b32_dpp v10, v9 quad_perm:[1,0,3,2] row_mask:0xf bank_mask:0xf
	s_delay_alu instid0(VALU_DEP_2) | instskip(NEXT) | instid1(VALU_DEP_2)
	v_cmp_lt_i32_e64 s3, v11, v8
	v_cmp_eq_f32_e32 vcc_lo, v9, v10
	v_cmp_lt_f32_e64 s4, v9, v10
	s_delay_alu instid0(VALU_DEP_3)
	s_and_b32 s3, vcc_lo, s3
	s_delay_alu instid0(VALU_DEP_1) | instid1(SALU_CYCLE_1)
	s_or_b32 vcc_lo, s4, s3
	v_dual_cndmask_b32 v9, v9, v10 :: v_dual_cndmask_b32 v8, v8, v11
	s_delay_alu instid0(VALU_DEP_1) | instskip(NEXT) | instid1(VALU_DEP_2)
	v_mov_b32_dpp v11, v9 quad_perm:[2,3,0,1] row_mask:0xf bank_mask:0xf
	v_mov_b32_dpp v10, v8 quad_perm:[2,3,0,1] row_mask:0xf bank_mask:0xf
	s_delay_alu instid0(VALU_DEP_2) | instskip(NEXT) | instid1(VALU_DEP_2)
	v_cmp_eq_f32_e32 vcc_lo, v9, v11
	v_cmp_lt_i32_e64 s3, v10, v8
	v_cmp_lt_f32_e64 s4, v9, v11
	s_delay_alu instid0(VALU_DEP_2)
	s_and_b32 s3, vcc_lo, s3
	s_delay_alu instid0(VALU_DEP_1) | instid1(SALU_CYCLE_1)
	s_or_b32 s3, s4, s3
	s_cmp_gt_i32 s8, 0
	v_cndmask_b32_e64 v16, v9, v11, s3
	s_cselect_b32 s15, -1, 0
	s_delay_alu instid0(SALU_CYCLE_1)
	s_and_b32 vcc_lo, exec_lo, s15
	s_cbranch_vccz .LBB54_18
; %bb.7:
	s_load_b128 s[4:7], s[0:1], 0x20
	v_mul_lo_u32 v9, v15, s11
	v_mul_lo_u32 v11, v15, s14
	;; [unrolled: 1-line block ×3, first 2 shown]
	v_cndmask_b32_e64 v8, v8, v10, s3
	v_mov_b32_e32 v14, 0
	s_and_saveexec_b32 s1, s2
	s_cbranch_execz .LBB54_9
; %bb.8:
	v_sub_f32_e32 v34, v16, v16
	v_cmp_le_i32_e32 vcc_lo, s9, v8
	v_cmp_gt_i32_e64 s0, s10, v8
	v_subrev_nc_u32_e32 v35, s9, v8
	v_ashrrev_i32_e32 v14, 31, v13
	v_mul_f32_e32 v10, 0x3fb8aa3b, v34
	s_delay_alu instid0(VALU_DEP_4) | instskip(NEXT) | instid1(SALU_CYCLE_1)
	s_and_b32 s0, vcc_lo, s0
	s_and_b32 vcc_lo, s17, s0
	s_delay_alu instid0(VALU_DEP_1) | instskip(SKIP_2) | instid1(VALU_DEP_3)
	v_rndne_f32_e32 v30, v10
	v_fma_f32 v12, 0x3fb8aa3b, v34, -v10
	v_lshlrev_b64 v[32:33], 2, v[13:14]
	v_sub_f32_e32 v10, v10, v30
	s_delay_alu instid0(VALU_DEP_3) | instskip(NEXT) | instid1(VALU_DEP_1)
	v_fmamk_f32 v12, v34, 0x32a5705f, v12
	v_add_f32_e32 v12, v10, v12
	v_ashrrev_i32_e32 v10, 31, v9
	s_delay_alu instid0(VALU_DEP_2) | instskip(NEXT) | instid1(VALU_DEP_1)
	v_exp_f32_e32 v36, v12
	v_lshlrev_b64 v[28:29], 2, v[9:10]
	v_ashrrev_i32_e32 v12, 31, v11
	v_cvt_i32_f32_e32 v10, v30
	s_delay_alu instid0(VALU_DEP_2) | instskip(SKIP_3) | instid1(TRANS32_DEP_1)
	v_lshlrev_b64 v[30:31], 2, v[11:12]
	v_cndmask_b32_e32 v12, 32, v35, vcc_lo
	v_add_co_u32 v28, vcc_lo, s12, v28
	v_add_co_ci_u32_e32 v29, vcc_lo, s13, v29, vcc_lo
	v_ldexp_f32 v10, v36, v10
	v_cmp_ngt_f32_e32 vcc_lo, 0xc2ce8ed0, v34
	s_delay_alu instid0(VALU_DEP_2)
	v_cndmask_b32_e32 v10, 0, v10, vcc_lo
	s_waitcnt lgkmcnt(0)
	v_add_co_u32 v30, vcc_lo, s4, v30
	v_add_co_ci_u32_e32 v31, vcc_lo, s5, v31, vcc_lo
	v_cmp_nlt_f32_e32 vcc_lo, 0x42b17218, v34
	v_cndmask_b32_e32 v14, 0x7f800000, v10, vcc_lo
	v_add_co_u32 v32, vcc_lo, s6, v32
	v_add_co_ci_u32_e32 v33, vcc_lo, s7, v33, vcc_lo
	global_store_b32 v[30:31], v12, off
	global_store_b32 v[28:29], v14, off
	;; [unrolled: 1-line block ×3, first 2 shown]
.LBB54_9:
	s_or_b32 exec_lo, exec_lo, s1
	v_ashrrev_i32_e32 v12, 31, v8
	s_mov_b32 s0, exec_lo
	s_delay_alu instid0(VALU_DEP_1) | instskip(NEXT) | instid1(VALU_DEP_1)
	v_lshrrev_b32_e32 v10, 29, v12
	v_add_nc_u32_e32 v10, v8, v10
	s_delay_alu instid0(VALU_DEP_1) | instskip(NEXT) | instid1(VALU_DEP_1)
	v_ashrrev_i32_e32 v10, 3, v10
	v_lshrrev_b32_e32 v28, 30, v10
	s_delay_alu instid0(VALU_DEP_1) | instskip(NEXT) | instid1(VALU_DEP_1)
	v_add_nc_u32_e32 v28, v10, v28
	v_and_b32_e32 v28, -4, v28
	s_delay_alu instid0(VALU_DEP_1) | instskip(NEXT) | instid1(VALU_DEP_1)
	v_sub_nc_u32_e32 v28, v10, v28
	v_cmpx_eq_u32_e64 v17, v28
	s_cbranch_execz .LBB54_11
; %bb.10:
	v_lshrrev_b32_e32 v12, 27, v12
	v_lshlrev_b32_e32 v10, 3, v10
	s_delay_alu instid0(VALU_DEP_2) | instskip(NEXT) | instid1(VALU_DEP_2)
	v_add_nc_u32_e32 v12, v8, v12
	v_sub_nc_u32_e32 v8, v8, v10
	s_delay_alu instid0(VALU_DEP_2) | instskip(NEXT) | instid1(VALU_DEP_1)
	v_ashrrev_i32_e32 v10, 5, v12
	v_lshl_add_u32 v8, v10, 3, v8
	s_delay_alu instid0(VALU_DEP_1)
	v_cmp_ne_u32_e32 vcc_lo, 7, v8
	v_cndmask_b32_e32 v3, 0xff800000, v3, vcc_lo
	v_cmp_ne_u32_e32 vcc_lo, 6, v8
	v_cndmask_b32_e32 v2, 0xff800000, v2, vcc_lo
	;; [unrolled: 2-line block ×8, first 2 shown]
.LBB54_11:
	s_or_b32 exec_lo, exec_lo, s0
	s_cmp_eq_u32 s8, 1
	s_cbranch_scc1 .LBB54_18
; %bb.12:
	s_add_i32 s18, s18, s16
	v_add_nc_u32_e32 v8, 1, v13
	v_add3_u32 v26, s18, v27, v26
	v_add_nc_u32_e32 v10, 1, v11
	v_add_nc_u32_e32 v12, 1, v9
	s_add_i32 s3, s8, -1
	s_branch .LBB54_14
.LBB54_13:                              ;   in Loop: Header=BB54_14 Depth=1
	s_or_b32 exec_lo, exec_lo, s0
	v_add_nc_u32_e32 v26, s16, v26
	v_add_nc_u32_e32 v8, 1, v8
	;; [unrolled: 1-line block ×4, first 2 shown]
	s_add_i32 s3, s3, -1
	s_delay_alu instid0(SALU_CYCLE_1)
	s_cmp_eq_u32 s3, 0
	s_cbranch_scc1 .LBB54_18
.LBB54_14:                              ; =>This Inner Loop Header: Depth=1
	v_cmp_gt_f32_e32 vcc_lo, v5, v4
	v_cndmask_b32_e32 v11, v4, v5, vcc_lo
	v_cndmask_b32_e32 v9, v18, v19, vcc_lo
	s_delay_alu instid0(VALU_DEP_2) | instskip(SKIP_1) | instid1(VALU_DEP_3)
	v_cmp_gt_f32_e32 vcc_lo, v6, v11
	v_cndmask_b32_e32 v11, v11, v6, vcc_lo
	v_cndmask_b32_e32 v9, v9, v20, vcc_lo
	s_delay_alu instid0(VALU_DEP_2) | instskip(SKIP_1) | instid1(VALU_DEP_3)
	;; [unrolled: 4-line block ×5, first 2 shown]
	v_cmp_gt_f32_e32 vcc_lo, v2, v11
	v_cndmask_b32_e32 v11, v11, v2, vcc_lo
	v_cndmask_b32_e32 v9, v9, v24, vcc_lo
	s_delay_alu instid0(VALU_DEP_2) | instskip(NEXT) | instid1(VALU_DEP_2)
	v_cmp_gt_f32_e32 vcc_lo, v3, v11
	v_cndmask_b32_e32 v13, v9, v25, vcc_lo
	v_cndmask_b32_e32 v9, v11, v3, vcc_lo
	s_delay_alu instid0(VALU_DEP_2) | instskip(NEXT) | instid1(VALU_DEP_2)
	v_mov_b32_dpp v11, v13 quad_perm:[1,0,3,2] row_mask:0xf bank_mask:0xf
	v_mov_b32_dpp v27, v9 quad_perm:[1,0,3,2] row_mask:0xf bank_mask:0xf
	s_delay_alu instid0(VALU_DEP_2) | instskip(NEXT) | instid1(VALU_DEP_2)
	v_cmp_lt_i32_e32 vcc_lo, v11, v13
	v_cmp_eq_f32_e64 s0, v9, v27
	v_cmp_lt_f32_e64 s1, v9, v27
	s_delay_alu instid0(VALU_DEP_2)
	s_and_b32 s0, s0, vcc_lo
	s_delay_alu instid0(VALU_DEP_1) | instid1(SALU_CYCLE_1)
	s_or_b32 vcc_lo, s1, s0
	v_cndmask_b32_e32 v9, v9, v27, vcc_lo
	v_cndmask_b32_e32 v13, v13, v11, vcc_lo
	s_delay_alu instid0(VALU_DEP_2) | instskip(NEXT) | instid1(VALU_DEP_2)
	v_mov_b32_dpp v11, v9 quad_perm:[2,3,0,1] row_mask:0xf bank_mask:0xf
	v_mov_b32_dpp v27, v13 quad_perm:[2,3,0,1] row_mask:0xf bank_mask:0xf
	s_delay_alu instid0(VALU_DEP_2) | instskip(NEXT) | instid1(VALU_DEP_2)
	v_cmp_eq_f32_e32 vcc_lo, v9, v11
	v_cmp_lt_i32_e64 s0, v27, v13
	v_cmp_lt_f32_e64 s1, v9, v11
	s_delay_alu instid0(VALU_DEP_2)
	s_and_b32 s0, vcc_lo, s0
	s_delay_alu instid0(VALU_DEP_1) | instid1(SALU_CYCLE_1)
	s_or_b32 vcc_lo, s1, s0
	v_cndmask_b32_e32 v27, v13, v27, vcc_lo
	s_and_saveexec_b32 s1, s2
	s_cbranch_execz .LBB54_16
; %bb.15:                               ;   in Loop: Header=BB54_14 Depth=1
	v_cndmask_b32_e32 v9, v9, v11, vcc_lo
	s_delay_alu instid0(VALU_DEP_2) | instskip(SKIP_3) | instid1(VALU_DEP_3)
	v_cmp_le_i32_e32 vcc_lo, s9, v27
	v_cmp_gt_i32_e64 s0, s10, v27
	v_subrev_nc_u32_e32 v35, s9, v27
	v_ashrrev_i32_e32 v13, 31, v12
	s_and_b32 s0, vcc_lo, s0
	s_delay_alu instid0(SALU_CYCLE_1) | instskip(SKIP_1) | instid1(VALU_DEP_1)
	s_and_b32 vcc_lo, s17, s0
	v_sub_f32_e32 v34, v9, v16
	v_mul_f32_e32 v9, 0x3fb8aa3b, v34
	s_delay_alu instid0(VALU_DEP_1) | instskip(SKIP_1) | instid1(VALU_DEP_2)
	v_fma_f32 v11, 0x3fb8aa3b, v34, -v9
	v_rndne_f32_e32 v28, v9
	v_fmac_f32_e32 v11, 0x32a5705f, v34
	s_delay_alu instid0(VALU_DEP_2) | instskip(SKIP_2) | instid1(VALU_DEP_3)
	v_sub_f32_e32 v9, v9, v28
	v_cvt_i32_f32_e32 v33, v28
	v_lshlrev_b64 v[28:29], 2, v[12:13]
	v_add_f32_e32 v9, v9, v11
	v_ashrrev_i32_e32 v11, 31, v10
	s_delay_alu instid0(VALU_DEP_2) | instskip(SKIP_1) | instid1(VALU_DEP_2)
	v_exp_f32_e32 v32, v9
	v_ashrrev_i32_e32 v9, 31, v8
	v_lshlrev_b64 v[30:31], 2, v[10:11]
	s_waitcnt_depctr 0xfff
	v_ldexp_f32 v11, v32, v33
	v_lshlrev_b64 v[32:33], 2, v[8:9]
	v_cndmask_b32_e32 v9, 32, v35, vcc_lo
	v_cmp_ngt_f32_e32 vcc_lo, 0xc2ce8ed0, v34
	s_delay_alu instid0(VALU_DEP_4) | instskip(SKIP_3) | instid1(VALU_DEP_4)
	v_cndmask_b32_e32 v11, 0, v11, vcc_lo
	v_add_co_u32 v28, vcc_lo, s12, v28
	v_add_co_ci_u32_e32 v29, vcc_lo, s13, v29, vcc_lo
	v_cmp_nlt_f32_e32 vcc_lo, 0x42b17218, v34
	v_cndmask_b32_e32 v11, 0x7f800000, v11, vcc_lo
	s_waitcnt lgkmcnt(0)
	v_add_co_u32 v30, vcc_lo, s4, v30
	v_add_co_ci_u32_e32 v31, vcc_lo, s5, v31, vcc_lo
	s_delay_alu instid0(VALU_DEP_3)
	v_add_f32_e32 v14, v14, v11
	v_add_co_u32 v32, vcc_lo, s6, v32
	v_add_co_ci_u32_e32 v33, vcc_lo, s7, v33, vcc_lo
	global_store_b32 v[28:29], v11, off
	global_store_b32 v[30:31], v9, off
	;; [unrolled: 1-line block ×3, first 2 shown]
.LBB54_16:                              ;   in Loop: Header=BB54_14 Depth=1
	s_or_b32 exec_lo, exec_lo, s1
	s_delay_alu instid0(VALU_DEP_1) | instskip(SKIP_1) | instid1(VALU_DEP_1)
	v_ashrrev_i32_e32 v11, 31, v27
	s_mov_b32 s0, exec_lo
	v_lshrrev_b32_e32 v9, 29, v11
	s_delay_alu instid0(VALU_DEP_1) | instskip(NEXT) | instid1(VALU_DEP_1)
	v_add_nc_u32_e32 v9, v27, v9
	v_ashrrev_i32_e32 v9, 3, v9
	s_delay_alu instid0(VALU_DEP_1) | instskip(NEXT) | instid1(VALU_DEP_1)
	v_lshrrev_b32_e32 v13, 30, v9
	v_add_nc_u32_e32 v13, v9, v13
	s_delay_alu instid0(VALU_DEP_1) | instskip(NEXT) | instid1(VALU_DEP_1)
	v_and_b32_e32 v13, -4, v13
	v_sub_nc_u32_e32 v13, v9, v13
	s_delay_alu instid0(VALU_DEP_1)
	v_cmpx_eq_u32_e64 v17, v13
	s_cbranch_execz .LBB54_13
; %bb.17:                               ;   in Loop: Header=BB54_14 Depth=1
	v_lshrrev_b32_e32 v11, 27, v11
	v_lshlrev_b32_e32 v9, 3, v9
	s_delay_alu instid0(VALU_DEP_2) | instskip(NEXT) | instid1(VALU_DEP_2)
	v_add_nc_u32_e32 v11, v27, v11
	v_sub_nc_u32_e32 v9, v27, v9
	s_delay_alu instid0(VALU_DEP_2) | instskip(NEXT) | instid1(VALU_DEP_1)
	v_ashrrev_i32_e32 v11, 5, v11
	v_lshl_add_u32 v9, v11, 3, v9
	s_delay_alu instid0(VALU_DEP_1)
	v_cmp_ne_u32_e32 vcc_lo, 7, v9
	v_cndmask_b32_e32 v3, 0xff800000, v3, vcc_lo
	v_cmp_ne_u32_e32 vcc_lo, 6, v9
	v_cndmask_b32_e32 v2, 0xff800000, v2, vcc_lo
	;; [unrolled: 2-line block ×8, first 2 shown]
	s_branch .LBB54_13
.LBB54_18:
	s_delay_alu instid0(VALU_DEP_1)
	v_sub_f32_e32 v7, v7, v16
	v_sub_f32_e32 v6, v6, v16
	;; [unrolled: 1-line block ×5, first 2 shown]
	v_mul_f32_e32 v11, 0x3fb8aa3b, v7
	v_dual_sub_f32 v5, v5, v16 :: v_dual_mul_f32 v10, 0x3fb8aa3b, v6
	v_sub_f32_e32 v4, v4, v16
	s_delay_alu instid0(VALU_DEP_3) | instskip(NEXT) | instid1(VALU_DEP_3)
	v_rndne_f32_e32 v22, v11
	v_mul_f32_e32 v9, 0x3fb8aa3b, v5
	s_delay_alu instid0(VALU_DEP_4) | instskip(SKIP_2) | instid1(VALU_DEP_4)
	v_fma_f32 v19, 0x3fb8aa3b, v6, -v10
	v_rndne_f32_e32 v20, v10
	v_cmp_ngt_f32_e32 vcc_lo, 0xc2ce8ed0, v4
	v_rndne_f32_e32 v18, v9
	v_mul_f32_e32 v8, 0x3fb8aa3b, v4
	v_fma_f32 v17, 0x3fb8aa3b, v5, -v9
	v_dual_fmac_f32 v19, 0x32a5705f, v6 :: v_dual_sub_f32 v10, v10, v20
	s_delay_alu instid0(VALU_DEP_4) | instskip(NEXT) | instid1(VALU_DEP_4)
	v_sub_f32_e32 v9, v9, v18
	v_fma_f32 v12, 0x3fb8aa3b, v4, -v8
	v_rndne_f32_e32 v13, v8
	s_delay_alu instid0(VALU_DEP_4) | instskip(NEXT) | instid1(VALU_DEP_3)
	v_dual_fmac_f32 v17, 0x32a5705f, v5 :: v_dual_add_f32 v10, v10, v19
	v_fmac_f32_e32 v12, 0x32a5705f, v4
	s_delay_alu instid0(VALU_DEP_3) | instskip(NEXT) | instid1(VALU_DEP_3)
	v_sub_f32_e32 v8, v8, v13
	v_add_f32_e32 v9, v9, v17
	v_fma_f32 v21, 0x3fb8aa3b, v7, -v11
	v_sub_f32_e32 v11, v11, v22
	v_exp_f32_e32 v10, v10
	v_add_f32_e32 v8, v8, v12
	v_exp_f32_e32 v9, v9
	v_cvt_i32_f32_e32 v12, v13
	v_cvt_i32_f32_e32 v13, v18
	s_delay_alu instid0(VALU_DEP_3)
	v_exp_f32_e32 v8, v8
	s_waitcnt_depctr 0xfff
	v_ldexp_f32 v9, v9, v13
	v_mul_f32_e32 v13, 0x3fb8aa3b, v3
	v_ldexp_f32 v8, v8, v12
	v_fmac_f32_e32 v21, 0x32a5705f, v7
	v_cvt_i32_f32_e32 v12, v20
	s_delay_alu instid0(VALU_DEP_3) | instskip(SKIP_1) | instid1(VALU_DEP_3)
	v_cndmask_b32_e32 v8, 0, v8, vcc_lo
	v_cmp_ngt_f32_e32 vcc_lo, 0xc2ce8ed0, v5
	v_ldexp_f32 v10, v10, v12
	v_cndmask_b32_e32 v9, 0, v9, vcc_lo
	v_cmp_nlt_f32_e32 vcc_lo, 0x42b17218, v4
	v_dual_add_f32 v11, v11, v21 :: v_dual_cndmask_b32 v4, 0x7f800000, v8
	v_cmp_nlt_f32_e32 vcc_lo, 0x42b17218, v5
	s_delay_alu instid0(VALU_DEP_2)
	v_exp_f32_e32 v11, v11
	v_cndmask_b32_e32 v5, 0x7f800000, v9, vcc_lo
	v_cmp_ngt_f32_e32 vcc_lo, 0xc2ce8ed0, v6
	v_cvt_i32_f32_e32 v9, v22
	v_cndmask_b32_e32 v8, 0, v10, vcc_lo
	v_cmp_nlt_f32_e32 vcc_lo, 0x42b17218, v6
	v_add_f32_e32 v4, v4, v5
	v_mul_f32_e32 v6, 0x3fb8aa3b, v0
	s_delay_alu instid0(VALU_DEP_4) | instskip(NEXT) | instid1(TRANS32_DEP_1)
	v_cndmask_b32_e32 v5, 0x7f800000, v8, vcc_lo
	v_ldexp_f32 v8, v11, v9
	s_delay_alu instid0(VALU_DEP_3) | instskip(SKIP_1) | instid1(VALU_DEP_4)
	v_rndne_f32_e32 v9, v6
	v_cmp_ngt_f32_e32 vcc_lo, 0xc2ce8ed0, v7
	v_add_f32_e32 v4, v4, v5
	v_fma_f32 v5, 0x3fb8aa3b, v0, -v6
	s_delay_alu instid0(VALU_DEP_4) | instskip(SKIP_1) | instid1(VALU_DEP_3)
	v_sub_f32_e32 v6, v6, v9
	v_cvt_i32_f32_e32 v9, v9
	v_fmac_f32_e32 v5, 0x32a5705f, v0
	v_cndmask_b32_e32 v8, 0, v8, vcc_lo
	v_cmp_nlt_f32_e32 vcc_lo, 0x42b17218, v7
	s_delay_alu instid0(VALU_DEP_3) | instskip(NEXT) | instid1(VALU_DEP_3)
	v_add_f32_e32 v5, v6, v5
	v_cndmask_b32_e32 v7, 0x7f800000, v8, vcc_lo
	v_cmp_ngt_f32_e32 vcc_lo, 0xc2ce8ed0, v0
	s_delay_alu instid0(VALU_DEP_3)
	v_exp_f32_e32 v5, v5
	s_waitcnt_depctr 0xfff
	v_ldexp_f32 v5, v5, v9
	v_sub_f32_e32 v2, v2, v16
	v_rndne_f32_e32 v16, v13
	v_mul_f32_e32 v8, 0x3fb8aa3b, v1
	s_delay_alu instid0(VALU_DEP_3) | instskip(NEXT) | instid1(VALU_DEP_3)
	v_dual_cndmask_b32 v5, 0, v5 :: v_dual_mul_f32 v10, 0x3fb8aa3b, v2
	v_sub_f32_e32 v9, v13, v16
	s_delay_alu instid0(VALU_DEP_3) | instskip(SKIP_1) | instid1(VALU_DEP_4)
	v_fma_f32 v6, 0x3fb8aa3b, v1, -v8
	v_cmp_nlt_f32_e32 vcc_lo, 0x42b17218, v0
	v_fma_f32 v11, 0x3fb8aa3b, v2, -v10
	v_add_f32_e32 v4, v4, v7
	v_rndne_f32_e32 v7, v8
	v_fmac_f32_e32 v6, 0x32a5705f, v1
	v_rndne_f32_e32 v12, v10
	v_fmac_f32_e32 v11, 0x32a5705f, v2
	v_cndmask_b32_e32 v0, 0x7f800000, v5, vcc_lo
	v_sub_f32_e32 v8, v8, v7
	v_cvt_i32_f32_e32 v7, v7
	v_cmp_ngt_f32_e32 vcc_lo, 0xc2ce8ed0, v1
	v_cvt_i32_f32_e32 v5, v12
	v_add_f32_e32 v0, v4, v0
	v_add_f32_e32 v6, v8, v6
	s_delay_alu instid0(VALU_DEP_1) | instskip(SKIP_2) | instid1(VALU_DEP_1)
	v_exp_f32_e32 v6, v6
	s_waitcnt_depctr 0xfff
	v_ldexp_f32 v6, v6, v7
	v_cndmask_b32_e32 v6, 0, v6, vcc_lo
	v_cmp_nlt_f32_e32 vcc_lo, 0x42b17218, v1
	v_sub_f32_e32 v8, v10, v12
	v_fma_f32 v10, 0x3fb8aa3b, v3, -v13
	s_delay_alu instid0(VALU_DEP_2) | instskip(NEXT) | instid1(VALU_DEP_2)
	v_dual_cndmask_b32 v1, 0x7f800000, v6 :: v_dual_add_f32 v8, v8, v11
	v_fmac_f32_e32 v10, 0x32a5705f, v3
	v_cmp_ngt_f32_e32 vcc_lo, 0xc2ce8ed0, v2
	s_delay_alu instid0(VALU_DEP_3) | instskip(NEXT) | instid1(VALU_DEP_4)
	v_add_f32_e32 v0, v0, v1
	v_exp_f32_e32 v8, v8
	s_delay_alu instid0(VALU_DEP_3) | instskip(NEXT) | instid1(VALU_DEP_1)
	v_add_f32_e32 v9, v9, v10
	v_exp_f32_e32 v7, v9
	s_waitcnt_depctr 0xfff
	v_ldexp_f32 v4, v8, v5
	v_cvt_i32_f32_e32 v5, v16
	s_delay_alu instid0(VALU_DEP_2) | instskip(SKIP_1) | instid1(VALU_DEP_3)
	v_cndmask_b32_e32 v4, 0, v4, vcc_lo
	v_cmp_nlt_f32_e32 vcc_lo, 0x42b17218, v2
	v_ldexp_f32 v5, v7, v5
	s_delay_alu instid0(VALU_DEP_3) | instskip(SKIP_1) | instid1(VALU_DEP_2)
	v_cndmask_b32_e32 v1, 0x7f800000, v4, vcc_lo
	v_cmp_ngt_f32_e32 vcc_lo, 0xc2ce8ed0, v3
	v_add_f32_e32 v0, v0, v1
	s_delay_alu instid0(VALU_DEP_4) | instskip(SKIP_1) | instid1(VALU_DEP_2)
	v_cndmask_b32_e32 v2, 0, v5, vcc_lo
	v_cmp_nlt_f32_e32 vcc_lo, 0x42b17218, v3
	v_cndmask_b32_e32 v1, 0x7f800000, v2, vcc_lo
	s_delay_alu instid0(VALU_DEP_1) | instskip(NEXT) | instid1(VALU_DEP_1)
	v_add_f32_e32 v0, v0, v1
	v_mov_b32_dpp v1, v0 quad_perm:[1,0,3,2] row_mask:0xf bank_mask:0xf
	s_delay_alu instid0(VALU_DEP_1) | instskip(NEXT) | instid1(VALU_DEP_1)
	v_add_f32_e32 v0, v0, v1
	v_mov_b32_dpp v1, v0 quad_perm:[2,3,0,1] row_mask:0xf bank_mask:0xf
	s_and_b32 exec_lo, exec_lo, s2
	s_cbranch_execz .LBB54_23
; %bb.19:
	s_delay_alu instid0(VALU_DEP_1) | instskip(NEXT) | instid1(VALU_DEP_1)
	v_add_f32_e32 v0, v0, v1
	v_add_f32_e32 v0, v14, v0
	s_delay_alu instid0(VALU_DEP_1)
	v_cmp_neq_f32_e32 vcc_lo, 0, v0
	s_and_b32 exec_lo, exec_lo, vcc_lo
	s_cbranch_execz .LBB54_23
; %bb.20:
	s_and_not1_b32 vcc_lo, exec_lo, s15
	s_cbranch_vccnz .LBB54_23
; %bb.21:
	v_div_scale_f32 v2, null, v0, v0, 1.0
	v_div_scale_f32 v4, vcc_lo, 1.0, v0, 1.0
	s_delay_alu instid0(VALU_DEP_2) | instskip(SKIP_2) | instid1(VALU_DEP_1)
	v_rcp_f32_e32 v3, v2
	s_waitcnt_depctr 0xfff
	v_fma_f32 v1, -v2, v3, 1.0
	v_fmac_f32_e32 v3, v1, v3
	v_mul_lo_u32 v1, v15, s11
	s_delay_alu instid0(VALU_DEP_2) | instskip(NEXT) | instid1(VALU_DEP_1)
	v_mul_f32_e32 v5, v4, v3
	v_fma_f32 v6, -v2, v5, v4
	s_delay_alu instid0(VALU_DEP_1) | instskip(NEXT) | instid1(VALU_DEP_1)
	v_fmac_f32_e32 v5, v6, v3
	v_fma_f32 v4, -v2, v5, v4
	v_ashrrev_i32_e32 v2, 31, v1
	s_delay_alu instid0(VALU_DEP_2) | instskip(NEXT) | instid1(VALU_DEP_2)
	v_div_fmas_f32 v5, v4, v3, v5
	v_lshlrev_b64 v[3:4], 2, v[1:2]
	s_delay_alu instid0(VALU_DEP_2) | instskip(NEXT) | instid1(VALU_DEP_2)
	v_div_fixup_f32 v2, v5, v0, 1.0
	v_add_co_u32 v0, vcc_lo, s12, v3
	s_delay_alu instid0(VALU_DEP_3)
	v_add_co_ci_u32_e32 v1, vcc_lo, s13, v4, vcc_lo
.LBB54_22:                              ; =>This Inner Loop Header: Depth=1
	global_load_b32 v3, v[0:1], off
	s_add_i32 s8, s8, -1
	s_delay_alu instid0(SALU_CYCLE_1)
	s_cmp_lg_u32 s8, 0
	s_waitcnt vmcnt(0)
	v_mul_f32_e32 v3, v2, v3
	global_store_b32 v[0:1], v3, off
	v_add_co_u32 v0, vcc_lo, v0, 4
	v_add_co_ci_u32_e32 v1, vcc_lo, 0, v1, vcc_lo
	s_cbranch_scc1 .LBB54_22
.LBB54_23:
	s_nop 0
	s_sendmsg sendmsg(MSG_DEALLOC_VGPRS)
	s_endpgm
	.section	.rodata,"a",@progbits
	.p2align	6, 0x0
	.amdhsa_kernel _ZN4vllm3moe17topkGatingSoftmaxIfLi8ELi32ELi8ELi32ELb0ELi1ELNS0_23SharedExpertScoringFuncE1EEEvPKT_PKbPfiPiS9_iiiiii
		.amdhsa_group_segment_fixed_size 0
		.amdhsa_private_segment_fixed_size 0
		.amdhsa_kernarg_size 72
		.amdhsa_user_sgpr_count 15
		.amdhsa_user_sgpr_dispatch_ptr 0
		.amdhsa_user_sgpr_queue_ptr 0
		.amdhsa_user_sgpr_kernarg_segment_ptr 1
		.amdhsa_user_sgpr_dispatch_id 0
		.amdhsa_user_sgpr_private_segment_size 0
		.amdhsa_wavefront_size32 1
		.amdhsa_uses_dynamic_stack 0
		.amdhsa_enable_private_segment 0
		.amdhsa_system_sgpr_workgroup_id_x 1
		.amdhsa_system_sgpr_workgroup_id_y 0
		.amdhsa_system_sgpr_workgroup_id_z 0
		.amdhsa_system_sgpr_workgroup_info 0
		.amdhsa_system_vgpr_workitem_id 1
		.amdhsa_next_free_vgpr 37
		.amdhsa_next_free_sgpr 19
		.amdhsa_reserve_vcc 1
		.amdhsa_float_round_mode_32 0
		.amdhsa_float_round_mode_16_64 0
		.amdhsa_float_denorm_mode_32 3
		.amdhsa_float_denorm_mode_16_64 3
		.amdhsa_dx10_clamp 1
		.amdhsa_ieee_mode 1
		.amdhsa_fp16_overflow 0
		.amdhsa_workgroup_processor_mode 1
		.amdhsa_memory_ordered 1
		.amdhsa_forward_progress 0
		.amdhsa_shared_vgpr_count 0
		.amdhsa_exception_fp_ieee_invalid_op 0
		.amdhsa_exception_fp_denorm_src 0
		.amdhsa_exception_fp_ieee_div_zero 0
		.amdhsa_exception_fp_ieee_overflow 0
		.amdhsa_exception_fp_ieee_underflow 0
		.amdhsa_exception_fp_ieee_inexact 0
		.amdhsa_exception_int_div_zero 0
	.end_amdhsa_kernel
	.section	.text._ZN4vllm3moe17topkGatingSoftmaxIfLi8ELi32ELi8ELi32ELb0ELi1ELNS0_23SharedExpertScoringFuncE1EEEvPKT_PKbPfiPiS9_iiiiii,"axG",@progbits,_ZN4vllm3moe17topkGatingSoftmaxIfLi8ELi32ELi8ELi32ELb0ELi1ELNS0_23SharedExpertScoringFuncE1EEEvPKT_PKbPfiPiS9_iiiiii,comdat
.Lfunc_end54:
	.size	_ZN4vllm3moe17topkGatingSoftmaxIfLi8ELi32ELi8ELi32ELb0ELi1ELNS0_23SharedExpertScoringFuncE1EEEvPKT_PKbPfiPiS9_iiiiii, .Lfunc_end54-_ZN4vllm3moe17topkGatingSoftmaxIfLi8ELi32ELi8ELi32ELb0ELi1ELNS0_23SharedExpertScoringFuncE1EEEvPKT_PKbPfiPiS9_iiiiii
                                        ; -- End function
	.section	.AMDGPU.csdata,"",@progbits
; Kernel info:
; codeLenInByte = 3260
; NumSgprs: 21
; NumVgprs: 37
; ScratchSize: 0
; MemoryBound: 0
; FloatMode: 240
; IeeeMode: 1
; LDSByteSize: 0 bytes/workgroup (compile time only)
; SGPRBlocks: 2
; VGPRBlocks: 4
; NumSGPRsForWavesPerEU: 21
; NumVGPRsForWavesPerEU: 37
; Occupancy: 16
; WaveLimiterHint : 0
; COMPUTE_PGM_RSRC2:SCRATCH_EN: 0
; COMPUTE_PGM_RSRC2:USER_SGPR: 15
; COMPUTE_PGM_RSRC2:TRAP_HANDLER: 0
; COMPUTE_PGM_RSRC2:TGID_X_EN: 1
; COMPUTE_PGM_RSRC2:TGID_Y_EN: 0
; COMPUTE_PGM_RSRC2:TGID_Z_EN: 0
; COMPUTE_PGM_RSRC2:TIDIG_COMP_CNT: 1
	.section	.text._ZN4vllm3moe17topkGatingSoftmaxIfLi8ELi32ELi8ELi32ELb1ELi2ELNS0_23SharedExpertScoringFuncE1EEEvPKT_PKbPfiPiS9_iiiiii,"axG",@progbits,_ZN4vllm3moe17topkGatingSoftmaxIfLi8ELi32ELi8ELi32ELb1ELi2ELNS0_23SharedExpertScoringFuncE1EEEvPKT_PKbPfiPiS9_iiiiii,comdat
	.protected	_ZN4vllm3moe17topkGatingSoftmaxIfLi8ELi32ELi8ELi32ELb1ELi2ELNS0_23SharedExpertScoringFuncE1EEEvPKT_PKbPfiPiS9_iiiiii ; -- Begin function _ZN4vllm3moe17topkGatingSoftmaxIfLi8ELi32ELi8ELi32ELb1ELi2ELNS0_23SharedExpertScoringFuncE1EEEvPKT_PKbPfiPiS9_iiiiii
	.globl	_ZN4vllm3moe17topkGatingSoftmaxIfLi8ELi32ELi8ELi32ELb1ELi2ELNS0_23SharedExpertScoringFuncE1EEEvPKT_PKbPfiPiS9_iiiiii
	.p2align	8
	.type	_ZN4vllm3moe17topkGatingSoftmaxIfLi8ELi32ELi8ELi32ELb1ELi2ELNS0_23SharedExpertScoringFuncE1EEEvPKT_PKbPfiPiS9_iiiiii,@function
_ZN4vllm3moe17topkGatingSoftmaxIfLi8ELi32ELi8ELi32ELb1ELi2ELNS0_23SharedExpertScoringFuncE1EEEvPKT_PKbPfiPiS9_iiiiii: ; @_ZN4vllm3moe17topkGatingSoftmaxIfLi8ELi32ELi8ELi32ELb1ELi2ELNS0_23SharedExpertScoringFuncE1EEEvPKT_PKbPfiPiS9_iiiiii
; %bb.0:
	s_load_b32 s16, s[0:1], 0x18
	v_bfe_u32 v1, v0, 10, 10
	v_and_b32_e32 v0, 0x3ff, v0
	s_lshl_b32 s18, s15, 6
	s_mov_b32 s2, exec_lo
	s_delay_alu instid0(VALU_DEP_2) | instskip(NEXT) | instid1(VALU_DEP_2)
	v_lshlrev_b32_e32 v25, 3, v1
	v_lshrrev_b32_e32 v26, 2, v0
	s_delay_alu instid0(VALU_DEP_1) | instskip(SKIP_1) | instid1(VALU_DEP_1)
	v_add3_u32 v15, s18, v25, v26
	s_waitcnt lgkmcnt(0)
	v_cmpx_gt_i32_e64 s16, v15
	s_cbranch_execz .LBB55_22
; %bb.1:
	s_clause 0x1
	s_load_b128 s[4:7], s[0:1], 0x0
	s_load_b64 s[12:13], s[0:1], 0x10
	s_waitcnt lgkmcnt(0)
	s_cmp_eq_u64 s[6:7], 0
	s_cbranch_scc1 .LBB55_3
; %bb.2:
	v_ashrrev_i32_e32 v2, 31, v15
	v_add_co_u32 v1, vcc_lo, s6, v15
	s_delay_alu instid0(VALU_DEP_2) | instskip(SKIP_3) | instid1(VALU_DEP_1)
	v_add_co_ci_u32_e32 v2, vcc_lo, s7, v2, vcc_lo
	global_load_u8 v1, v[1:2], off
	s_waitcnt vmcnt(0)
	v_and_b32_e32 v1, 1, v1
	v_cmp_eq_u32_e32 vcc_lo, 1, v1
	s_xor_b32 s2, vcc_lo, -1
	s_delay_alu instid0(SALU_CYCLE_1)
	s_or_not1_b32 s17, s2, exec_lo
	s_branch .LBB55_4
.LBB55_3:
	s_mov_b32 s17, -1
.LBB55_4:
	s_load_b64 s[14:15], s[0:1], 0x40
	v_and_b32_e32 v16, 3, v0
	s_mov_b32 s2, exec_lo
	s_delay_alu instid0(VALU_DEP_1) | instskip(SKIP_2) | instid1(VALU_DEP_1)
	v_dual_mov_b32 v14, 0 :: v_dual_lshlrev_b32 v17, 3, v16
	s_waitcnt lgkmcnt(0)
	v_mul_lo_u32 v1, v15, s15
	v_ashrrev_i32_e32 v2, 31, v1
	s_delay_alu instid0(VALU_DEP_1) | instskip(SKIP_1) | instid1(VALU_DEP_2)
	v_lshlrev_b64 v[0:1], 2, v[1:2]
	v_lshlrev_b32_e32 v2, 5, v16
	v_add_co_u32 v8, vcc_lo, s4, v0
	s_delay_alu instid0(VALU_DEP_3) | instskip(SKIP_1) | instid1(VALU_DEP_2)
	v_add_co_ci_u32_e32 v9, vcc_lo, s5, v1, vcc_lo
	s_load_b128 s[4:7], s[0:1], 0x30
	v_add_co_u32 v4, vcc_lo, v8, v2
	s_delay_alu instid0(VALU_DEP_2)
	v_add_co_ci_u32_e32 v5, vcc_lo, 0, v9, vcc_lo
	s_clause 0x1
	global_load_b128 v[0:3], v[4:5], off offset:16
	global_load_b128 v[4:7], v[4:5], off
	v_cmpx_gt_u32_e32 2, v16
	s_cbranch_execz .LBB55_6
; %bb.5:
	v_lshlrev_b32_e32 v10, 2, v16
	s_delay_alu instid0(VALU_DEP_1)
	v_add_co_u32 v8, vcc_lo, v8, v10
	v_add_co_ci_u32_e32 v9, vcc_lo, 0, v9, vcc_lo
	global_load_b32 v8, v[8:9], off offset:128
	s_waitcnt vmcnt(0)
	v_mul_f32_e32 v9, 0xbfb8aa3b, v8
	v_cmp_nlt_f32_e32 vcc_lo, 0x42ce8ed0, v8
	s_delay_alu instid0(VALU_DEP_2) | instskip(SKIP_1) | instid1(VALU_DEP_1)
	v_fma_f32 v10, 0xbfb8aa3b, v8, -v9
	v_rndne_f32_e32 v11, v9
	v_dual_fmamk_f32 v10, v8, 0xb2a5705f, v10 :: v_dual_sub_f32 v9, v9, v11
	s_delay_alu instid0(VALU_DEP_1) | instskip(SKIP_1) | instid1(VALU_DEP_2)
	v_add_f32_e32 v9, v9, v10
	v_cvt_i32_f32_e32 v10, v11
	v_exp_f32_e32 v9, v9
	s_waitcnt_depctr 0xfff
	v_ldexp_f32 v9, v9, v10
	s_delay_alu instid0(VALU_DEP_1) | instskip(SKIP_1) | instid1(VALU_DEP_2)
	v_cndmask_b32_e32 v9, 0, v9, vcc_lo
	v_cmp_ngt_f32_e32 vcc_lo, 0xc2b17218, v8
	v_cndmask_b32_e32 v8, 0x7f800000, v9, vcc_lo
	s_delay_alu instid0(VALU_DEP_1) | instskip(NEXT) | instid1(VALU_DEP_1)
	v_add_f32_e32 v10, 1.0, v8
	v_div_scale_f32 v9, null, v10, v10, 1.0
	v_div_scale_f32 v12, vcc_lo, 1.0, v10, 1.0
	s_delay_alu instid0(VALU_DEP_2) | instskip(SKIP_2) | instid1(VALU_DEP_1)
	v_rcp_f32_e32 v11, v9
	s_waitcnt_depctr 0xfff
	v_fma_f32 v8, -v9, v11, 1.0
	v_fmac_f32_e32 v11, v8, v11
	s_waitcnt lgkmcnt(0)
	v_mul_lo_u32 v8, v15, s7
	s_delay_alu instid0(VALU_DEP_2) | instskip(NEXT) | instid1(VALU_DEP_2)
	v_mul_f32_e32 v13, v12, v11
	v_add3_u32 v8, v8, s4, v16
	s_delay_alu instid0(VALU_DEP_2) | instskip(NEXT) | instid1(VALU_DEP_1)
	v_fma_f32 v18, -v9, v13, v12
	v_fmac_f32_e32 v13, v18, v11
	s_delay_alu instid0(VALU_DEP_1) | instskip(NEXT) | instid1(VALU_DEP_4)
	v_fma_f32 v12, -v9, v13, v12
	v_ashrrev_i32_e32 v9, 31, v8
	s_delay_alu instid0(VALU_DEP_2) | instskip(NEXT) | instid1(VALU_DEP_2)
	v_div_fmas_f32 v11, v12, v11, v13
	v_lshlrev_b64 v[8:9], 2, v[8:9]
	s_delay_alu instid0(VALU_DEP_2) | instskip(NEXT) | instid1(VALU_DEP_2)
	v_div_fixup_f32 v10, v11, v10, 1.0
	v_add_co_u32 v8, vcc_lo, s12, v8
	s_delay_alu instid0(VALU_DEP_3)
	v_add_co_ci_u32_e32 v9, vcc_lo, s13, v9, vcc_lo
	global_store_b32 v[8:9], v10, off
.LBB55_6:
	s_or_b32 exec_lo, exec_lo, s2
	v_or_b32_e32 v18, 1, v17
	s_waitcnt vmcnt(0)
	v_cmp_lt_f32_e32 vcc_lo, v4, v5
	v_or_b32_e32 v19, 2, v17
	v_or_b32_e32 v20, 3, v17
	;; [unrolled: 1-line block ×4, first 2 shown]
	v_dual_cndmask_b32 v8, v17, v18 :: v_dual_cndmask_b32 v9, v4, v5
	v_or_b32_e32 v23, 6, v17
	v_or_b32_e32 v24, 7, v17
	s_delay_alu instid0(VALU_DEP_3) | instskip(NEXT) | instid1(VALU_DEP_4)
	v_cmp_lt_f32_e32 vcc_lo, v9, v6
	v_dual_cndmask_b32 v8, v8, v19 :: v_dual_cndmask_b32 v9, v9, v6
	s_delay_alu instid0(VALU_DEP_1) | instskip(NEXT) | instid1(VALU_DEP_2)
	v_cmp_lt_f32_e32 vcc_lo, v9, v7
	v_dual_cndmask_b32 v8, v8, v20 :: v_dual_cndmask_b32 v9, v9, v7
	s_delay_alu instid0(VALU_DEP_1) | instskip(NEXT) | instid1(VALU_DEP_2)
	;; [unrolled: 3-line block ×6, first 2 shown]
	v_mov_b32_dpp v11, v8 quad_perm:[1,0,3,2] row_mask:0xf bank_mask:0xf
	v_mov_b32_dpp v10, v9 quad_perm:[1,0,3,2] row_mask:0xf bank_mask:0xf
	s_delay_alu instid0(VALU_DEP_2) | instskip(NEXT) | instid1(VALU_DEP_2)
	v_cmp_lt_i32_e32 vcc_lo, v11, v8
	v_cmp_eq_f32_e64 s2, v9, v10
	v_cmp_lt_f32_e64 s3, v9, v10
	s_delay_alu instid0(VALU_DEP_2)
	s_and_b32 s2, s2, vcc_lo
	s_delay_alu instid0(VALU_DEP_1) | instid1(SALU_CYCLE_1)
	s_or_b32 vcc_lo, s3, s2
	s_waitcnt lgkmcnt(0)
	s_cmp_gt_i32 s4, 0
	v_cndmask_b32_e32 v10, v9, v10, vcc_lo
	v_cndmask_b32_e32 v8, v8, v11, vcc_lo
	v_cmp_eq_u32_e32 vcc_lo, 0, v16
	s_cselect_b32 s3, -1, 0
	s_cmp_lt_i32 s4, 1
	v_mov_b32_dpp v12, v10 quad_perm:[2,3,0,1] row_mask:0xf bank_mask:0xf
	v_mov_b32_dpp v27, v8 quad_perm:[2,3,0,1] row_mask:0xf bank_mask:0xf
	s_cbranch_scc1 .LBB55_18
; %bb.7:
	s_load_b128 s[8:11], s[0:1], 0x20
	s_delay_alu instid0(VALU_DEP_2) | instskip(NEXT) | instid1(VALU_DEP_2)
	v_cmp_eq_f32_e64 s0, v10, v12
	v_cmp_lt_i32_e64 s1, v27, v8
	v_cmp_lt_f32_e64 s2, v10, v12
	v_mul_lo_u32 v9, v15, s7
	v_mul_lo_u32 v11, v15, s14
	v_mul_lo_u32 v13, v15, s4
	s_and_b32 s0, s0, s1
	v_mov_b32_e32 v14, 0
	s_or_b32 s0, s2, s0
	s_delay_alu instid0(SALU_CYCLE_1)
	v_cndmask_b32_e64 v8, v8, v27, s0
	v_cndmask_b32_e64 v27, v10, v12, s0
	s_and_saveexec_b32 s2, vcc_lo
	s_cbranch_execz .LBB55_9
; %bb.8:
	s_delay_alu instid0(VALU_DEP_1)
	v_sub_f32_e32 v34, v27, v27
	v_cmp_le_i32_e64 s0, s5, v8
	v_cmp_gt_i32_e64 s1, s6, v8
	v_subrev_nc_u32_e32 v35, s5, v8
	v_ashrrev_i32_e32 v14, 31, v13
	v_mul_f32_e32 v10, 0x3fb8aa3b, v34
	s_delay_alu instid0(VALU_DEP_4) | instskip(NEXT) | instid1(SALU_CYCLE_1)
	s_and_b32 s0, s0, s1
	s_and_b32 s0, s17, s0
	s_delay_alu instid0(VALU_DEP_1) | instskip(SKIP_2) | instid1(VALU_DEP_3)
	v_rndne_f32_e32 v30, v10
	v_fma_f32 v12, 0x3fb8aa3b, v34, -v10
	v_lshlrev_b64 v[32:33], 2, v[13:14]
	v_sub_f32_e32 v10, v10, v30
	s_delay_alu instid0(VALU_DEP_3) | instskip(NEXT) | instid1(VALU_DEP_1)
	v_fmamk_f32 v12, v34, 0x32a5705f, v12
	v_add_f32_e32 v12, v10, v12
	v_ashrrev_i32_e32 v10, 31, v9
	s_delay_alu instid0(VALU_DEP_2) | instskip(NEXT) | instid1(VALU_DEP_1)
	v_exp_f32_e32 v36, v12
	v_lshlrev_b64 v[28:29], 2, v[9:10]
	v_ashrrev_i32_e32 v12, 31, v11
	v_cvt_i32_f32_e32 v10, v30
	s_delay_alu instid0(VALU_DEP_2) | instskip(SKIP_2) | instid1(VALU_DEP_1)
	v_lshlrev_b64 v[30:31], 2, v[11:12]
	v_cndmask_b32_e64 v12, 32, v35, s0
	v_add_co_u32 v28, s0, s12, v28
	v_add_co_ci_u32_e64 v29, s0, s13, v29, s0
	s_delay_alu instid0(TRANS32_DEP_1) | instskip(SKIP_1) | instid1(VALU_DEP_1)
	v_ldexp_f32 v10, v36, v10
	v_cmp_ngt_f32_e64 s0, 0xc2ce8ed0, v34
	v_cndmask_b32_e64 v10, 0, v10, s0
	s_waitcnt lgkmcnt(0)
	v_add_co_u32 v30, s0, s8, v30
	s_delay_alu instid0(VALU_DEP_1) | instskip(SKIP_1) | instid1(VALU_DEP_1)
	v_add_co_ci_u32_e64 v31, s0, s9, v31, s0
	v_cmp_nlt_f32_e64 s0, 0x42b17218, v34
	v_cndmask_b32_e64 v14, 0x7f800000, v10, s0
	v_add_co_u32 v32, s0, s10, v32
	s_delay_alu instid0(VALU_DEP_1)
	v_add_co_ci_u32_e64 v33, s0, s11, v33, s0
	global_store_b32 v[30:31], v12, off
	global_store_b32 v[28:29], v14, off
	;; [unrolled: 1-line block ×3, first 2 shown]
.LBB55_9:
	s_or_b32 exec_lo, exec_lo, s2
	v_ashrrev_i32_e32 v12, 31, v8
	s_mov_b32 s1, exec_lo
	s_delay_alu instid0(VALU_DEP_1) | instskip(NEXT) | instid1(VALU_DEP_1)
	v_lshrrev_b32_e32 v10, 29, v12
	v_add_nc_u32_e32 v10, v8, v10
	s_delay_alu instid0(VALU_DEP_1) | instskip(NEXT) | instid1(VALU_DEP_1)
	v_ashrrev_i32_e32 v10, 3, v10
	v_lshrrev_b32_e32 v28, 30, v10
	s_delay_alu instid0(VALU_DEP_1) | instskip(NEXT) | instid1(VALU_DEP_1)
	v_add_nc_u32_e32 v28, v10, v28
	v_and_b32_e32 v28, -4, v28
	s_delay_alu instid0(VALU_DEP_1) | instskip(NEXT) | instid1(VALU_DEP_1)
	v_sub_nc_u32_e32 v28, v10, v28
	v_cmpx_eq_u32_e64 v16, v28
	s_cbranch_execz .LBB55_11
; %bb.10:
	v_lshrrev_b32_e32 v12, 27, v12
	v_lshlrev_b32_e32 v10, 3, v10
	s_delay_alu instid0(VALU_DEP_2) | instskip(NEXT) | instid1(VALU_DEP_2)
	v_add_nc_u32_e32 v12, v8, v12
	v_sub_nc_u32_e32 v8, v8, v10
	s_delay_alu instid0(VALU_DEP_2) | instskip(NEXT) | instid1(VALU_DEP_1)
	v_ashrrev_i32_e32 v10, 5, v12
	v_lshl_add_u32 v8, v10, 3, v8
	s_delay_alu instid0(VALU_DEP_1) | instskip(NEXT) | instid1(VALU_DEP_1)
	v_cmp_ne_u32_e64 s0, 7, v8
	v_cndmask_b32_e64 v3, 0xff800000, v3, s0
	v_cmp_ne_u32_e64 s0, 6, v8
	s_delay_alu instid0(VALU_DEP_1) | instskip(SKIP_1) | instid1(VALU_DEP_1)
	v_cndmask_b32_e64 v2, 0xff800000, v2, s0
	v_cmp_ne_u32_e64 s0, 5, v8
	v_cndmask_b32_e64 v1, 0xff800000, v1, s0
	v_cmp_ne_u32_e64 s0, 4, v8
	s_delay_alu instid0(VALU_DEP_1) | instskip(SKIP_1) | instid1(VALU_DEP_1)
	v_cndmask_b32_e64 v0, 0xff800000, v0, s0
	;; [unrolled: 5-line block ×3, first 2 shown]
	v_cmp_ne_u32_e64 s0, 1, v8
	v_cndmask_b32_e64 v5, 0xff800000, v5, s0
	v_cmp_ne_u32_e64 s0, 0, v8
	s_delay_alu instid0(VALU_DEP_1)
	v_cndmask_b32_e64 v4, 0xff800000, v4, s0
.LBB55_11:
	s_or_b32 exec_lo, exec_lo, s1
	s_cmp_eq_u32 s4, 1
	s_cbranch_scc1 .LBB55_18
; %bb.12:
	s_add_i32 s18, s18, s16
	v_add_nc_u32_e32 v8, 1, v13
	v_add3_u32 v25, s18, v26, v25
	v_add_nc_u32_e32 v10, 1, v11
	v_add_nc_u32_e32 v12, 1, v9
	s_add_i32 s14, s4, -1
	s_branch .LBB55_14
.LBB55_13:                              ;   in Loop: Header=BB55_14 Depth=1
	s_or_b32 exec_lo, exec_lo, s1
	v_add_nc_u32_e32 v25, s16, v25
	v_add_nc_u32_e32 v8, 1, v8
	v_add_nc_u32_e32 v10, 1, v10
	v_add_nc_u32_e32 v12, 1, v12
	s_add_i32 s14, s14, -1
	s_delay_alu instid0(SALU_CYCLE_1)
	s_cmp_eq_u32 s14, 0
	s_cbranch_scc1 .LBB55_18
.LBB55_14:                              ; =>This Inner Loop Header: Depth=1
	v_cmp_gt_f32_e64 s0, v5, v4
	s_delay_alu instid0(VALU_DEP_1) | instskip(SKIP_1) | instid1(VALU_DEP_2)
	v_cndmask_b32_e64 v11, v4, v5, s0
	v_cndmask_b32_e64 v9, v17, v18, s0
	v_cmp_gt_f32_e64 s0, v6, v11
	s_delay_alu instid0(VALU_DEP_1) | instskip(NEXT) | instid1(VALU_DEP_3)
	v_cndmask_b32_e64 v11, v11, v6, s0
	v_cndmask_b32_e64 v9, v9, v19, s0
	s_delay_alu instid0(VALU_DEP_2) | instskip(NEXT) | instid1(VALU_DEP_1)
	v_cmp_gt_f32_e64 s0, v7, v11
	v_cndmask_b32_e64 v11, v11, v7, s0
	s_delay_alu instid0(VALU_DEP_3) | instskip(NEXT) | instid1(VALU_DEP_2)
	v_cndmask_b32_e64 v9, v9, v20, s0
	v_cmp_gt_f32_e64 s0, v0, v11
	s_delay_alu instid0(VALU_DEP_1) | instskip(NEXT) | instid1(VALU_DEP_3)
	v_cndmask_b32_e64 v11, v11, v0, s0
	v_cndmask_b32_e64 v9, v9, v21, s0
	s_delay_alu instid0(VALU_DEP_2) | instskip(NEXT) | instid1(VALU_DEP_1)
	v_cmp_gt_f32_e64 s0, v1, v11
	v_cndmask_b32_e64 v11, v11, v1, s0
	s_delay_alu instid0(VALU_DEP_3) | instskip(NEXT) | instid1(VALU_DEP_2)
	v_cndmask_b32_e64 v9, v9, v22, s0
	v_cmp_gt_f32_e64 s0, v2, v11
	s_delay_alu instid0(VALU_DEP_1) | instskip(NEXT) | instid1(VALU_DEP_3)
	v_cndmask_b32_e64 v11, v11, v2, s0
	v_cndmask_b32_e64 v9, v9, v23, s0
	s_delay_alu instid0(VALU_DEP_2) | instskip(NEXT) | instid1(VALU_DEP_1)
	v_cmp_gt_f32_e64 s0, v3, v11
	v_cndmask_b32_e64 v13, v9, v24, s0
	v_cndmask_b32_e64 v9, v11, v3, s0
	s_delay_alu instid0(VALU_DEP_2) | instskip(NEXT) | instid1(VALU_DEP_2)
	v_mov_b32_dpp v11, v13 quad_perm:[1,0,3,2] row_mask:0xf bank_mask:0xf
	v_mov_b32_dpp v26, v9 quad_perm:[1,0,3,2] row_mask:0xf bank_mask:0xf
	s_delay_alu instid0(VALU_DEP_2) | instskip(NEXT) | instid1(VALU_DEP_2)
	v_cmp_lt_i32_e64 s0, v11, v13
	v_cmp_eq_f32_e64 s1, v9, v26
	v_cmp_lt_f32_e64 s2, v9, v26
	s_delay_alu instid0(VALU_DEP_2)
	s_and_b32 s0, s1, s0
	s_delay_alu instid0(VALU_DEP_1) | instid1(SALU_CYCLE_1)
	s_or_b32 s0, s2, s0
	s_delay_alu instid0(SALU_CYCLE_1) | instskip(SKIP_1) | instid1(VALU_DEP_2)
	v_cndmask_b32_e64 v9, v9, v26, s0
	v_cndmask_b32_e64 v13, v13, v11, s0
	v_mov_b32_dpp v11, v9 quad_perm:[2,3,0,1] row_mask:0xf bank_mask:0xf
	s_delay_alu instid0(VALU_DEP_2) | instskip(NEXT) | instid1(VALU_DEP_2)
	v_mov_b32_dpp v26, v13 quad_perm:[2,3,0,1] row_mask:0xf bank_mask:0xf
	v_cmp_eq_f32_e64 s0, v9, v11
	s_delay_alu instid0(VALU_DEP_2) | instskip(SKIP_1) | instid1(VALU_DEP_2)
	v_cmp_lt_i32_e64 s1, v26, v13
	v_cmp_lt_f32_e64 s2, v9, v11
	s_and_b32 s0, s0, s1
	s_delay_alu instid0(VALU_DEP_1) | instid1(SALU_CYCLE_1)
	s_or_b32 s0, s2, s0
	s_delay_alu instid0(SALU_CYCLE_1)
	v_cndmask_b32_e64 v26, v13, v26, s0
	s_and_saveexec_b32 s2, vcc_lo
	s_cbranch_execz .LBB55_16
; %bb.15:                               ;   in Loop: Header=BB55_14 Depth=1
	v_cndmask_b32_e64 v9, v9, v11, s0
	s_delay_alu instid0(VALU_DEP_2) | instskip(SKIP_4) | instid1(VALU_DEP_4)
	v_cmp_le_i32_e64 s0, s5, v26
	v_cmp_gt_i32_e64 s1, s6, v26
	v_ashrrev_i32_e32 v13, 31, v12
	v_subrev_nc_u32_e32 v35, s5, v26
	v_sub_f32_e32 v34, v9, v27
	s_and_b32 s0, s0, s1
	s_delay_alu instid0(SALU_CYCLE_1) | instskip(NEXT) | instid1(VALU_DEP_1)
	s_and_b32 s0, s17, s0
	v_mul_f32_e32 v9, 0x3fb8aa3b, v34
	s_delay_alu instid0(VALU_DEP_1) | instskip(SKIP_1) | instid1(VALU_DEP_2)
	v_fma_f32 v11, 0x3fb8aa3b, v34, -v9
	v_rndne_f32_e32 v28, v9
	v_fmac_f32_e32 v11, 0x32a5705f, v34
	s_delay_alu instid0(VALU_DEP_2) | instskip(SKIP_2) | instid1(VALU_DEP_3)
	v_sub_f32_e32 v9, v9, v28
	v_cvt_i32_f32_e32 v33, v28
	v_lshlrev_b64 v[28:29], 2, v[12:13]
	v_add_f32_e32 v9, v9, v11
	v_ashrrev_i32_e32 v11, 31, v10
	s_delay_alu instid0(VALU_DEP_2) | instskip(SKIP_1) | instid1(VALU_DEP_2)
	v_exp_f32_e32 v32, v9
	v_ashrrev_i32_e32 v9, 31, v8
	v_lshlrev_b64 v[30:31], 2, v[10:11]
	s_waitcnt_depctr 0xfff
	v_ldexp_f32 v11, v32, v33
	v_lshlrev_b64 v[32:33], 2, v[8:9]
	v_cndmask_b32_e64 v9, 32, v35, s0
	v_cmp_ngt_f32_e64 s0, 0xc2ce8ed0, v34
	s_delay_alu instid0(VALU_DEP_1) | instskip(SKIP_1) | instid1(VALU_DEP_1)
	v_cndmask_b32_e64 v11, 0, v11, s0
	v_add_co_u32 v28, s0, s12, v28
	v_add_co_ci_u32_e64 v29, s0, s13, v29, s0
	v_cmp_nlt_f32_e64 s0, 0x42b17218, v34
	s_delay_alu instid0(VALU_DEP_1) | instskip(SKIP_2) | instid1(VALU_DEP_1)
	v_cndmask_b32_e64 v11, 0x7f800000, v11, s0
	s_waitcnt lgkmcnt(0)
	v_add_co_u32 v30, s0, s8, v30
	v_add_co_ci_u32_e64 v31, s0, s9, v31, s0
	s_delay_alu instid0(VALU_DEP_3) | instskip(SKIP_1) | instid1(VALU_DEP_1)
	v_add_f32_e32 v14, v14, v11
	v_add_co_u32 v32, s0, s10, v32
	v_add_co_ci_u32_e64 v33, s0, s11, v33, s0
	global_store_b32 v[28:29], v11, off
	global_store_b32 v[30:31], v9, off
	;; [unrolled: 1-line block ×3, first 2 shown]
.LBB55_16:                              ;   in Loop: Header=BB55_14 Depth=1
	s_or_b32 exec_lo, exec_lo, s2
	s_delay_alu instid0(VALU_DEP_1) | instskip(SKIP_1) | instid1(VALU_DEP_1)
	v_ashrrev_i32_e32 v11, 31, v26
	s_mov_b32 s1, exec_lo
	v_lshrrev_b32_e32 v9, 29, v11
	s_delay_alu instid0(VALU_DEP_1) | instskip(NEXT) | instid1(VALU_DEP_1)
	v_add_nc_u32_e32 v9, v26, v9
	v_ashrrev_i32_e32 v9, 3, v9
	s_delay_alu instid0(VALU_DEP_1) | instskip(NEXT) | instid1(VALU_DEP_1)
	v_lshrrev_b32_e32 v13, 30, v9
	v_add_nc_u32_e32 v13, v9, v13
	s_delay_alu instid0(VALU_DEP_1) | instskip(NEXT) | instid1(VALU_DEP_1)
	v_and_b32_e32 v13, -4, v13
	v_sub_nc_u32_e32 v13, v9, v13
	s_delay_alu instid0(VALU_DEP_1)
	v_cmpx_eq_u32_e64 v16, v13
	s_cbranch_execz .LBB55_13
; %bb.17:                               ;   in Loop: Header=BB55_14 Depth=1
	v_lshrrev_b32_e32 v11, 27, v11
	v_lshlrev_b32_e32 v9, 3, v9
	s_delay_alu instid0(VALU_DEP_2) | instskip(NEXT) | instid1(VALU_DEP_2)
	v_add_nc_u32_e32 v11, v26, v11
	v_sub_nc_u32_e32 v9, v26, v9
	s_delay_alu instid0(VALU_DEP_2) | instskip(NEXT) | instid1(VALU_DEP_1)
	v_ashrrev_i32_e32 v11, 5, v11
	v_lshl_add_u32 v9, v11, 3, v9
	s_delay_alu instid0(VALU_DEP_1) | instskip(NEXT) | instid1(VALU_DEP_1)
	v_cmp_ne_u32_e64 s0, 7, v9
	v_cndmask_b32_e64 v3, 0xff800000, v3, s0
	v_cmp_ne_u32_e64 s0, 6, v9
	s_delay_alu instid0(VALU_DEP_1) | instskip(SKIP_1) | instid1(VALU_DEP_1)
	v_cndmask_b32_e64 v2, 0xff800000, v2, s0
	v_cmp_ne_u32_e64 s0, 5, v9
	v_cndmask_b32_e64 v1, 0xff800000, v1, s0
	v_cmp_ne_u32_e64 s0, 4, v9
	s_delay_alu instid0(VALU_DEP_1) | instskip(SKIP_1) | instid1(VALU_DEP_1)
	v_cndmask_b32_e64 v0, 0xff800000, v0, s0
	;; [unrolled: 5-line block ×3, first 2 shown]
	v_cmp_ne_u32_e64 s0, 1, v9
	v_cndmask_b32_e64 v5, 0xff800000, v5, s0
	v_cmp_ne_u32_e64 s0, 0, v9
	s_delay_alu instid0(VALU_DEP_1)
	v_cndmask_b32_e64 v4, 0xff800000, v4, s0
	s_branch .LBB55_13
.LBB55_18:
	v_cmp_eq_u32_e32 vcc_lo, 0, v16
	v_cmp_neq_f32_e64 s0, 0, v14
	s_delay_alu instid0(VALU_DEP_1) | instskip(NEXT) | instid1(SALU_CYCLE_1)
	s_and_b32 s0, vcc_lo, s0
	s_and_b32 exec_lo, exec_lo, s0
	s_cbranch_execz .LBB55_22
; %bb.19:
	s_and_not1_b32 vcc_lo, exec_lo, s3
	s_cbranch_vccnz .LBB55_22
; %bb.20:
	v_div_scale_f32 v1, null, v14, v14, 1.0
	v_div_scale_f32 v3, vcc_lo, 1.0, v14, 1.0
	s_delay_alu instid0(VALU_DEP_2) | instskip(SKIP_2) | instid1(VALU_DEP_1)
	v_rcp_f32_e32 v2, v1
	s_waitcnt_depctr 0xfff
	v_fma_f32 v0, -v1, v2, 1.0
	v_fmac_f32_e32 v2, v0, v2
	v_mul_lo_u32 v0, v15, s7
	s_delay_alu instid0(VALU_DEP_2) | instskip(NEXT) | instid1(VALU_DEP_1)
	v_mul_f32_e32 v4, v3, v2
	v_fma_f32 v5, -v1, v4, v3
	s_delay_alu instid0(VALU_DEP_1) | instskip(NEXT) | instid1(VALU_DEP_1)
	v_fmac_f32_e32 v4, v5, v2
	v_fma_f32 v3, -v1, v4, v3
	v_ashrrev_i32_e32 v1, 31, v0
	s_delay_alu instid0(VALU_DEP_2) | instskip(NEXT) | instid1(VALU_DEP_2)
	v_div_fmas_f32 v2, v3, v2, v4
	v_lshlrev_b64 v[0:1], 2, v[0:1]
	s_delay_alu instid0(VALU_DEP_2) | instskip(NEXT) | instid1(VALU_DEP_2)
	v_div_fixup_f32 v2, v2, v14, 1.0
	v_add_co_u32 v0, vcc_lo, s12, v0
	s_delay_alu instid0(VALU_DEP_3)
	v_add_co_ci_u32_e32 v1, vcc_lo, s13, v1, vcc_lo
.LBB55_21:                              ; =>This Inner Loop Header: Depth=1
	global_load_b32 v3, v[0:1], off
	s_add_i32 s4, s4, -1
	s_delay_alu instid0(SALU_CYCLE_1)
	s_cmp_lg_u32 s4, 0
	s_waitcnt vmcnt(0)
	v_mul_f32_e32 v3, v2, v3
	global_store_b32 v[0:1], v3, off
	v_add_co_u32 v0, vcc_lo, v0, 4
	v_add_co_ci_u32_e32 v1, vcc_lo, 0, v1, vcc_lo
	s_cbranch_scc1 .LBB55_21
.LBB55_22:
	s_nop 0
	s_sendmsg sendmsg(MSG_DEALLOC_VGPRS)
	s_endpgm
	.section	.rodata,"a",@progbits
	.p2align	6, 0x0
	.amdhsa_kernel _ZN4vllm3moe17topkGatingSoftmaxIfLi8ELi32ELi8ELi32ELb1ELi2ELNS0_23SharedExpertScoringFuncE1EEEvPKT_PKbPfiPiS9_iiiiii
		.amdhsa_group_segment_fixed_size 0
		.amdhsa_private_segment_fixed_size 0
		.amdhsa_kernarg_size 72
		.amdhsa_user_sgpr_count 15
		.amdhsa_user_sgpr_dispatch_ptr 0
		.amdhsa_user_sgpr_queue_ptr 0
		.amdhsa_user_sgpr_kernarg_segment_ptr 1
		.amdhsa_user_sgpr_dispatch_id 0
		.amdhsa_user_sgpr_private_segment_size 0
		.amdhsa_wavefront_size32 1
		.amdhsa_uses_dynamic_stack 0
		.amdhsa_enable_private_segment 0
		.amdhsa_system_sgpr_workgroup_id_x 1
		.amdhsa_system_sgpr_workgroup_id_y 0
		.amdhsa_system_sgpr_workgroup_id_z 0
		.amdhsa_system_sgpr_workgroup_info 0
		.amdhsa_system_vgpr_workitem_id 1
		.amdhsa_next_free_vgpr 37
		.amdhsa_next_free_sgpr 19
		.amdhsa_reserve_vcc 1
		.amdhsa_float_round_mode_32 0
		.amdhsa_float_round_mode_16_64 0
		.amdhsa_float_denorm_mode_32 3
		.amdhsa_float_denorm_mode_16_64 3
		.amdhsa_dx10_clamp 1
		.amdhsa_ieee_mode 1
		.amdhsa_fp16_overflow 0
		.amdhsa_workgroup_processor_mode 1
		.amdhsa_memory_ordered 1
		.amdhsa_forward_progress 0
		.amdhsa_shared_vgpr_count 0
		.amdhsa_exception_fp_ieee_invalid_op 0
		.amdhsa_exception_fp_denorm_src 0
		.amdhsa_exception_fp_ieee_div_zero 0
		.amdhsa_exception_fp_ieee_overflow 0
		.amdhsa_exception_fp_ieee_underflow 0
		.amdhsa_exception_fp_ieee_inexact 0
		.amdhsa_exception_int_div_zero 0
	.end_amdhsa_kernel
	.section	.text._ZN4vllm3moe17topkGatingSoftmaxIfLi8ELi32ELi8ELi32ELb1ELi2ELNS0_23SharedExpertScoringFuncE1EEEvPKT_PKbPfiPiS9_iiiiii,"axG",@progbits,_ZN4vllm3moe17topkGatingSoftmaxIfLi8ELi32ELi8ELi32ELb1ELi2ELNS0_23SharedExpertScoringFuncE1EEEvPKT_PKbPfiPiS9_iiiiii,comdat
.Lfunc_end55:
	.size	_ZN4vllm3moe17topkGatingSoftmaxIfLi8ELi32ELi8ELi32ELb1ELi2ELNS0_23SharedExpertScoringFuncE1EEEvPKT_PKbPfiPiS9_iiiiii, .Lfunc_end55-_ZN4vllm3moe17topkGatingSoftmaxIfLi8ELi32ELi8ELi32ELb1ELi2ELNS0_23SharedExpertScoringFuncE1EEEvPKT_PKbPfiPiS9_iiiiii
                                        ; -- End function
	.section	.AMDGPU.csdata,"",@progbits
; Kernel info:
; codeLenInByte = 2784
; NumSgprs: 21
; NumVgprs: 37
; ScratchSize: 0
; MemoryBound: 0
; FloatMode: 240
; IeeeMode: 1
; LDSByteSize: 0 bytes/workgroup (compile time only)
; SGPRBlocks: 2
; VGPRBlocks: 4
; NumSGPRsForWavesPerEU: 21
; NumVGPRsForWavesPerEU: 37
; Occupancy: 16
; WaveLimiterHint : 0
; COMPUTE_PGM_RSRC2:SCRATCH_EN: 0
; COMPUTE_PGM_RSRC2:USER_SGPR: 15
; COMPUTE_PGM_RSRC2:TRAP_HANDLER: 0
; COMPUTE_PGM_RSRC2:TGID_X_EN: 1
; COMPUTE_PGM_RSRC2:TGID_Y_EN: 0
; COMPUTE_PGM_RSRC2:TGID_Z_EN: 0
; COMPUTE_PGM_RSRC2:TIDIG_COMP_CNT: 1
	.section	.text._ZN4vllm3moe17topkGatingSoftmaxIfLi8ELi32ELi8ELi32ELb0ELi2ELNS0_23SharedExpertScoringFuncE1EEEvPKT_PKbPfiPiS9_iiiiii,"axG",@progbits,_ZN4vllm3moe17topkGatingSoftmaxIfLi8ELi32ELi8ELi32ELb0ELi2ELNS0_23SharedExpertScoringFuncE1EEEvPKT_PKbPfiPiS9_iiiiii,comdat
	.protected	_ZN4vllm3moe17topkGatingSoftmaxIfLi8ELi32ELi8ELi32ELb0ELi2ELNS0_23SharedExpertScoringFuncE1EEEvPKT_PKbPfiPiS9_iiiiii ; -- Begin function _ZN4vllm3moe17topkGatingSoftmaxIfLi8ELi32ELi8ELi32ELb0ELi2ELNS0_23SharedExpertScoringFuncE1EEEvPKT_PKbPfiPiS9_iiiiii
	.globl	_ZN4vllm3moe17topkGatingSoftmaxIfLi8ELi32ELi8ELi32ELb0ELi2ELNS0_23SharedExpertScoringFuncE1EEEvPKT_PKbPfiPiS9_iiiiii
	.p2align	8
	.type	_ZN4vllm3moe17topkGatingSoftmaxIfLi8ELi32ELi8ELi32ELb0ELi2ELNS0_23SharedExpertScoringFuncE1EEEvPKT_PKbPfiPiS9_iiiiii,@function
_ZN4vllm3moe17topkGatingSoftmaxIfLi8ELi32ELi8ELi32ELb0ELi2ELNS0_23SharedExpertScoringFuncE1EEEvPKT_PKbPfiPiS9_iiiiii: ; @_ZN4vllm3moe17topkGatingSoftmaxIfLi8ELi32ELi8ELi32ELb0ELi2ELNS0_23SharedExpertScoringFuncE1EEEvPKT_PKbPfiPiS9_iiiiii
; %bb.0:
	s_load_b32 s16, s[0:1], 0x18
	v_bfe_u32 v1, v0, 10, 10
	v_and_b32_e32 v0, 0x3ff, v0
	s_lshl_b32 s18, s15, 6
	s_mov_b32 s2, exec_lo
	s_delay_alu instid0(VALU_DEP_2) | instskip(NEXT) | instid1(VALU_DEP_2)
	v_lshlrev_b32_e32 v26, 3, v1
	v_lshrrev_b32_e32 v27, 2, v0
	s_delay_alu instid0(VALU_DEP_1) | instskip(SKIP_1) | instid1(VALU_DEP_1)
	v_add3_u32 v15, s18, v26, v27
	s_waitcnt lgkmcnt(0)
	v_cmpx_gt_i32_e64 s16, v15
	s_cbranch_execz .LBB56_23
; %bb.1:
	s_clause 0x1
	s_load_b128 s[4:7], s[0:1], 0x0
	s_load_b64 s[12:13], s[0:1], 0x10
	s_waitcnt lgkmcnt(0)
	s_cmp_eq_u64 s[6:7], 0
	s_cbranch_scc1 .LBB56_3
; %bb.2:
	v_ashrrev_i32_e32 v2, 31, v15
	v_add_co_u32 v1, vcc_lo, s6, v15
	s_delay_alu instid0(VALU_DEP_2) | instskip(SKIP_3) | instid1(VALU_DEP_1)
	v_add_co_ci_u32_e32 v2, vcc_lo, s7, v2, vcc_lo
	global_load_u8 v1, v[1:2], off
	s_waitcnt vmcnt(0)
	v_and_b32_e32 v1, 1, v1
	v_cmp_eq_u32_e32 vcc_lo, 1, v1
	s_xor_b32 s2, vcc_lo, -1
	s_delay_alu instid0(SALU_CYCLE_1)
	s_or_not1_b32 s17, s2, exec_lo
	s_branch .LBB56_4
.LBB56_3:
	s_mov_b32 s17, -1
.LBB56_4:
	s_load_b64 s[14:15], s[0:1], 0x40
	v_and_b32_e32 v16, 3, v0
	v_mov_b32_e32 v14, 0
	s_mov_b32 s2, exec_lo
	s_delay_alu instid0(VALU_DEP_2) | instskip(SKIP_2) | instid1(VALU_DEP_1)
	v_lshlrev_b32_e32 v18, 3, v16
	s_waitcnt lgkmcnt(0)
	v_mul_lo_u32 v1, v15, s15
	v_ashrrev_i32_e32 v2, 31, v1
	s_delay_alu instid0(VALU_DEP_1) | instskip(SKIP_1) | instid1(VALU_DEP_2)
	v_lshlrev_b64 v[0:1], 2, v[1:2]
	v_lshlrev_b32_e32 v2, 5, v16
	v_add_co_u32 v8, vcc_lo, s4, v0
	s_delay_alu instid0(VALU_DEP_3) | instskip(SKIP_1) | instid1(VALU_DEP_2)
	v_add_co_ci_u32_e32 v9, vcc_lo, s5, v1, vcc_lo
	s_load_b128 s[4:7], s[0:1], 0x30
	v_add_co_u32 v4, vcc_lo, v8, v2
	s_delay_alu instid0(VALU_DEP_2)
	v_add_co_ci_u32_e32 v5, vcc_lo, 0, v9, vcc_lo
	s_clause 0x1
	global_load_b128 v[0:3], v[4:5], off offset:16
	global_load_b128 v[4:7], v[4:5], off
	v_cmpx_gt_u32_e32 2, v16
	s_cbranch_execz .LBB56_6
; %bb.5:
	v_lshlrev_b32_e32 v10, 2, v16
	s_delay_alu instid0(VALU_DEP_1)
	v_add_co_u32 v8, vcc_lo, v8, v10
	v_add_co_ci_u32_e32 v9, vcc_lo, 0, v9, vcc_lo
	global_load_b32 v8, v[8:9], off offset:128
	s_waitcnt vmcnt(0)
	v_mul_f32_e32 v9, 0xbfb8aa3b, v8
	v_cmp_nlt_f32_e32 vcc_lo, 0x42ce8ed0, v8
	s_delay_alu instid0(VALU_DEP_2) | instskip(SKIP_1) | instid1(VALU_DEP_1)
	v_fma_f32 v10, 0xbfb8aa3b, v8, -v9
	v_rndne_f32_e32 v11, v9
	v_dual_fmamk_f32 v10, v8, 0xb2a5705f, v10 :: v_dual_sub_f32 v9, v9, v11
	s_delay_alu instid0(VALU_DEP_1) | instskip(SKIP_1) | instid1(VALU_DEP_2)
	v_add_f32_e32 v9, v9, v10
	v_cvt_i32_f32_e32 v10, v11
	v_exp_f32_e32 v9, v9
	s_waitcnt_depctr 0xfff
	v_ldexp_f32 v9, v9, v10
	s_delay_alu instid0(VALU_DEP_1) | instskip(SKIP_1) | instid1(VALU_DEP_2)
	v_cndmask_b32_e32 v9, 0, v9, vcc_lo
	v_cmp_ngt_f32_e32 vcc_lo, 0xc2b17218, v8
	v_cndmask_b32_e32 v8, 0x7f800000, v9, vcc_lo
	s_delay_alu instid0(VALU_DEP_1) | instskip(NEXT) | instid1(VALU_DEP_1)
	v_add_f32_e32 v10, 1.0, v8
	v_div_scale_f32 v9, null, v10, v10, 1.0
	v_div_scale_f32 v12, vcc_lo, 1.0, v10, 1.0
	s_delay_alu instid0(VALU_DEP_2) | instskip(SKIP_2) | instid1(VALU_DEP_1)
	v_rcp_f32_e32 v11, v9
	s_waitcnt_depctr 0xfff
	v_fma_f32 v8, -v9, v11, 1.0
	v_fmac_f32_e32 v11, v8, v11
	s_waitcnt lgkmcnt(0)
	v_mul_lo_u32 v8, v15, s7
	s_delay_alu instid0(VALU_DEP_2) | instskip(NEXT) | instid1(VALU_DEP_2)
	v_mul_f32_e32 v13, v12, v11
	v_add3_u32 v8, v8, s4, v16
	s_delay_alu instid0(VALU_DEP_2) | instskip(NEXT) | instid1(VALU_DEP_1)
	v_fma_f32 v17, -v9, v13, v12
	v_fmac_f32_e32 v13, v17, v11
	s_delay_alu instid0(VALU_DEP_1) | instskip(NEXT) | instid1(VALU_DEP_4)
	v_fma_f32 v12, -v9, v13, v12
	v_ashrrev_i32_e32 v9, 31, v8
	s_delay_alu instid0(VALU_DEP_2) | instskip(NEXT) | instid1(VALU_DEP_2)
	v_div_fmas_f32 v11, v12, v11, v13
	v_lshlrev_b64 v[8:9], 2, v[8:9]
	s_delay_alu instid0(VALU_DEP_2) | instskip(NEXT) | instid1(VALU_DEP_2)
	v_div_fixup_f32 v10, v11, v10, 1.0
	v_add_co_u32 v8, vcc_lo, s12, v8
	s_delay_alu instid0(VALU_DEP_3)
	v_add_co_ci_u32_e32 v9, vcc_lo, s13, v9, vcc_lo
	global_store_b32 v[8:9], v10, off
.LBB56_6:
	s_or_b32 exec_lo, exec_lo, s2
	v_or_b32_e32 v19, 1, v18
	s_waitcnt vmcnt(0)
	v_cmp_lt_f32_e32 vcc_lo, v4, v5
	v_or_b32_e32 v20, 2, v18
	v_or_b32_e32 v21, 3, v18
	;; [unrolled: 1-line block ×4, first 2 shown]
	v_dual_cndmask_b32 v8, v18, v19 :: v_dual_cndmask_b32 v9, v4, v5
	v_or_b32_e32 v24, 6, v18
	v_or_b32_e32 v25, 7, v18
	s_delay_alu instid0(VALU_DEP_3) | instskip(NEXT) | instid1(VALU_DEP_4)
	v_cmp_lt_f32_e32 vcc_lo, v9, v6
	v_dual_cndmask_b32 v8, v8, v20 :: v_dual_cndmask_b32 v9, v9, v6
	s_delay_alu instid0(VALU_DEP_1) | instskip(NEXT) | instid1(VALU_DEP_2)
	v_cmp_lt_f32_e32 vcc_lo, v9, v7
	v_dual_cndmask_b32 v8, v8, v21 :: v_dual_cndmask_b32 v9, v9, v7
	s_delay_alu instid0(VALU_DEP_1) | instskip(NEXT) | instid1(VALU_DEP_2)
	;; [unrolled: 3-line block ×6, first 2 shown]
	v_mov_b32_dpp v10, v8 quad_perm:[1,0,3,2] row_mask:0xf bank_mask:0xf
	v_mov_b32_dpp v11, v9 quad_perm:[1,0,3,2] row_mask:0xf bank_mask:0xf
	s_delay_alu instid0(VALU_DEP_2) | instskip(NEXT) | instid1(VALU_DEP_2)
	v_cmp_lt_i32_e32 vcc_lo, v10, v8
	v_cmp_eq_f32_e64 s2, v9, v11
	v_cmp_lt_f32_e64 s3, v9, v11
	s_delay_alu instid0(VALU_DEP_2)
	s_and_b32 s2, s2, vcc_lo
	s_delay_alu instid0(VALU_DEP_1) | instid1(SALU_CYCLE_1)
	s_or_b32 vcc_lo, s3, s2
	v_dual_cndmask_b32 v9, v9, v11 :: v_dual_cndmask_b32 v8, v8, v10
	s_delay_alu instid0(VALU_DEP_1) | instskip(NEXT) | instid1(VALU_DEP_2)
	v_mov_b32_dpp v11, v9 quad_perm:[2,3,0,1] row_mask:0xf bank_mask:0xf
	v_mov_b32_dpp v10, v8 quad_perm:[2,3,0,1] row_mask:0xf bank_mask:0xf
	s_delay_alu instid0(VALU_DEP_2) | instskip(NEXT) | instid1(VALU_DEP_2)
	v_cmp_eq_f32_e32 vcc_lo, v9, v11
	v_cmp_lt_i32_e64 s2, v10, v8
	v_cmp_lt_f32_e64 s3, v9, v11
	s_delay_alu instid0(VALU_DEP_2) | instskip(SKIP_1) | instid1(VALU_DEP_2)
	s_and_b32 s2, vcc_lo, s2
	v_cmp_eq_u32_e32 vcc_lo, 0, v16
	s_or_b32 s2, s3, s2
	s_waitcnt lgkmcnt(0)
	s_cmp_gt_i32 s4, 0
	v_cndmask_b32_e64 v17, v9, v11, s2
	s_cselect_b32 s3, -1, 0
	s_cmp_lt_i32 s4, 1
	s_cbranch_scc1 .LBB56_18
; %bb.7:
	s_load_b128 s[8:11], s[0:1], 0x20
	v_mul_lo_u32 v9, v15, s7
	v_mul_lo_u32 v11, v15, s14
	;; [unrolled: 1-line block ×3, first 2 shown]
	v_cndmask_b32_e64 v8, v8, v10, s2
	v_mov_b32_e32 v14, 0
	s_and_saveexec_b32 s2, vcc_lo
	s_cbranch_execz .LBB56_9
; %bb.8:
	v_sub_f32_e32 v34, v17, v17
	v_cmp_le_i32_e64 s0, s5, v8
	v_cmp_gt_i32_e64 s1, s6, v8
	v_subrev_nc_u32_e32 v35, s5, v8
	v_ashrrev_i32_e32 v14, 31, v13
	v_mul_f32_e32 v10, 0x3fb8aa3b, v34
	s_delay_alu instid0(VALU_DEP_4) | instskip(NEXT) | instid1(SALU_CYCLE_1)
	s_and_b32 s0, s0, s1
	s_and_b32 s0, s17, s0
	s_delay_alu instid0(VALU_DEP_1) | instskip(SKIP_2) | instid1(VALU_DEP_3)
	v_rndne_f32_e32 v30, v10
	v_fma_f32 v12, 0x3fb8aa3b, v34, -v10
	v_lshlrev_b64 v[32:33], 2, v[13:14]
	v_sub_f32_e32 v10, v10, v30
	s_delay_alu instid0(VALU_DEP_3) | instskip(NEXT) | instid1(VALU_DEP_1)
	v_fmamk_f32 v12, v34, 0x32a5705f, v12
	v_add_f32_e32 v12, v10, v12
	v_ashrrev_i32_e32 v10, 31, v9
	s_delay_alu instid0(VALU_DEP_2) | instskip(NEXT) | instid1(VALU_DEP_1)
	v_exp_f32_e32 v36, v12
	v_lshlrev_b64 v[28:29], 2, v[9:10]
	v_ashrrev_i32_e32 v12, 31, v11
	v_cvt_i32_f32_e32 v10, v30
	s_delay_alu instid0(VALU_DEP_2) | instskip(SKIP_2) | instid1(VALU_DEP_1)
	v_lshlrev_b64 v[30:31], 2, v[11:12]
	v_cndmask_b32_e64 v12, 32, v35, s0
	v_add_co_u32 v28, s0, s12, v28
	v_add_co_ci_u32_e64 v29, s0, s13, v29, s0
	s_delay_alu instid0(TRANS32_DEP_1) | instskip(SKIP_1) | instid1(VALU_DEP_1)
	v_ldexp_f32 v10, v36, v10
	v_cmp_ngt_f32_e64 s0, 0xc2ce8ed0, v34
	v_cndmask_b32_e64 v10, 0, v10, s0
	s_waitcnt lgkmcnt(0)
	v_add_co_u32 v30, s0, s8, v30
	s_delay_alu instid0(VALU_DEP_1) | instskip(SKIP_1) | instid1(VALU_DEP_1)
	v_add_co_ci_u32_e64 v31, s0, s9, v31, s0
	v_cmp_nlt_f32_e64 s0, 0x42b17218, v34
	v_cndmask_b32_e64 v14, 0x7f800000, v10, s0
	v_add_co_u32 v32, s0, s10, v32
	s_delay_alu instid0(VALU_DEP_1)
	v_add_co_ci_u32_e64 v33, s0, s11, v33, s0
	global_store_b32 v[30:31], v12, off
	global_store_b32 v[28:29], v14, off
	;; [unrolled: 1-line block ×3, first 2 shown]
.LBB56_9:
	s_or_b32 exec_lo, exec_lo, s2
	v_ashrrev_i32_e32 v12, 31, v8
	s_mov_b32 s1, exec_lo
	s_delay_alu instid0(VALU_DEP_1) | instskip(NEXT) | instid1(VALU_DEP_1)
	v_lshrrev_b32_e32 v10, 29, v12
	v_add_nc_u32_e32 v10, v8, v10
	s_delay_alu instid0(VALU_DEP_1) | instskip(NEXT) | instid1(VALU_DEP_1)
	v_ashrrev_i32_e32 v10, 3, v10
	v_lshrrev_b32_e32 v28, 30, v10
	s_delay_alu instid0(VALU_DEP_1) | instskip(NEXT) | instid1(VALU_DEP_1)
	v_add_nc_u32_e32 v28, v10, v28
	v_and_b32_e32 v28, -4, v28
	s_delay_alu instid0(VALU_DEP_1) | instskip(NEXT) | instid1(VALU_DEP_1)
	v_sub_nc_u32_e32 v28, v10, v28
	v_cmpx_eq_u32_e64 v16, v28
	s_cbranch_execz .LBB56_11
; %bb.10:
	v_lshrrev_b32_e32 v12, 27, v12
	v_lshlrev_b32_e32 v10, 3, v10
	s_delay_alu instid0(VALU_DEP_2) | instskip(NEXT) | instid1(VALU_DEP_2)
	v_add_nc_u32_e32 v12, v8, v12
	v_sub_nc_u32_e32 v8, v8, v10
	s_delay_alu instid0(VALU_DEP_2) | instskip(NEXT) | instid1(VALU_DEP_1)
	v_ashrrev_i32_e32 v10, 5, v12
	v_lshl_add_u32 v8, v10, 3, v8
	s_delay_alu instid0(VALU_DEP_1) | instskip(NEXT) | instid1(VALU_DEP_1)
	v_cmp_ne_u32_e64 s0, 7, v8
	v_cndmask_b32_e64 v3, 0xff800000, v3, s0
	v_cmp_ne_u32_e64 s0, 6, v8
	s_delay_alu instid0(VALU_DEP_1) | instskip(SKIP_1) | instid1(VALU_DEP_1)
	v_cndmask_b32_e64 v2, 0xff800000, v2, s0
	v_cmp_ne_u32_e64 s0, 5, v8
	v_cndmask_b32_e64 v1, 0xff800000, v1, s0
	v_cmp_ne_u32_e64 s0, 4, v8
	s_delay_alu instid0(VALU_DEP_1) | instskip(SKIP_1) | instid1(VALU_DEP_1)
	v_cndmask_b32_e64 v0, 0xff800000, v0, s0
	;; [unrolled: 5-line block ×3, first 2 shown]
	v_cmp_ne_u32_e64 s0, 1, v8
	v_cndmask_b32_e64 v5, 0xff800000, v5, s0
	v_cmp_ne_u32_e64 s0, 0, v8
	s_delay_alu instid0(VALU_DEP_1)
	v_cndmask_b32_e64 v4, 0xff800000, v4, s0
.LBB56_11:
	s_or_b32 exec_lo, exec_lo, s1
	s_cmp_eq_u32 s4, 1
	s_cbranch_scc1 .LBB56_18
; %bb.12:
	s_add_i32 s18, s18, s16
	v_add_nc_u32_e32 v8, 1, v13
	v_add3_u32 v26, s18, v27, v26
	v_add_nc_u32_e32 v10, 1, v11
	v_add_nc_u32_e32 v12, 1, v9
	s_add_i32 s14, s4, -1
	s_branch .LBB56_14
.LBB56_13:                              ;   in Loop: Header=BB56_14 Depth=1
	s_or_b32 exec_lo, exec_lo, s1
	v_add_nc_u32_e32 v26, s16, v26
	v_add_nc_u32_e32 v8, 1, v8
	;; [unrolled: 1-line block ×4, first 2 shown]
	s_add_i32 s14, s14, -1
	s_delay_alu instid0(SALU_CYCLE_1)
	s_cmp_eq_u32 s14, 0
	s_cbranch_scc1 .LBB56_18
.LBB56_14:                              ; =>This Inner Loop Header: Depth=1
	v_cmp_gt_f32_e64 s0, v5, v4
	s_delay_alu instid0(VALU_DEP_1) | instskip(SKIP_1) | instid1(VALU_DEP_2)
	v_cndmask_b32_e64 v11, v4, v5, s0
	v_cndmask_b32_e64 v9, v18, v19, s0
	v_cmp_gt_f32_e64 s0, v6, v11
	s_delay_alu instid0(VALU_DEP_1) | instskip(NEXT) | instid1(VALU_DEP_3)
	v_cndmask_b32_e64 v11, v11, v6, s0
	v_cndmask_b32_e64 v9, v9, v20, s0
	s_delay_alu instid0(VALU_DEP_2) | instskip(NEXT) | instid1(VALU_DEP_1)
	v_cmp_gt_f32_e64 s0, v7, v11
	v_cndmask_b32_e64 v11, v11, v7, s0
	s_delay_alu instid0(VALU_DEP_3) | instskip(NEXT) | instid1(VALU_DEP_2)
	v_cndmask_b32_e64 v9, v9, v21, s0
	v_cmp_gt_f32_e64 s0, v0, v11
	s_delay_alu instid0(VALU_DEP_1) | instskip(NEXT) | instid1(VALU_DEP_3)
	v_cndmask_b32_e64 v11, v11, v0, s0
	v_cndmask_b32_e64 v9, v9, v22, s0
	s_delay_alu instid0(VALU_DEP_2) | instskip(NEXT) | instid1(VALU_DEP_1)
	v_cmp_gt_f32_e64 s0, v1, v11
	v_cndmask_b32_e64 v11, v11, v1, s0
	s_delay_alu instid0(VALU_DEP_3) | instskip(NEXT) | instid1(VALU_DEP_2)
	v_cndmask_b32_e64 v9, v9, v23, s0
	v_cmp_gt_f32_e64 s0, v2, v11
	s_delay_alu instid0(VALU_DEP_1) | instskip(NEXT) | instid1(VALU_DEP_3)
	v_cndmask_b32_e64 v11, v11, v2, s0
	v_cndmask_b32_e64 v9, v9, v24, s0
	s_delay_alu instid0(VALU_DEP_2) | instskip(NEXT) | instid1(VALU_DEP_1)
	v_cmp_gt_f32_e64 s0, v3, v11
	v_cndmask_b32_e64 v13, v9, v25, s0
	v_cndmask_b32_e64 v9, v11, v3, s0
	s_delay_alu instid0(VALU_DEP_2) | instskip(NEXT) | instid1(VALU_DEP_2)
	v_mov_b32_dpp v11, v13 quad_perm:[1,0,3,2] row_mask:0xf bank_mask:0xf
	v_mov_b32_dpp v27, v9 quad_perm:[1,0,3,2] row_mask:0xf bank_mask:0xf
	s_delay_alu instid0(VALU_DEP_2) | instskip(NEXT) | instid1(VALU_DEP_2)
	v_cmp_lt_i32_e64 s0, v11, v13
	v_cmp_eq_f32_e64 s1, v9, v27
	v_cmp_lt_f32_e64 s2, v9, v27
	s_delay_alu instid0(VALU_DEP_2)
	s_and_b32 s0, s1, s0
	s_delay_alu instid0(VALU_DEP_1) | instid1(SALU_CYCLE_1)
	s_or_b32 s0, s2, s0
	s_delay_alu instid0(SALU_CYCLE_1) | instskip(SKIP_1) | instid1(VALU_DEP_2)
	v_cndmask_b32_e64 v9, v9, v27, s0
	v_cndmask_b32_e64 v13, v13, v11, s0
	v_mov_b32_dpp v11, v9 quad_perm:[2,3,0,1] row_mask:0xf bank_mask:0xf
	s_delay_alu instid0(VALU_DEP_2) | instskip(NEXT) | instid1(VALU_DEP_2)
	v_mov_b32_dpp v27, v13 quad_perm:[2,3,0,1] row_mask:0xf bank_mask:0xf
	v_cmp_eq_f32_e64 s0, v9, v11
	s_delay_alu instid0(VALU_DEP_2) | instskip(SKIP_1) | instid1(VALU_DEP_2)
	v_cmp_lt_i32_e64 s1, v27, v13
	v_cmp_lt_f32_e64 s2, v9, v11
	s_and_b32 s0, s0, s1
	s_delay_alu instid0(VALU_DEP_1) | instid1(SALU_CYCLE_1)
	s_or_b32 s0, s2, s0
	s_delay_alu instid0(SALU_CYCLE_1)
	v_cndmask_b32_e64 v27, v13, v27, s0
	s_and_saveexec_b32 s2, vcc_lo
	s_cbranch_execz .LBB56_16
; %bb.15:                               ;   in Loop: Header=BB56_14 Depth=1
	v_cndmask_b32_e64 v9, v9, v11, s0
	s_delay_alu instid0(VALU_DEP_2) | instskip(SKIP_4) | instid1(VALU_DEP_4)
	v_cmp_le_i32_e64 s0, s5, v27
	v_cmp_gt_i32_e64 s1, s6, v27
	v_ashrrev_i32_e32 v13, 31, v12
	v_subrev_nc_u32_e32 v35, s5, v27
	v_sub_f32_e32 v34, v9, v17
	s_and_b32 s0, s0, s1
	s_delay_alu instid0(SALU_CYCLE_1) | instskip(NEXT) | instid1(VALU_DEP_1)
	s_and_b32 s0, s17, s0
	v_mul_f32_e32 v9, 0x3fb8aa3b, v34
	s_delay_alu instid0(VALU_DEP_1) | instskip(SKIP_1) | instid1(VALU_DEP_2)
	v_fma_f32 v11, 0x3fb8aa3b, v34, -v9
	v_rndne_f32_e32 v28, v9
	v_fmac_f32_e32 v11, 0x32a5705f, v34
	s_delay_alu instid0(VALU_DEP_2) | instskip(SKIP_2) | instid1(VALU_DEP_3)
	v_sub_f32_e32 v9, v9, v28
	v_cvt_i32_f32_e32 v33, v28
	v_lshlrev_b64 v[28:29], 2, v[12:13]
	v_add_f32_e32 v9, v9, v11
	v_ashrrev_i32_e32 v11, 31, v10
	s_delay_alu instid0(VALU_DEP_2) | instskip(SKIP_1) | instid1(VALU_DEP_2)
	v_exp_f32_e32 v32, v9
	v_ashrrev_i32_e32 v9, 31, v8
	v_lshlrev_b64 v[30:31], 2, v[10:11]
	s_waitcnt_depctr 0xfff
	v_ldexp_f32 v11, v32, v33
	v_lshlrev_b64 v[32:33], 2, v[8:9]
	v_cndmask_b32_e64 v9, 32, v35, s0
	v_cmp_ngt_f32_e64 s0, 0xc2ce8ed0, v34
	s_delay_alu instid0(VALU_DEP_1) | instskip(SKIP_1) | instid1(VALU_DEP_1)
	v_cndmask_b32_e64 v11, 0, v11, s0
	v_add_co_u32 v28, s0, s12, v28
	v_add_co_ci_u32_e64 v29, s0, s13, v29, s0
	v_cmp_nlt_f32_e64 s0, 0x42b17218, v34
	s_delay_alu instid0(VALU_DEP_1) | instskip(SKIP_2) | instid1(VALU_DEP_1)
	v_cndmask_b32_e64 v11, 0x7f800000, v11, s0
	s_waitcnt lgkmcnt(0)
	v_add_co_u32 v30, s0, s8, v30
	v_add_co_ci_u32_e64 v31, s0, s9, v31, s0
	s_delay_alu instid0(VALU_DEP_3) | instskip(SKIP_1) | instid1(VALU_DEP_1)
	v_add_f32_e32 v14, v14, v11
	v_add_co_u32 v32, s0, s10, v32
	v_add_co_ci_u32_e64 v33, s0, s11, v33, s0
	global_store_b32 v[28:29], v11, off
	global_store_b32 v[30:31], v9, off
	;; [unrolled: 1-line block ×3, first 2 shown]
.LBB56_16:                              ;   in Loop: Header=BB56_14 Depth=1
	s_or_b32 exec_lo, exec_lo, s2
	s_delay_alu instid0(VALU_DEP_1) | instskip(SKIP_1) | instid1(VALU_DEP_1)
	v_ashrrev_i32_e32 v11, 31, v27
	s_mov_b32 s1, exec_lo
	v_lshrrev_b32_e32 v9, 29, v11
	s_delay_alu instid0(VALU_DEP_1) | instskip(NEXT) | instid1(VALU_DEP_1)
	v_add_nc_u32_e32 v9, v27, v9
	v_ashrrev_i32_e32 v9, 3, v9
	s_delay_alu instid0(VALU_DEP_1) | instskip(NEXT) | instid1(VALU_DEP_1)
	v_lshrrev_b32_e32 v13, 30, v9
	v_add_nc_u32_e32 v13, v9, v13
	s_delay_alu instid0(VALU_DEP_1) | instskip(NEXT) | instid1(VALU_DEP_1)
	v_and_b32_e32 v13, -4, v13
	v_sub_nc_u32_e32 v13, v9, v13
	s_delay_alu instid0(VALU_DEP_1)
	v_cmpx_eq_u32_e64 v16, v13
	s_cbranch_execz .LBB56_13
; %bb.17:                               ;   in Loop: Header=BB56_14 Depth=1
	v_lshrrev_b32_e32 v11, 27, v11
	v_lshlrev_b32_e32 v9, 3, v9
	s_delay_alu instid0(VALU_DEP_2) | instskip(NEXT) | instid1(VALU_DEP_2)
	v_add_nc_u32_e32 v11, v27, v11
	v_sub_nc_u32_e32 v9, v27, v9
	s_delay_alu instid0(VALU_DEP_2) | instskip(NEXT) | instid1(VALU_DEP_1)
	v_ashrrev_i32_e32 v11, 5, v11
	v_lshl_add_u32 v9, v11, 3, v9
	s_delay_alu instid0(VALU_DEP_1) | instskip(NEXT) | instid1(VALU_DEP_1)
	v_cmp_ne_u32_e64 s0, 7, v9
	v_cndmask_b32_e64 v3, 0xff800000, v3, s0
	v_cmp_ne_u32_e64 s0, 6, v9
	s_delay_alu instid0(VALU_DEP_1) | instskip(SKIP_1) | instid1(VALU_DEP_1)
	v_cndmask_b32_e64 v2, 0xff800000, v2, s0
	v_cmp_ne_u32_e64 s0, 5, v9
	v_cndmask_b32_e64 v1, 0xff800000, v1, s0
	v_cmp_ne_u32_e64 s0, 4, v9
	s_delay_alu instid0(VALU_DEP_1) | instskip(SKIP_1) | instid1(VALU_DEP_1)
	v_cndmask_b32_e64 v0, 0xff800000, v0, s0
	;; [unrolled: 5-line block ×3, first 2 shown]
	v_cmp_ne_u32_e64 s0, 1, v9
	v_cndmask_b32_e64 v5, 0xff800000, v5, s0
	v_cmp_ne_u32_e64 s0, 0, v9
	s_delay_alu instid0(VALU_DEP_1)
	v_cndmask_b32_e64 v4, 0xff800000, v4, s0
	s_branch .LBB56_13
.LBB56_18:
	s_delay_alu instid0(VALU_DEP_1)
	v_sub_f32_e32 v7, v7, v17
	v_sub_f32_e32 v4, v4, v17
	;; [unrolled: 1-line block ×5, first 2 shown]
	v_mul_f32_e32 v11, 0x3fb8aa3b, v7
	v_dual_sub_f32 v5, v5, v17 :: v_dual_mul_f32 v8, 0x3fb8aa3b, v4
	v_cmp_ngt_f32_e32 vcc_lo, 0xc2ce8ed0, v4
	v_sub_f32_e32 v3, v3, v17
	s_delay_alu instid0(VALU_DEP_4) | instskip(NEXT) | instid1(VALU_DEP_4)
	v_rndne_f32_e32 v23, v11
	v_fma_f32 v12, 0x3fb8aa3b, v4, -v8
	v_rndne_f32_e32 v13, v8
	s_delay_alu instid0(VALU_DEP_2) | instskip(NEXT) | instid1(VALU_DEP_2)
	v_fmac_f32_e32 v12, 0x32a5705f, v4
	v_sub_f32_e32 v8, v8, v13
	s_delay_alu instid0(VALU_DEP_1) | instskip(NEXT) | instid1(VALU_DEP_1)
	v_dual_mul_f32 v9, 0x3fb8aa3b, v5 :: v_dual_add_f32 v8, v8, v12
	v_rndne_f32_e32 v19, v9
	v_sub_f32_e32 v6, v6, v17
	v_fma_f32 v18, 0x3fb8aa3b, v5, -v9
	v_cvt_i32_f32_e32 v12, v13
	v_exp_f32_e32 v8, v8
	s_delay_alu instid0(VALU_DEP_3) | instskip(SKIP_3) | instid1(VALU_DEP_4)
	v_dual_sub_f32 v9, v9, v19 :: v_dual_mul_f32 v10, 0x3fb8aa3b, v6
	v_fma_f32 v22, 0x3fb8aa3b, v7, -v11
	v_sub_f32_e32 v11, v11, v23
	v_cvt_i32_f32_e32 v13, v19
	v_fma_f32 v20, 0x3fb8aa3b, v6, -v10
	s_delay_alu instid0(VALU_DEP_4) | instskip(SKIP_1) | instid1(TRANS32_DEP_1)
	v_fmac_f32_e32 v22, 0x32a5705f, v7
	v_fmac_f32_e32 v18, 0x32a5705f, v5
	v_ldexp_f32 v8, v8, v12
	v_rndne_f32_e32 v21, v10
	s_delay_alu instid0(VALU_DEP_4) | instskip(NEXT) | instid1(VALU_DEP_3)
	v_add_f32_e32 v11, v11, v22
	v_dual_add_f32 v9, v9, v18 :: v_dual_cndmask_b32 v8, 0, v8
	v_cmp_ngt_f32_e32 vcc_lo, 0xc2ce8ed0, v5
	s_delay_alu instid0(VALU_DEP_4) | instskip(SKIP_1) | instid1(VALU_DEP_4)
	v_sub_f32_e32 v10, v10, v21
	v_cvt_i32_f32_e32 v12, v21
	v_exp_f32_e32 v9, v9
	v_exp_f32_e32 v11, v11
	s_waitcnt_depctr 0xfff
	v_ldexp_f32 v9, v9, v13
	v_fmac_f32_e32 v20, 0x32a5705f, v6
	v_mul_f32_e32 v13, 0x3fb8aa3b, v3
	s_delay_alu instid0(VALU_DEP_3) | instskip(SKIP_1) | instid1(VALU_DEP_3)
	v_cndmask_b32_e32 v9, 0, v9, vcc_lo
	v_cmp_nlt_f32_e32 vcc_lo, 0x42b17218, v4
	v_rndne_f32_e32 v17, v13
	v_cndmask_b32_e32 v4, 0x7f800000, v8, vcc_lo
	v_cmp_nlt_f32_e32 vcc_lo, 0x42b17218, v5
	v_dual_add_f32 v10, v10, v20 :: v_dual_cndmask_b32 v5, 0x7f800000, v9
	s_delay_alu instid0(VALU_DEP_1) | instskip(SKIP_2) | instid1(VALU_DEP_3)
	v_exp_f32_e32 v10, v10
	v_cmp_ngt_f32_e32 vcc_lo, 0xc2ce8ed0, v6
	v_cvt_i32_f32_e32 v9, v23
	v_add_f32_e32 v4, v4, v5
	s_waitcnt_depctr 0xfff
	v_ldexp_f32 v10, v10, v12
	s_delay_alu instid0(VALU_DEP_1) | instskip(SKIP_2) | instid1(VALU_DEP_3)
	v_cndmask_b32_e32 v8, 0, v10, vcc_lo
	v_cmp_nlt_f32_e32 vcc_lo, 0x42b17218, v6
	v_mul_f32_e32 v10, 0x3fb8aa3b, v2
	v_cndmask_b32_e32 v5, 0x7f800000, v8, vcc_lo
	v_ldexp_f32 v8, v11, v9
	v_cmp_ngt_f32_e32 vcc_lo, 0xc2ce8ed0, v7
	s_delay_alu instid0(VALU_DEP_4)
	v_fma_f32 v11, 0x3fb8aa3b, v2, -v10
	v_rndne_f32_e32 v12, v10
	v_add_f32_e32 v4, v4, v5
	v_cndmask_b32_e32 v8, 0, v8, vcc_lo
	v_cmp_nlt_f32_e32 vcc_lo, 0x42b17218, v7
	v_fmac_f32_e32 v11, 0x32a5705f, v2
	s_delay_alu instid0(VALU_DEP_3) | instskip(SKIP_3) | instid1(VALU_DEP_4)
	v_cndmask_b32_e32 v7, 0x7f800000, v8, vcc_lo
	v_mul_f32_e32 v6, 0x3fb8aa3b, v0
	v_mul_f32_e32 v8, 0x3fb8aa3b, v1
	v_cmp_ngt_f32_e32 vcc_lo, 0xc2ce8ed0, v0
	v_add_f32_e32 v4, v4, v7
	s_delay_alu instid0(VALU_DEP_4) | instskip(SKIP_2) | instid1(VALU_DEP_2)
	v_fma_f32 v5, 0x3fb8aa3b, v0, -v6
	v_rndne_f32_e32 v9, v6
	v_rndne_f32_e32 v7, v8
	v_dual_fmac_f32 v5, 0x32a5705f, v0 :: v_dual_sub_f32 v6, v6, v9
	v_cvt_i32_f32_e32 v9, v9
	s_delay_alu instid0(VALU_DEP_2) | instskip(SKIP_3) | instid1(VALU_DEP_4)
	v_add_f32_e32 v5, v6, v5
	v_fma_f32 v6, 0x3fb8aa3b, v1, -v8
	v_sub_f32_e32 v8, v8, v7
	v_cvt_i32_f32_e32 v7, v7
	v_exp_f32_e32 v5, v5
	s_delay_alu instid0(VALU_DEP_3) | instskip(NEXT) | instid1(VALU_DEP_1)
	v_fmac_f32_e32 v6, 0x32a5705f, v1
	v_add_f32_e32 v6, v8, v6
	v_sub_f32_e32 v8, v10, v12
	v_fma_f32 v10, 0x3fb8aa3b, v3, -v13
	s_waitcnt_depctr 0xfff
	v_ldexp_f32 v5, v5, v9
	v_exp_f32_e32 v6, v6
	v_add_f32_e32 v8, v8, v11
	v_dual_fmac_f32 v10, 0x32a5705f, v3 :: v_dual_sub_f32 v9, v13, v17
	s_delay_alu instid0(VALU_DEP_3) | instskip(SKIP_1) | instid1(VALU_DEP_4)
	v_cndmask_b32_e32 v5, 0, v5, vcc_lo
	v_cmp_nlt_f32_e32 vcc_lo, 0x42b17218, v0
	v_exp_f32_e32 v8, v8
	s_delay_alu instid0(VALU_DEP_3) | instskip(NEXT) | instid1(TRANS32_DEP_2)
	v_add_f32_e32 v9, v9, v10
	v_ldexp_f32 v6, v6, v7
	v_cndmask_b32_e32 v0, 0x7f800000, v5, vcc_lo
	v_cmp_ngt_f32_e32 vcc_lo, 0xc2ce8ed0, v1
	v_cvt_i32_f32_e32 v5, v12
	v_exp_f32_e32 v7, v9
	s_delay_alu instid0(VALU_DEP_3) | instskip(SKIP_4) | instid1(VALU_DEP_4)
	v_add_f32_e32 v0, v4, v0
	v_cndmask_b32_e32 v6, 0, v6, vcc_lo
	v_cmp_nlt_f32_e32 vcc_lo, 0x42b17218, v1
	v_ldexp_f32 v4, v8, v5
	v_cvt_i32_f32_e32 v5, v17
	v_cndmask_b32_e32 v1, 0x7f800000, v6, vcc_lo
	v_cmp_ngt_f32_e32 vcc_lo, 0xc2ce8ed0, v2
	s_delay_alu instid0(TRANS32_DEP_1) | instid1(VALU_DEP_3)
	v_ldexp_f32 v5, v7, v5
	s_delay_alu instid0(VALU_DEP_3) | instskip(SKIP_2) | instid1(VALU_DEP_2)
	v_add_f32_e32 v0, v0, v1
	v_cndmask_b32_e32 v4, 0, v4, vcc_lo
	v_cmp_nlt_f32_e32 vcc_lo, 0x42b17218, v2
	v_cndmask_b32_e32 v1, 0x7f800000, v4, vcc_lo
	v_cmp_ngt_f32_e32 vcc_lo, 0xc2ce8ed0, v3
	s_delay_alu instid0(VALU_DEP_2) | instskip(SKIP_2) | instid1(VALU_DEP_2)
	v_add_f32_e32 v0, v0, v1
	v_cndmask_b32_e32 v2, 0, v5, vcc_lo
	v_cmp_nlt_f32_e32 vcc_lo, 0x42b17218, v3
	v_cndmask_b32_e32 v1, 0x7f800000, v2, vcc_lo
	v_cmp_eq_u32_e32 vcc_lo, 0, v16
	s_delay_alu instid0(VALU_DEP_2) | instskip(NEXT) | instid1(VALU_DEP_1)
	v_add_f32_e32 v0, v0, v1
	v_mov_b32_dpp v1, v0 quad_perm:[1,0,3,2] row_mask:0xf bank_mask:0xf
	s_delay_alu instid0(VALU_DEP_1) | instskip(NEXT) | instid1(VALU_DEP_1)
	v_add_f32_e32 v0, v0, v1
	v_mov_b32_dpp v1, v0 quad_perm:[2,3,0,1] row_mask:0xf bank_mask:0xf
	s_and_b32 exec_lo, exec_lo, vcc_lo
	s_cbranch_execz .LBB56_23
; %bb.19:
	s_delay_alu instid0(VALU_DEP_1) | instskip(NEXT) | instid1(VALU_DEP_1)
	v_add_f32_e32 v0, v0, v1
	v_add_f32_e32 v0, v14, v0
	s_delay_alu instid0(VALU_DEP_1)
	v_cmp_neq_f32_e32 vcc_lo, 0, v0
	s_and_b32 exec_lo, exec_lo, vcc_lo
	s_cbranch_execz .LBB56_23
; %bb.20:
	s_and_not1_b32 vcc_lo, exec_lo, s3
	s_cbranch_vccnz .LBB56_23
; %bb.21:
	v_div_scale_f32 v2, null, v0, v0, 1.0
	v_div_scale_f32 v4, vcc_lo, 1.0, v0, 1.0
	s_delay_alu instid0(VALU_DEP_2) | instskip(SKIP_2) | instid1(VALU_DEP_1)
	v_rcp_f32_e32 v3, v2
	s_waitcnt_depctr 0xfff
	v_fma_f32 v1, -v2, v3, 1.0
	v_fmac_f32_e32 v3, v1, v3
	v_mul_lo_u32 v1, v15, s7
	s_delay_alu instid0(VALU_DEP_2) | instskip(NEXT) | instid1(VALU_DEP_1)
	v_mul_f32_e32 v5, v4, v3
	v_fma_f32 v6, -v2, v5, v4
	s_delay_alu instid0(VALU_DEP_1) | instskip(NEXT) | instid1(VALU_DEP_1)
	v_fmac_f32_e32 v5, v6, v3
	v_fma_f32 v4, -v2, v5, v4
	v_ashrrev_i32_e32 v2, 31, v1
	s_delay_alu instid0(VALU_DEP_2) | instskip(NEXT) | instid1(VALU_DEP_2)
	v_div_fmas_f32 v5, v4, v3, v5
	v_lshlrev_b64 v[3:4], 2, v[1:2]
	s_delay_alu instid0(VALU_DEP_2) | instskip(NEXT) | instid1(VALU_DEP_2)
	v_div_fixup_f32 v2, v5, v0, 1.0
	v_add_co_u32 v0, vcc_lo, s12, v3
	s_delay_alu instid0(VALU_DEP_3)
	v_add_co_ci_u32_e32 v1, vcc_lo, s13, v4, vcc_lo
.LBB56_22:                              ; =>This Inner Loop Header: Depth=1
	global_load_b32 v3, v[0:1], off
	s_add_i32 s4, s4, -1
	s_delay_alu instid0(SALU_CYCLE_1)
	s_cmp_lg_u32 s4, 0
	s_waitcnt vmcnt(0)
	v_mul_f32_e32 v3, v2, v3
	global_store_b32 v[0:1], v3, off
	v_add_co_u32 v0, vcc_lo, v0, 4
	v_add_co_ci_u32_e32 v1, vcc_lo, 0, v1, vcc_lo
	s_cbranch_scc1 .LBB56_22
.LBB56_23:
	s_nop 0
	s_sendmsg sendmsg(MSG_DEALLOC_VGPRS)
	s_endpgm
	.section	.rodata,"a",@progbits
	.p2align	6, 0x0
	.amdhsa_kernel _ZN4vllm3moe17topkGatingSoftmaxIfLi8ELi32ELi8ELi32ELb0ELi2ELNS0_23SharedExpertScoringFuncE1EEEvPKT_PKbPfiPiS9_iiiiii
		.amdhsa_group_segment_fixed_size 0
		.amdhsa_private_segment_fixed_size 0
		.amdhsa_kernarg_size 72
		.amdhsa_user_sgpr_count 15
		.amdhsa_user_sgpr_dispatch_ptr 0
		.amdhsa_user_sgpr_queue_ptr 0
		.amdhsa_user_sgpr_kernarg_segment_ptr 1
		.amdhsa_user_sgpr_dispatch_id 0
		.amdhsa_user_sgpr_private_segment_size 0
		.amdhsa_wavefront_size32 1
		.amdhsa_uses_dynamic_stack 0
		.amdhsa_enable_private_segment 0
		.amdhsa_system_sgpr_workgroup_id_x 1
		.amdhsa_system_sgpr_workgroup_id_y 0
		.amdhsa_system_sgpr_workgroup_id_z 0
		.amdhsa_system_sgpr_workgroup_info 0
		.amdhsa_system_vgpr_workitem_id 1
		.amdhsa_next_free_vgpr 37
		.amdhsa_next_free_sgpr 19
		.amdhsa_reserve_vcc 1
		.amdhsa_float_round_mode_32 0
		.amdhsa_float_round_mode_16_64 0
		.amdhsa_float_denorm_mode_32 3
		.amdhsa_float_denorm_mode_16_64 3
		.amdhsa_dx10_clamp 1
		.amdhsa_ieee_mode 1
		.amdhsa_fp16_overflow 0
		.amdhsa_workgroup_processor_mode 1
		.amdhsa_memory_ordered 1
		.amdhsa_forward_progress 0
		.amdhsa_shared_vgpr_count 0
		.amdhsa_exception_fp_ieee_invalid_op 0
		.amdhsa_exception_fp_denorm_src 0
		.amdhsa_exception_fp_ieee_div_zero 0
		.amdhsa_exception_fp_ieee_overflow 0
		.amdhsa_exception_fp_ieee_underflow 0
		.amdhsa_exception_fp_ieee_inexact 0
		.amdhsa_exception_int_div_zero 0
	.end_amdhsa_kernel
	.section	.text._ZN4vllm3moe17topkGatingSoftmaxIfLi8ELi32ELi8ELi32ELb0ELi2ELNS0_23SharedExpertScoringFuncE1EEEvPKT_PKbPfiPiS9_iiiiii,"axG",@progbits,_ZN4vllm3moe17topkGatingSoftmaxIfLi8ELi32ELi8ELi32ELb0ELi2ELNS0_23SharedExpertScoringFuncE1EEEvPKT_PKbPfiPiS9_iiiiii,comdat
.Lfunc_end56:
	.size	_ZN4vllm3moe17topkGatingSoftmaxIfLi8ELi32ELi8ELi32ELb0ELi2ELNS0_23SharedExpertScoringFuncE1EEEvPKT_PKbPfiPiS9_iiiiii, .Lfunc_end56-_ZN4vllm3moe17topkGatingSoftmaxIfLi8ELi32ELi8ELi32ELb0ELi2ELNS0_23SharedExpertScoringFuncE1EEEvPKT_PKbPfiPiS9_iiiiii
                                        ; -- End function
	.section	.AMDGPU.csdata,"",@progbits
; Kernel info:
; codeLenInByte = 3652
; NumSgprs: 21
; NumVgprs: 37
; ScratchSize: 0
; MemoryBound: 0
; FloatMode: 240
; IeeeMode: 1
; LDSByteSize: 0 bytes/workgroup (compile time only)
; SGPRBlocks: 2
; VGPRBlocks: 4
; NumSGPRsForWavesPerEU: 21
; NumVGPRsForWavesPerEU: 37
; Occupancy: 16
; WaveLimiterHint : 0
; COMPUTE_PGM_RSRC2:SCRATCH_EN: 0
; COMPUTE_PGM_RSRC2:USER_SGPR: 15
; COMPUTE_PGM_RSRC2:TRAP_HANDLER: 0
; COMPUTE_PGM_RSRC2:TGID_X_EN: 1
; COMPUTE_PGM_RSRC2:TGID_Y_EN: 0
; COMPUTE_PGM_RSRC2:TGID_Z_EN: 0
; COMPUTE_PGM_RSRC2:TIDIG_COMP_CNT: 1
	.section	.text._ZN4vllm3moe17topkGatingSoftmaxIfLi8ELi32ELi8ELi32ELb1ELi4ELNS0_23SharedExpertScoringFuncE1EEEvPKT_PKbPfiPiS9_iiiiii,"axG",@progbits,_ZN4vllm3moe17topkGatingSoftmaxIfLi8ELi32ELi8ELi32ELb1ELi4ELNS0_23SharedExpertScoringFuncE1EEEvPKT_PKbPfiPiS9_iiiiii,comdat
	.protected	_ZN4vllm3moe17topkGatingSoftmaxIfLi8ELi32ELi8ELi32ELb1ELi4ELNS0_23SharedExpertScoringFuncE1EEEvPKT_PKbPfiPiS9_iiiiii ; -- Begin function _ZN4vllm3moe17topkGatingSoftmaxIfLi8ELi32ELi8ELi32ELb1ELi4ELNS0_23SharedExpertScoringFuncE1EEEvPKT_PKbPfiPiS9_iiiiii
	.globl	_ZN4vllm3moe17topkGatingSoftmaxIfLi8ELi32ELi8ELi32ELb1ELi4ELNS0_23SharedExpertScoringFuncE1EEEvPKT_PKbPfiPiS9_iiiiii
	.p2align	8
	.type	_ZN4vllm3moe17topkGatingSoftmaxIfLi8ELi32ELi8ELi32ELb1ELi4ELNS0_23SharedExpertScoringFuncE1EEEvPKT_PKbPfiPiS9_iiiiii,@function
_ZN4vllm3moe17topkGatingSoftmaxIfLi8ELi32ELi8ELi32ELb1ELi4ELNS0_23SharedExpertScoringFuncE1EEEvPKT_PKbPfiPiS9_iiiiii: ; @_ZN4vllm3moe17topkGatingSoftmaxIfLi8ELi32ELi8ELi32ELb1ELi4ELNS0_23SharedExpertScoringFuncE1EEEvPKT_PKbPfiPiS9_iiiiii
; %bb.0:
	s_load_b32 s16, s[0:1], 0x18
	v_bfe_u32 v1, v0, 10, 10
	v_and_b32_e32 v0, 0x3ff, v0
	s_lshl_b32 s18, s15, 6
	s_mov_b32 s2, exec_lo
	s_delay_alu instid0(VALU_DEP_2) | instskip(NEXT) | instid1(VALU_DEP_2)
	v_lshlrev_b32_e32 v14, 3, v1
	v_lshrrev_b32_e32 v24, 2, v0
	s_delay_alu instid0(VALU_DEP_1) | instskip(SKIP_1) | instid1(VALU_DEP_1)
	v_add3_u32 v27, s18, v14, v24
	s_waitcnt lgkmcnt(0)
	v_cmpx_gt_i32_e64 s16, v27
	s_cbranch_execz .LBB57_20
; %bb.1:
	s_clause 0x1
	s_load_b128 s[4:7], s[0:1], 0x0
	s_load_b64 s[12:13], s[0:1], 0x10
	s_waitcnt lgkmcnt(0)
	s_cmp_eq_u64 s[6:7], 0
	s_cbranch_scc1 .LBB57_3
; %bb.2:
	v_ashrrev_i32_e32 v2, 31, v27
	v_add_co_u32 v1, vcc_lo, s6, v27
	s_delay_alu instid0(VALU_DEP_2) | instskip(SKIP_3) | instid1(VALU_DEP_1)
	v_add_co_ci_u32_e32 v2, vcc_lo, s7, v2, vcc_lo
	global_load_u8 v1, v[1:2], off
	s_waitcnt vmcnt(0)
	v_and_b32_e32 v1, 1, v1
	v_cmp_eq_u32_e32 vcc_lo, 1, v1
	s_xor_b32 s2, vcc_lo, -1
	s_delay_alu instid0(SALU_CYCLE_1)
	s_or_not1_b32 s17, s2, exec_lo
	s_branch .LBB57_4
.LBB57_3:
	s_mov_b32 s17, -1
.LBB57_4:
	s_clause 0x1
	s_load_b64 s[14:15], s[0:1], 0x40
	s_load_b128 s[8:11], s[0:1], 0x30
	v_and_b32_e32 v15, 3, v0
	v_mov_b32_e32 v25, 0
	s_waitcnt lgkmcnt(0)
	v_mul_lo_u32 v1, v27, s15
	s_delay_alu instid0(VALU_DEP_1) | instskip(NEXT) | instid1(VALU_DEP_1)
	v_ashrrev_i32_e32 v2, 31, v1
	v_lshlrev_b64 v[0:1], 2, v[1:2]
	v_lshlrev_b32_e32 v2, 2, v15
	s_delay_alu instid0(VALU_DEP_2) | instskip(NEXT) | instid1(VALU_DEP_3)
	v_add_co_u32 v3, vcc_lo, s4, v0
	v_add_co_ci_u32_e32 v5, vcc_lo, s5, v1, vcc_lo
	s_delay_alu instid0(VALU_DEP_2) | instskip(NEXT) | instid1(VALU_DEP_2)
	v_add_co_u32 v0, vcc_lo, v3, v2
	v_add_co_ci_u32_e32 v1, vcc_lo, 0, v5, vcc_lo
	global_load_b32 v8, v[0:1], off offset:128
	s_waitcnt vmcnt(0)
	v_mul_f32_e32 v9, 0xbfb8aa3b, v8
	v_cmp_ngt_f32_e64 s2, 0xc2b17218, v8
	s_delay_alu instid0(VALU_DEP_2) | instskip(SKIP_1) | instid1(VALU_DEP_2)
	v_fma_f32 v10, 0xbfb8aa3b, v8, -v9
	v_rndne_f32_e32 v11, v9
	v_fmamk_f32 v10, v8, 0xb2a5705f, v10
	v_lshlrev_b32_e32 v2, 5, v15
	s_delay_alu instid0(VALU_DEP_1)
	v_add_co_u32 v4, vcc_lo, v3, v2
	v_add_co_ci_u32_e32 v5, vcc_lo, 0, v5, vcc_lo
	s_clause 0x1
	global_load_b128 v[0:3], v[4:5], off
	global_load_b128 v[4:7], v[4:5], off offset:16
	s_waitcnt vmcnt(1)
	v_cmp_lt_f32_e32 vcc_lo, v0, v1
	v_sub_f32_e32 v9, v9, v11
	v_lshlrev_b32_e32 v16, 3, v15
	v_cvt_i32_f32_e32 v11, v11
	v_cndmask_b32_e32 v13, v0, v1, vcc_lo
	s_delay_alu instid0(VALU_DEP_4) | instskip(NEXT) | instid1(VALU_DEP_4)
	v_add_f32_e32 v9, v9, v10
	v_or_b32_e32 v17, 1, v16
	v_or_b32_e32 v18, 2, v16
	;; [unrolled: 1-line block ×4, first 2 shown]
	v_exp_f32_e32 v9, v9
	v_cndmask_b32_e32 v12, v16, v17, vcc_lo
	v_cmp_lt_f32_e32 vcc_lo, v13, v2
	v_or_b32_e32 v21, 5, v16
	v_or_b32_e32 v22, 6, v16
	;; [unrolled: 1-line block ×3, first 2 shown]
	s_waitcnt_depctr 0xfff
	v_ldexp_f32 v9, v9, v11
	v_cndmask_b32_e32 v10, v12, v18, vcc_lo
	v_cndmask_b32_e32 v12, v13, v2, vcc_lo
	s_delay_alu instid0(VALU_DEP_1) | instskip(NEXT) | instid1(VALU_DEP_3)
	v_cmp_lt_f32_e32 vcc_lo, v12, v3
	v_cndmask_b32_e32 v10, v10, v19, vcc_lo
	v_cndmask_b32_e32 v11, v12, v3, vcc_lo
	v_cmp_nlt_f32_e32 vcc_lo, 0x42ce8ed0, v8
	v_cndmask_b32_e32 v9, 0, v9, vcc_lo
	s_delay_alu instid0(VALU_DEP_1) | instskip(NEXT) | instid1(VALU_DEP_1)
	v_cndmask_b32_e64 v8, 0x7f800000, v9, s2
	v_add_f32_e32 v30, 1.0, v8
	s_waitcnt vmcnt(0)
	v_cmp_lt_f32_e32 vcc_lo, v11, v4
	v_cndmask_b32_e32 v9, v10, v20, vcc_lo
	v_cndmask_b32_e32 v10, v11, v4, vcc_lo
	v_div_scale_f32 v11, null, v30, v30, 1.0
	s_delay_alu instid0(VALU_DEP_2) | instskip(NEXT) | instid1(VALU_DEP_2)
	v_cmp_lt_f32_e32 vcc_lo, v10, v5
	v_rcp_f32_e32 v26, v11
	v_cndmask_b32_e32 v8, v9, v21, vcc_lo
	v_cndmask_b32_e32 v9, v10, v5, vcc_lo
	s_delay_alu instid0(VALU_DEP_1)
	v_cmp_lt_f32_e32 vcc_lo, v9, v6
	s_waitcnt_depctr 0xfff
	v_fma_f32 v12, -v11, v26, 1.0
	v_cndmask_b32_e32 v10, v8, v22, vcc_lo
	v_cndmask_b32_e32 v9, v9, v6, vcc_lo
	v_div_scale_f32 v28, vcc_lo, 1.0, v30, 1.0
	s_delay_alu instid0(VALU_DEP_4) | instskip(SKIP_1) | instid1(VALU_DEP_4)
	v_fmac_f32_e32 v26, v12, v26
	v_mul_lo_u32 v8, v27, s11
	v_cmp_lt_f32_e64 s2, v9, v7
	s_delay_alu instid0(VALU_DEP_3) | instskip(NEXT) | instid1(VALU_DEP_2)
	v_mul_f32_e32 v32, v28, v26
	v_cndmask_b32_e64 v29, v10, v23, s2
	v_cndmask_b32_e64 v31, v9, v7, s2
	v_add3_u32 v9, v8, s8, v15
	s_delay_alu instid0(VALU_DEP_4) | instskip(NEXT) | instid1(VALU_DEP_4)
	v_fma_f32 v12, -v11, v32, v28
	v_mov_b32_dpp v33, v29 quad_perm:[1,0,3,2] row_mask:0xf bank_mask:0xf
	s_delay_alu instid0(VALU_DEP_4) | instskip(NEXT) | instid1(VALU_DEP_4)
	v_mov_b32_dpp v34, v31 quad_perm:[1,0,3,2] row_mask:0xf bank_mask:0xf
	v_ashrrev_i32_e32 v10, 31, v9
	s_delay_alu instid0(VALU_DEP_4) | instskip(NEXT) | instid1(VALU_DEP_4)
	v_fmac_f32_e32 v32, v12, v26
	v_cmp_lt_i32_e64 s2, v33, v29
	s_delay_alu instid0(VALU_DEP_4) | instskip(SKIP_3) | instid1(VALU_DEP_4)
	v_cmp_eq_f32_e64 s3, v31, v34
	v_cmp_lt_f32_e64 s4, v31, v34
	v_lshlrev_b64 v[12:13], 2, v[9:10]
	v_fma_f32 v10, -v11, v32, v28
	s_and_b32 s2, s3, s2
	s_delay_alu instid0(VALU_DEP_3) | instid1(SALU_CYCLE_1)
	s_or_b32 s2, s4, s2
	s_delay_alu instid0(VALU_DEP_1) | instskip(SKIP_4) | instid1(VALU_DEP_4)
	v_div_fmas_f32 v10, v10, v26, v32
	v_cndmask_b32_e64 v9, v31, v34, s2
	v_cndmask_b32_e64 v11, v29, v33, s2
	v_add_co_u32 v28, vcc_lo, s12, v12
	v_add_co_ci_u32_e32 v29, vcc_lo, s13, v13, vcc_lo
	v_mov_b32_dpp v13, v9 quad_perm:[2,3,0,1] row_mask:0xf bank_mask:0xf
	s_delay_alu instid0(VALU_DEP_4)
	v_mov_b32_dpp v26, v11 quad_perm:[2,3,0,1] row_mask:0xf bank_mask:0xf
	v_div_fixup_f32 v10, v10, v30, 1.0
	v_cmp_eq_u32_e32 vcc_lo, 0, v15
	s_cmp_gt_i32 s8, 0
	s_cselect_b32 s3, -1, 0
	s_cmp_lt_i32 s8, 1
	global_store_b32 v[28:29], v10, off
	s_cbranch_scc1 .LBB57_16
; %bb.5:
	s_load_b128 s[4:7], s[0:1], 0x20
	v_cmp_eq_f32_e64 s0, v9, v13
	v_cmp_lt_i32_e64 s1, v26, v11
	v_cmp_lt_f32_e64 s2, v9, v13
	v_mul_lo_u32 v10, v27, s14
	v_mul_lo_u32 v12, v27, s8
	v_mov_b32_e32 v25, 0
	s_and_b32 s0, s0, s1
	s_delay_alu instid0(SALU_CYCLE_1) | instskip(NEXT) | instid1(SALU_CYCLE_1)
	s_or_b32 s0, s2, s0
	v_cndmask_b32_e64 v28, v11, v26, s0
	v_cndmask_b32_e64 v26, v9, v13, s0
	s_and_saveexec_b32 s2, vcc_lo
	s_cbranch_execz .LBB57_7
; %bb.6:
	s_delay_alu instid0(VALU_DEP_1)
	v_sub_f32_e32 v25, v26, v26
	v_cmp_le_i32_e64 s0, s9, v28
	v_cmp_gt_i32_e64 s1, s10, v28
	v_subrev_nc_u32_e32 v35, s9, v28
	v_ashrrev_i32_e32 v13, 31, v12
	v_mul_f32_e32 v9, 0x3fb8aa3b, v25
	s_delay_alu instid0(VALU_DEP_4) | instskip(NEXT) | instid1(SALU_CYCLE_1)
	s_and_b32 s0, s0, s1
	s_and_b32 s0, s17, s0
	s_delay_alu instid0(VALU_DEP_1) | instskip(SKIP_2) | instid1(VALU_DEP_3)
	v_rndne_f32_e32 v31, v9
	v_fma_f32 v11, 0x3fb8aa3b, v25, -v9
	v_lshlrev_b64 v[33:34], 2, v[12:13]
	v_sub_f32_e32 v9, v9, v31
	s_delay_alu instid0(VALU_DEP_3) | instskip(NEXT) | instid1(VALU_DEP_1)
	v_fmamk_f32 v11, v25, 0x32a5705f, v11
	v_add_f32_e32 v11, v9, v11
	v_ashrrev_i32_e32 v9, 31, v8
	s_delay_alu instid0(VALU_DEP_2) | instskip(NEXT) | instid1(VALU_DEP_1)
	v_exp_f32_e32 v36, v11
	v_lshlrev_b64 v[29:30], 2, v[8:9]
	v_ashrrev_i32_e32 v11, 31, v10
	v_cvt_i32_f32_e32 v9, v31
	s_delay_alu instid0(VALU_DEP_2) | instskip(SKIP_2) | instid1(VALU_DEP_1)
	v_lshlrev_b64 v[31:32], 2, v[10:11]
	v_cndmask_b32_e64 v11, 32, v35, s0
	v_add_co_u32 v29, s0, s12, v29
	v_add_co_ci_u32_e64 v30, s0, s13, v30, s0
	s_delay_alu instid0(TRANS32_DEP_1) | instskip(SKIP_1) | instid1(VALU_DEP_1)
	v_ldexp_f32 v9, v36, v9
	v_cmp_ngt_f32_e64 s0, 0xc2ce8ed0, v25
	v_cndmask_b32_e64 v9, 0, v9, s0
	s_waitcnt lgkmcnt(0)
	v_add_co_u32 v31, s0, s4, v31
	s_delay_alu instid0(VALU_DEP_1) | instskip(SKIP_1) | instid1(VALU_DEP_1)
	v_add_co_ci_u32_e64 v32, s0, s5, v32, s0
	v_cmp_nlt_f32_e64 s0, 0x42b17218, v25
	v_cndmask_b32_e64 v25, 0x7f800000, v9, s0
	v_add_co_u32 v33, s0, s6, v33
	s_delay_alu instid0(VALU_DEP_1)
	v_add_co_ci_u32_e64 v34, s0, s7, v34, s0
	global_store_b32 v[31:32], v11, off
	global_store_b32 v[29:30], v25, off
	;; [unrolled: 1-line block ×3, first 2 shown]
.LBB57_7:
	s_or_b32 exec_lo, exec_lo, s2
	v_ashrrev_i32_e32 v11, 31, v28
	s_mov_b32 s1, exec_lo
	s_delay_alu instid0(VALU_DEP_1) | instskip(NEXT) | instid1(VALU_DEP_1)
	v_lshrrev_b32_e32 v9, 29, v11
	v_add_nc_u32_e32 v9, v28, v9
	s_delay_alu instid0(VALU_DEP_1) | instskip(NEXT) | instid1(VALU_DEP_1)
	v_ashrrev_i32_e32 v9, 3, v9
	v_lshrrev_b32_e32 v13, 30, v9
	s_delay_alu instid0(VALU_DEP_1) | instskip(NEXT) | instid1(VALU_DEP_1)
	v_add_nc_u32_e32 v13, v9, v13
	v_and_b32_e32 v13, -4, v13
	s_delay_alu instid0(VALU_DEP_1) | instskip(NEXT) | instid1(VALU_DEP_1)
	v_sub_nc_u32_e32 v13, v9, v13
	v_cmpx_eq_u32_e64 v15, v13
	s_cbranch_execz .LBB57_9
; %bb.8:
	v_lshrrev_b32_e32 v11, 27, v11
	v_lshlrev_b32_e32 v9, 3, v9
	s_delay_alu instid0(VALU_DEP_2) | instskip(NEXT) | instid1(VALU_DEP_2)
	v_add_nc_u32_e32 v11, v28, v11
	v_sub_nc_u32_e32 v9, v28, v9
	s_delay_alu instid0(VALU_DEP_2) | instskip(NEXT) | instid1(VALU_DEP_1)
	v_ashrrev_i32_e32 v11, 5, v11
	v_lshl_add_u32 v9, v11, 3, v9
	s_delay_alu instid0(VALU_DEP_1) | instskip(NEXT) | instid1(VALU_DEP_1)
	v_cmp_ne_u32_e64 s0, 7, v9
	v_cndmask_b32_e64 v7, 0xff800000, v7, s0
	v_cmp_ne_u32_e64 s0, 6, v9
	s_delay_alu instid0(VALU_DEP_1) | instskip(SKIP_1) | instid1(VALU_DEP_1)
	v_cndmask_b32_e64 v6, 0xff800000, v6, s0
	v_cmp_ne_u32_e64 s0, 5, v9
	v_cndmask_b32_e64 v5, 0xff800000, v5, s0
	v_cmp_ne_u32_e64 s0, 4, v9
	s_delay_alu instid0(VALU_DEP_1) | instskip(SKIP_1) | instid1(VALU_DEP_1)
	v_cndmask_b32_e64 v4, 0xff800000, v4, s0
	;; [unrolled: 5-line block ×3, first 2 shown]
	v_cmp_ne_u32_e64 s0, 1, v9
	v_cndmask_b32_e64 v1, 0xff800000, v1, s0
	v_cmp_ne_u32_e64 s0, 0, v9
	s_delay_alu instid0(VALU_DEP_1)
	v_cndmask_b32_e64 v0, 0xff800000, v0, s0
.LBB57_9:
	s_or_b32 exec_lo, exec_lo, s1
	s_cmp_eq_u32 s8, 1
	s_cbranch_scc1 .LBB57_16
; %bb.10:
	s_add_i32 s18, s18, s16
	v_add_nc_u32_e32 v9, 1, v12
	v_add3_u32 v24, s18, v24, v14
	v_add_nc_u32_e32 v11, 1, v10
	v_add_nc_u32_e32 v13, 1, v8
	s_add_i32 s11, s8, -1
	s_branch .LBB57_12
.LBB57_11:                              ;   in Loop: Header=BB57_12 Depth=1
	s_or_b32 exec_lo, exec_lo, s1
	v_add_nc_u32_e32 v24, s16, v24
	v_add_nc_u32_e32 v9, 1, v9
	;; [unrolled: 1-line block ×4, first 2 shown]
	s_add_i32 s11, s11, -1
	s_delay_alu instid0(SALU_CYCLE_1)
	s_cmp_eq_u32 s11, 0
	s_cbranch_scc1 .LBB57_16
.LBB57_12:                              ; =>This Inner Loop Header: Depth=1
	v_cmp_gt_f32_e64 s0, v1, v0
	s_delay_alu instid0(VALU_DEP_1) | instskip(SKIP_1) | instid1(VALU_DEP_2)
	v_cndmask_b32_e64 v12, v0, v1, s0
	v_cndmask_b32_e64 v10, v16, v17, s0
	v_cmp_gt_f32_e64 s0, v2, v12
	s_delay_alu instid0(VALU_DEP_1) | instskip(NEXT) | instid1(VALU_DEP_3)
	v_cndmask_b32_e64 v12, v12, v2, s0
	v_cndmask_b32_e64 v10, v10, v18, s0
	s_delay_alu instid0(VALU_DEP_2) | instskip(NEXT) | instid1(VALU_DEP_1)
	v_cmp_gt_f32_e64 s0, v3, v12
	v_cndmask_b32_e64 v12, v12, v3, s0
	s_delay_alu instid0(VALU_DEP_3) | instskip(NEXT) | instid1(VALU_DEP_2)
	v_cndmask_b32_e64 v10, v10, v19, s0
	v_cmp_gt_f32_e64 s0, v4, v12
	s_delay_alu instid0(VALU_DEP_1) | instskip(NEXT) | instid1(VALU_DEP_3)
	v_cndmask_b32_e64 v12, v12, v4, s0
	v_cndmask_b32_e64 v10, v10, v20, s0
	s_delay_alu instid0(VALU_DEP_2) | instskip(NEXT) | instid1(VALU_DEP_1)
	v_cmp_gt_f32_e64 s0, v5, v12
	v_cndmask_b32_e64 v12, v12, v5, s0
	s_delay_alu instid0(VALU_DEP_3) | instskip(NEXT) | instid1(VALU_DEP_2)
	v_cndmask_b32_e64 v10, v10, v21, s0
	v_cmp_gt_f32_e64 s0, v6, v12
	s_delay_alu instid0(VALU_DEP_1) | instskip(NEXT) | instid1(VALU_DEP_3)
	v_cndmask_b32_e64 v12, v12, v6, s0
	v_cndmask_b32_e64 v10, v10, v22, s0
	s_delay_alu instid0(VALU_DEP_2) | instskip(NEXT) | instid1(VALU_DEP_1)
	v_cmp_gt_f32_e64 s0, v7, v12
	v_cndmask_b32_e64 v14, v10, v23, s0
	v_cndmask_b32_e64 v10, v12, v7, s0
	s_delay_alu instid0(VALU_DEP_2) | instskip(NEXT) | instid1(VALU_DEP_2)
	v_mov_b32_dpp v12, v14 quad_perm:[1,0,3,2] row_mask:0xf bank_mask:0xf
	v_mov_b32_dpp v27, v10 quad_perm:[1,0,3,2] row_mask:0xf bank_mask:0xf
	s_delay_alu instid0(VALU_DEP_2) | instskip(NEXT) | instid1(VALU_DEP_2)
	v_cmp_lt_i32_e64 s0, v12, v14
	v_cmp_eq_f32_e64 s1, v10, v27
	v_cmp_lt_f32_e64 s2, v10, v27
	s_delay_alu instid0(VALU_DEP_2)
	s_and_b32 s0, s1, s0
	s_delay_alu instid0(VALU_DEP_1) | instid1(SALU_CYCLE_1)
	s_or_b32 s0, s2, s0
	s_delay_alu instid0(SALU_CYCLE_1) | instskip(SKIP_1) | instid1(VALU_DEP_2)
	v_cndmask_b32_e64 v10, v10, v27, s0
	v_cndmask_b32_e64 v14, v14, v12, s0
	v_mov_b32_dpp v12, v10 quad_perm:[2,3,0,1] row_mask:0xf bank_mask:0xf
	s_delay_alu instid0(VALU_DEP_2) | instskip(NEXT) | instid1(VALU_DEP_2)
	v_mov_b32_dpp v27, v14 quad_perm:[2,3,0,1] row_mask:0xf bank_mask:0xf
	v_cmp_eq_f32_e64 s0, v10, v12
	s_delay_alu instid0(VALU_DEP_2) | instskip(SKIP_1) | instid1(VALU_DEP_2)
	v_cmp_lt_i32_e64 s1, v27, v14
	v_cmp_lt_f32_e64 s2, v10, v12
	s_and_b32 s0, s0, s1
	s_delay_alu instid0(VALU_DEP_1) | instid1(SALU_CYCLE_1)
	s_or_b32 s0, s2, s0
	s_delay_alu instid0(SALU_CYCLE_1)
	v_cndmask_b32_e64 v27, v14, v27, s0
	s_and_saveexec_b32 s2, vcc_lo
	s_cbranch_execz .LBB57_14
; %bb.13:                               ;   in Loop: Header=BB57_12 Depth=1
	v_cndmask_b32_e64 v10, v10, v12, s0
	s_delay_alu instid0(VALU_DEP_2) | instskip(SKIP_4) | instid1(VALU_DEP_4)
	v_cmp_le_i32_e64 s0, s9, v27
	v_cmp_gt_i32_e64 s1, s10, v27
	v_ashrrev_i32_e32 v14, 31, v13
	v_subrev_nc_u32_e32 v35, s9, v27
	v_sub_f32_e32 v34, v10, v26
	s_and_b32 s0, s0, s1
	s_delay_alu instid0(SALU_CYCLE_1) | instskip(NEXT) | instid1(VALU_DEP_1)
	s_and_b32 s0, s17, s0
	v_mul_f32_e32 v10, 0x3fb8aa3b, v34
	s_delay_alu instid0(VALU_DEP_1) | instskip(SKIP_1) | instid1(VALU_DEP_2)
	v_fma_f32 v12, 0x3fb8aa3b, v34, -v10
	v_rndne_f32_e32 v28, v10
	v_fmac_f32_e32 v12, 0x32a5705f, v34
	s_delay_alu instid0(VALU_DEP_2) | instskip(SKIP_2) | instid1(VALU_DEP_3)
	v_sub_f32_e32 v10, v10, v28
	v_cvt_i32_f32_e32 v33, v28
	v_lshlrev_b64 v[28:29], 2, v[13:14]
	v_add_f32_e32 v10, v10, v12
	v_ashrrev_i32_e32 v12, 31, v11
	s_delay_alu instid0(VALU_DEP_2) | instskip(SKIP_1) | instid1(VALU_DEP_2)
	v_exp_f32_e32 v32, v10
	v_ashrrev_i32_e32 v10, 31, v9
	v_lshlrev_b64 v[30:31], 2, v[11:12]
	s_waitcnt_depctr 0xfff
	v_ldexp_f32 v12, v32, v33
	v_lshlrev_b64 v[32:33], 2, v[9:10]
	v_cndmask_b32_e64 v10, 32, v35, s0
	v_cmp_ngt_f32_e64 s0, 0xc2ce8ed0, v34
	s_delay_alu instid0(VALU_DEP_1) | instskip(SKIP_1) | instid1(VALU_DEP_1)
	v_cndmask_b32_e64 v12, 0, v12, s0
	v_add_co_u32 v28, s0, s12, v28
	v_add_co_ci_u32_e64 v29, s0, s13, v29, s0
	v_cmp_nlt_f32_e64 s0, 0x42b17218, v34
	s_delay_alu instid0(VALU_DEP_1) | instskip(SKIP_2) | instid1(VALU_DEP_1)
	v_cndmask_b32_e64 v12, 0x7f800000, v12, s0
	s_waitcnt lgkmcnt(0)
	v_add_co_u32 v30, s0, s4, v30
	v_add_co_ci_u32_e64 v31, s0, s5, v31, s0
	s_delay_alu instid0(VALU_DEP_3) | instskip(SKIP_1) | instid1(VALU_DEP_1)
	v_add_f32_e32 v25, v25, v12
	v_add_co_u32 v32, s0, s6, v32
	v_add_co_ci_u32_e64 v33, s0, s7, v33, s0
	global_store_b32 v[28:29], v12, off
	global_store_b32 v[30:31], v10, off
	;; [unrolled: 1-line block ×3, first 2 shown]
.LBB57_14:                              ;   in Loop: Header=BB57_12 Depth=1
	s_or_b32 exec_lo, exec_lo, s2
	s_delay_alu instid0(VALU_DEP_1) | instskip(SKIP_1) | instid1(VALU_DEP_1)
	v_ashrrev_i32_e32 v12, 31, v27
	s_mov_b32 s1, exec_lo
	v_lshrrev_b32_e32 v10, 29, v12
	s_delay_alu instid0(VALU_DEP_1) | instskip(NEXT) | instid1(VALU_DEP_1)
	v_add_nc_u32_e32 v10, v27, v10
	v_ashrrev_i32_e32 v10, 3, v10
	s_delay_alu instid0(VALU_DEP_1) | instskip(NEXT) | instid1(VALU_DEP_1)
	v_lshrrev_b32_e32 v14, 30, v10
	v_add_nc_u32_e32 v14, v10, v14
	s_delay_alu instid0(VALU_DEP_1) | instskip(NEXT) | instid1(VALU_DEP_1)
	v_and_b32_e32 v14, -4, v14
	v_sub_nc_u32_e32 v14, v10, v14
	s_delay_alu instid0(VALU_DEP_1)
	v_cmpx_eq_u32_e64 v15, v14
	s_cbranch_execz .LBB57_11
; %bb.15:                               ;   in Loop: Header=BB57_12 Depth=1
	v_lshrrev_b32_e32 v12, 27, v12
	v_lshlrev_b32_e32 v10, 3, v10
	s_delay_alu instid0(VALU_DEP_2) | instskip(NEXT) | instid1(VALU_DEP_2)
	v_add_nc_u32_e32 v12, v27, v12
	v_sub_nc_u32_e32 v10, v27, v10
	s_delay_alu instid0(VALU_DEP_2) | instskip(NEXT) | instid1(VALU_DEP_1)
	v_ashrrev_i32_e32 v12, 5, v12
	v_lshl_add_u32 v10, v12, 3, v10
	s_delay_alu instid0(VALU_DEP_1) | instskip(NEXT) | instid1(VALU_DEP_1)
	v_cmp_ne_u32_e64 s0, 7, v10
	v_cndmask_b32_e64 v7, 0xff800000, v7, s0
	v_cmp_ne_u32_e64 s0, 6, v10
	s_delay_alu instid0(VALU_DEP_1) | instskip(SKIP_1) | instid1(VALU_DEP_1)
	v_cndmask_b32_e64 v6, 0xff800000, v6, s0
	v_cmp_ne_u32_e64 s0, 5, v10
	v_cndmask_b32_e64 v5, 0xff800000, v5, s0
	v_cmp_ne_u32_e64 s0, 4, v10
	s_delay_alu instid0(VALU_DEP_1) | instskip(SKIP_1) | instid1(VALU_DEP_1)
	v_cndmask_b32_e64 v4, 0xff800000, v4, s0
	v_cmp_ne_u32_e64 s0, 3, v10
	v_cndmask_b32_e64 v3, 0xff800000, v3, s0
	v_cmp_ne_u32_e64 s0, 2, v10
	s_delay_alu instid0(VALU_DEP_1) | instskip(SKIP_1) | instid1(VALU_DEP_1)
	v_cndmask_b32_e64 v2, 0xff800000, v2, s0
	v_cmp_ne_u32_e64 s0, 1, v10
	v_cndmask_b32_e64 v1, 0xff800000, v1, s0
	v_cmp_ne_u32_e64 s0, 0, v10
	s_delay_alu instid0(VALU_DEP_1)
	v_cndmask_b32_e64 v0, 0xff800000, v0, s0
	s_branch .LBB57_11
.LBB57_16:
	v_cmp_eq_u32_e32 vcc_lo, 0, v15
	v_cmp_neq_f32_e64 s0, 0, v25
	s_delay_alu instid0(VALU_DEP_1) | instskip(NEXT) | instid1(SALU_CYCLE_1)
	s_and_b32 s0, vcc_lo, s0
	s_and_b32 exec_lo, exec_lo, s0
	s_cbranch_execz .LBB57_20
; %bb.17:
	s_and_not1_b32 vcc_lo, exec_lo, s3
	s_cbranch_vccnz .LBB57_20
; %bb.18:
	v_div_scale_f32 v0, null, v25, v25, 1.0
	v_div_scale_f32 v3, vcc_lo, 1.0, v25, 1.0
	v_ashrrev_i32_e32 v9, 31, v8
	s_delay_alu instid0(VALU_DEP_3) | instskip(SKIP_2) | instid1(VALU_DEP_1)
	v_rcp_f32_e32 v1, v0
	s_waitcnt_depctr 0xfff
	v_fma_f32 v2, -v0, v1, 1.0
	v_fmac_f32_e32 v1, v2, v1
	s_delay_alu instid0(VALU_DEP_1) | instskip(NEXT) | instid1(VALU_DEP_1)
	v_mul_f32_e32 v2, v3, v1
	v_fma_f32 v4, -v0, v2, v3
	s_delay_alu instid0(VALU_DEP_1) | instskip(NEXT) | instid1(VALU_DEP_1)
	v_fmac_f32_e32 v2, v4, v1
	v_fma_f32 v0, -v0, v2, v3
	s_delay_alu instid0(VALU_DEP_1) | instskip(SKIP_1) | instid1(VALU_DEP_2)
	v_div_fmas_f32 v2, v0, v1, v2
	v_lshlrev_b64 v[0:1], 2, v[8:9]
	v_div_fixup_f32 v2, v2, v25, 1.0
	s_delay_alu instid0(VALU_DEP_2) | instskip(NEXT) | instid1(VALU_DEP_3)
	v_add_co_u32 v0, vcc_lo, s12, v0
	v_add_co_ci_u32_e32 v1, vcc_lo, s13, v1, vcc_lo
.LBB57_19:                              ; =>This Inner Loop Header: Depth=1
	global_load_b32 v3, v[0:1], off
	s_add_i32 s8, s8, -1
	s_delay_alu instid0(SALU_CYCLE_1)
	s_cmp_lg_u32 s8, 0
	s_waitcnt vmcnt(0)
	v_mul_f32_e32 v3, v2, v3
	global_store_b32 v[0:1], v3, off
	v_add_co_u32 v0, vcc_lo, v0, 4
	v_add_co_ci_u32_e32 v1, vcc_lo, 0, v1, vcc_lo
	s_cbranch_scc1 .LBB57_19
.LBB57_20:
	s_nop 0
	s_sendmsg sendmsg(MSG_DEALLOC_VGPRS)
	s_endpgm
	.section	.rodata,"a",@progbits
	.p2align	6, 0x0
	.amdhsa_kernel _ZN4vllm3moe17topkGatingSoftmaxIfLi8ELi32ELi8ELi32ELb1ELi4ELNS0_23SharedExpertScoringFuncE1EEEvPKT_PKbPfiPiS9_iiiiii
		.amdhsa_group_segment_fixed_size 0
		.amdhsa_private_segment_fixed_size 0
		.amdhsa_kernarg_size 72
		.amdhsa_user_sgpr_count 15
		.amdhsa_user_sgpr_dispatch_ptr 0
		.amdhsa_user_sgpr_queue_ptr 0
		.amdhsa_user_sgpr_kernarg_segment_ptr 1
		.amdhsa_user_sgpr_dispatch_id 0
		.amdhsa_user_sgpr_private_segment_size 0
		.amdhsa_wavefront_size32 1
		.amdhsa_uses_dynamic_stack 0
		.amdhsa_enable_private_segment 0
		.amdhsa_system_sgpr_workgroup_id_x 1
		.amdhsa_system_sgpr_workgroup_id_y 0
		.amdhsa_system_sgpr_workgroup_id_z 0
		.amdhsa_system_sgpr_workgroup_info 0
		.amdhsa_system_vgpr_workitem_id 1
		.amdhsa_next_free_vgpr 37
		.amdhsa_next_free_sgpr 19
		.amdhsa_reserve_vcc 1
		.amdhsa_float_round_mode_32 0
		.amdhsa_float_round_mode_16_64 0
		.amdhsa_float_denorm_mode_32 3
		.amdhsa_float_denorm_mode_16_64 3
		.amdhsa_dx10_clamp 1
		.amdhsa_ieee_mode 1
		.amdhsa_fp16_overflow 0
		.amdhsa_workgroup_processor_mode 1
		.amdhsa_memory_ordered 1
		.amdhsa_forward_progress 0
		.amdhsa_shared_vgpr_count 0
		.amdhsa_exception_fp_ieee_invalid_op 0
		.amdhsa_exception_fp_denorm_src 0
		.amdhsa_exception_fp_ieee_div_zero 0
		.amdhsa_exception_fp_ieee_overflow 0
		.amdhsa_exception_fp_ieee_underflow 0
		.amdhsa_exception_fp_ieee_inexact 0
		.amdhsa_exception_int_div_zero 0
	.end_amdhsa_kernel
	.section	.text._ZN4vllm3moe17topkGatingSoftmaxIfLi8ELi32ELi8ELi32ELb1ELi4ELNS0_23SharedExpertScoringFuncE1EEEvPKT_PKbPfiPiS9_iiiiii,"axG",@progbits,_ZN4vllm3moe17topkGatingSoftmaxIfLi8ELi32ELi8ELi32ELb1ELi4ELNS0_23SharedExpertScoringFuncE1EEEvPKT_PKbPfiPiS9_iiiiii,comdat
.Lfunc_end57:
	.size	_ZN4vllm3moe17topkGatingSoftmaxIfLi8ELi32ELi8ELi32ELb1ELi4ELNS0_23SharedExpertScoringFuncE1EEEvPKT_PKbPfiPiS9_iiiiii, .Lfunc_end57-_ZN4vllm3moe17topkGatingSoftmaxIfLi8ELi32ELi8ELi32ELb1ELi4ELNS0_23SharedExpertScoringFuncE1EEEvPKT_PKbPfiPiS9_iiiiii
                                        ; -- End function
	.section	.AMDGPU.csdata,"",@progbits
; Kernel info:
; codeLenInByte = 2748
; NumSgprs: 21
; NumVgprs: 37
; ScratchSize: 0
; MemoryBound: 0
; FloatMode: 240
; IeeeMode: 1
; LDSByteSize: 0 bytes/workgroup (compile time only)
; SGPRBlocks: 2
; VGPRBlocks: 4
; NumSGPRsForWavesPerEU: 21
; NumVGPRsForWavesPerEU: 37
; Occupancy: 16
; WaveLimiterHint : 0
; COMPUTE_PGM_RSRC2:SCRATCH_EN: 0
; COMPUTE_PGM_RSRC2:USER_SGPR: 15
; COMPUTE_PGM_RSRC2:TRAP_HANDLER: 0
; COMPUTE_PGM_RSRC2:TGID_X_EN: 1
; COMPUTE_PGM_RSRC2:TGID_Y_EN: 0
; COMPUTE_PGM_RSRC2:TGID_Z_EN: 0
; COMPUTE_PGM_RSRC2:TIDIG_COMP_CNT: 1
	.section	.text._ZN4vllm3moe17topkGatingSoftmaxIfLi8ELi32ELi8ELi32ELb0ELi4ELNS0_23SharedExpertScoringFuncE1EEEvPKT_PKbPfiPiS9_iiiiii,"axG",@progbits,_ZN4vllm3moe17topkGatingSoftmaxIfLi8ELi32ELi8ELi32ELb0ELi4ELNS0_23SharedExpertScoringFuncE1EEEvPKT_PKbPfiPiS9_iiiiii,comdat
	.protected	_ZN4vllm3moe17topkGatingSoftmaxIfLi8ELi32ELi8ELi32ELb0ELi4ELNS0_23SharedExpertScoringFuncE1EEEvPKT_PKbPfiPiS9_iiiiii ; -- Begin function _ZN4vllm3moe17topkGatingSoftmaxIfLi8ELi32ELi8ELi32ELb0ELi4ELNS0_23SharedExpertScoringFuncE1EEEvPKT_PKbPfiPiS9_iiiiii
	.globl	_ZN4vllm3moe17topkGatingSoftmaxIfLi8ELi32ELi8ELi32ELb0ELi4ELNS0_23SharedExpertScoringFuncE1EEEvPKT_PKbPfiPiS9_iiiiii
	.p2align	8
	.type	_ZN4vllm3moe17topkGatingSoftmaxIfLi8ELi32ELi8ELi32ELb0ELi4ELNS0_23SharedExpertScoringFuncE1EEEvPKT_PKbPfiPiS9_iiiiii,@function
_ZN4vllm3moe17topkGatingSoftmaxIfLi8ELi32ELi8ELi32ELb0ELi4ELNS0_23SharedExpertScoringFuncE1EEEvPKT_PKbPfiPiS9_iiiiii: ; @_ZN4vllm3moe17topkGatingSoftmaxIfLi8ELi32ELi8ELi32ELb0ELi4ELNS0_23SharedExpertScoringFuncE1EEEvPKT_PKbPfiPiS9_iiiiii
; %bb.0:
	s_load_b32 s16, s[0:1], 0x18
	v_bfe_u32 v1, v0, 10, 10
	v_and_b32_e32 v0, 0x3ff, v0
	s_lshl_b32 s18, s15, 6
	s_mov_b32 s2, exec_lo
	s_delay_alu instid0(VALU_DEP_2) | instskip(NEXT) | instid1(VALU_DEP_2)
	v_lshlrev_b32_e32 v14, 3, v1
	v_lshrrev_b32_e32 v26, 2, v0
	s_delay_alu instid0(VALU_DEP_1) | instskip(SKIP_1) | instid1(VALU_DEP_1)
	v_add3_u32 v27, s18, v14, v26
	s_waitcnt lgkmcnt(0)
	v_cmpx_gt_i32_e64 s16, v27
	s_cbranch_execz .LBB58_21
; %bb.1:
	s_clause 0x1
	s_load_b128 s[4:7], s[0:1], 0x0
	s_load_b64 s[12:13], s[0:1], 0x10
	s_waitcnt lgkmcnt(0)
	s_cmp_eq_u64 s[6:7], 0
	s_cbranch_scc1 .LBB58_3
; %bb.2:
	v_ashrrev_i32_e32 v2, 31, v27
	v_add_co_u32 v1, vcc_lo, s6, v27
	s_delay_alu instid0(VALU_DEP_2) | instskip(SKIP_3) | instid1(VALU_DEP_1)
	v_add_co_ci_u32_e32 v2, vcc_lo, s7, v2, vcc_lo
	global_load_u8 v1, v[1:2], off
	s_waitcnt vmcnt(0)
	v_and_b32_e32 v1, 1, v1
	v_cmp_eq_u32_e32 vcc_lo, 1, v1
	s_xor_b32 s2, vcc_lo, -1
	s_delay_alu instid0(SALU_CYCLE_1)
	s_or_not1_b32 s17, s2, exec_lo
	s_branch .LBB58_4
.LBB58_3:
	s_mov_b32 s17, -1
.LBB58_4:
	s_clause 0x1
	s_load_b64 s[14:15], s[0:1], 0x40
	s_load_b128 s[8:11], s[0:1], 0x30
	v_and_b32_e32 v15, 3, v0
	s_delay_alu instid0(VALU_DEP_1) | instskip(SKIP_2) | instid1(VALU_DEP_1)
	v_lshlrev_b32_e32 v5, 2, v15
	s_waitcnt lgkmcnt(0)
	v_mul_lo_u32 v1, v27, s15
	v_ashrrev_i32_e32 v2, 31, v1
	s_delay_alu instid0(VALU_DEP_1) | instskip(SKIP_1) | instid1(VALU_DEP_2)
	v_lshlrev_b64 v[0:1], 2, v[1:2]
	v_lshlrev_b32_e32 v2, 5, v15
	v_add_co_u32 v3, vcc_lo, s4, v0
	s_delay_alu instid0(VALU_DEP_3) | instskip(NEXT) | instid1(VALU_DEP_2)
	v_add_co_ci_u32_e32 v4, vcc_lo, s5, v1, vcc_lo
	v_add_co_u32 v0, vcc_lo, v3, v2
	s_delay_alu instid0(VALU_DEP_2)
	v_add_co_ci_u32_e32 v1, vcc_lo, 0, v4, vcc_lo
	v_add_co_u32 v2, vcc_lo, v3, v5
	v_add_co_ci_u32_e32 v3, vcc_lo, 0, v4, vcc_lo
	s_clause 0x2
	global_load_b128 v[4:7], v[0:1], off
	global_load_b32 v8, v[2:3], off offset:128
	global_load_b128 v[0:3], v[0:1], off offset:16
	s_waitcnt vmcnt(2)
	v_cmp_lt_f32_e32 vcc_lo, v4, v5
	s_waitcnt vmcnt(1)
	v_dual_mul_f32 v9, 0xbfb8aa3b, v8 :: v_dual_lshlrev_b32 v18, 3, v15
	v_cmp_ngt_f32_e64 s2, 0xc2b17218, v8
	v_cndmask_b32_e32 v11, v4, v5, vcc_lo
	s_delay_alu instid0(VALU_DEP_3) | instskip(NEXT) | instid1(VALU_DEP_4)
	v_rndne_f32_e32 v13, v9
	v_or_b32_e32 v19, 1, v18
	v_or_b32_e32 v20, 2, v18
	v_fma_f32 v12, 0xbfb8aa3b, v8, -v9
	v_or_b32_e32 v21, 3, v18
	v_or_b32_e32 v22, 4, v18
	v_cndmask_b32_e32 v10, v18, v19, vcc_lo
	v_cmp_lt_f32_e32 vcc_lo, v11, v6
	v_dual_sub_f32 v9, v9, v13 :: v_dual_fmamk_f32 v12, v8, 0xb2a5705f, v12
	v_or_b32_e32 v23, 5, v18
	v_or_b32_e32 v24, 6, v18
	v_dual_cndmask_b32 v10, v10, v20 :: v_dual_cndmask_b32 v11, v11, v6
	v_or_b32_e32 v25, 7, v18
	s_delay_alu instid0(VALU_DEP_2) | instskip(NEXT) | instid1(VALU_DEP_3)
	v_cmp_lt_f32_e32 vcc_lo, v11, v7
	v_dual_cndmask_b32 v10, v10, v21 :: v_dual_cndmask_b32 v11, v11, v7
	s_waitcnt vmcnt(0)
	s_delay_alu instid0(VALU_DEP_1) | instskip(SKIP_3) | instid1(VALU_DEP_3)
	v_cmp_lt_f32_e32 vcc_lo, v11, v0
	v_add_f32_e32 v9, v9, v12
	v_cvt_i32_f32_e32 v12, v13
	v_cndmask_b32_e32 v10, v10, v22, vcc_lo
	v_exp_f32_e32 v9, v9
	v_cndmask_b32_e32 v11, v11, v0, vcc_lo
	v_cmp_nlt_f32_e32 vcc_lo, 0x42ce8ed0, v8
	s_waitcnt_depctr 0xfff
	v_ldexp_f32 v9, v9, v12
	s_delay_alu instid0(VALU_DEP_1) | instskip(SKIP_1) | instid1(VALU_DEP_2)
	v_cndmask_b32_e32 v9, 0, v9, vcc_lo
	v_cmp_lt_f32_e32 vcc_lo, v11, v1
	v_cndmask_b32_e64 v8, 0x7f800000, v9, s2
	v_dual_cndmask_b32 v9, v10, v23 :: v_dual_cndmask_b32 v10, v11, v1
	s_delay_alu instid0(VALU_DEP_2) | instskip(SKIP_1) | instid1(VALU_DEP_3)
	v_add_f32_e32 v17, 1.0, v8
	v_mul_lo_u32 v8, v27, s11
	v_cmp_lt_f32_e32 vcc_lo, v10, v2
	s_delay_alu instid0(VALU_DEP_3) | instskip(SKIP_1) | instid1(VALU_DEP_4)
	v_div_scale_f32 v28, null, v17, v17, 1.0
	v_dual_cndmask_b32 v10, v10, v2 :: v_dual_cndmask_b32 v9, v9, v24
	v_add3_u32 v12, v8, s8, v15
	s_delay_alu instid0(VALU_DEP_3) | instskip(NEXT) | instid1(VALU_DEP_2)
	v_rcp_f32_e32 v29, v28
	v_cmp_lt_f32_e32 vcc_lo, v10, v3
	s_delay_alu instid0(VALU_DEP_3)
	v_dual_cndmask_b32 v9, v9, v25 :: v_dual_cndmask_b32 v10, v10, v3
	v_div_scale_f32 v30, vcc_lo, 1.0, v17, 1.0
	s_waitcnt_depctr 0xfff
	v_fma_f32 v11, -v28, v29, 1.0
	v_mov_b32_dpp v13, v9 quad_perm:[1,0,3,2] row_mask:0xf bank_mask:0xf
	v_mov_b32_dpp v16, v10 quad_perm:[1,0,3,2] row_mask:0xf bank_mask:0xf
	s_delay_alu instid0(VALU_DEP_3) | instskip(NEXT) | instid1(VALU_DEP_3)
	v_fmac_f32_e32 v29, v11, v29
	v_cmp_lt_i32_e64 s2, v13, v9
	s_delay_alu instid0(VALU_DEP_3) | instskip(SKIP_1) | instid1(VALU_DEP_4)
	v_cmp_eq_f32_e64 s3, v10, v16
	v_cmp_lt_f32_e64 s4, v10, v16
	v_mul_f32_e32 v31, v30, v29
	s_delay_alu instid0(VALU_DEP_3)
	s_and_b32 s2, s3, s2
	s_delay_alu instid0(VALU_DEP_2) | instid1(SALU_CYCLE_1)
	s_or_b32 s2, s4, s2
	s_delay_alu instid0(VALU_DEP_1) | instskip(SKIP_3) | instid1(VALU_DEP_4)
	v_fma_f32 v11, -v28, v31, v30
	v_cndmask_b32_e64 v10, v10, v16, s2
	v_cndmask_b32_e64 v9, v9, v13, s2
	v_ashrrev_i32_e32 v13, 31, v12
	v_dual_mov_b32 v16, 0 :: v_dual_fmac_f32 v31, v11, v29
	s_delay_alu instid0(VALU_DEP_4) | instskip(NEXT) | instid1(VALU_DEP_4)
	v_mov_b32_dpp v32, v10 quad_perm:[2,3,0,1] row_mask:0xf bank_mask:0xf
	v_mov_b32_dpp v11, v9 quad_perm:[2,3,0,1] row_mask:0xf bank_mask:0xf
	s_delay_alu instid0(VALU_DEP_4)
	v_lshlrev_b64 v[12:13], 2, v[12:13]
	v_cmp_eq_u32_e64 s2, 0, v15
	v_fma_f32 v28, -v28, v31, v30
	v_cmp_eq_f32_e64 s4, v10, v32
	v_cmp_lt_i32_e64 s5, v11, v9
	v_cmp_lt_f32_e64 s3, v10, v32
	s_delay_alu instid0(VALU_DEP_4) | instskip(SKIP_1) | instid1(VALU_DEP_4)
	v_div_fmas_f32 v28, v28, v29, v31
	v_add_co_u32 v12, vcc_lo, s12, v12
	s_and_b32 s4, s4, s5
	v_add_co_ci_u32_e32 v13, vcc_lo, s13, v13, vcc_lo
	s_or_b32 vcc_lo, s3, s4
	v_div_fixup_f32 v28, v28, v17, 1.0
	v_cndmask_b32_e32 v17, v10, v32, vcc_lo
	s_cmp_gt_i32 s8, 0
	s_cselect_b32 s3, -1, 0
	s_cmp_lt_i32 s8, 1
	global_store_b32 v[12:13], v28, off
	s_cbranch_scc1 .LBB58_16
; %bb.5:
	s_load_b128 s[4:7], s[0:1], 0x20
	v_mul_lo_u32 v10, v27, s14
	v_mul_lo_u32 v12, v27, s8
	v_cndmask_b32_e32 v28, v9, v11, vcc_lo
	v_mov_b32_e32 v16, 0
	s_and_saveexec_b32 s1, s2
	s_cbranch_execz .LBB58_7
; %bb.6:
	s_delay_alu instid0(VALU_DEP_2) | instskip(SKIP_3) | instid1(VALU_DEP_3)
	v_cmp_le_i32_e32 vcc_lo, s9, v28
	v_cmp_gt_i32_e64 s0, s10, v28
	v_subrev_nc_u32_e32 v35, s9, v28
	v_ashrrev_i32_e32 v13, 31, v12
	s_and_b32 s0, vcc_lo, s0
	s_delay_alu instid0(SALU_CYCLE_1) | instskip(SKIP_1) | instid1(VALU_DEP_2)
	s_and_b32 vcc_lo, s17, s0
	v_sub_f32_e32 v16, v17, v17
	v_lshlrev_b64 v[33:34], 2, v[12:13]
	s_delay_alu instid0(VALU_DEP_2) | instskip(NEXT) | instid1(VALU_DEP_1)
	v_mul_f32_e32 v9, 0x3fb8aa3b, v16
	v_rndne_f32_e32 v31, v9
	v_fma_f32 v11, 0x3fb8aa3b, v16, -v9
	s_delay_alu instid0(VALU_DEP_2) | instskip(NEXT) | instid1(VALU_DEP_2)
	v_sub_f32_e32 v9, v9, v31
	v_fmamk_f32 v11, v16, 0x32a5705f, v11
	s_delay_alu instid0(VALU_DEP_1) | instskip(SKIP_1) | instid1(VALU_DEP_2)
	v_add_f32_e32 v11, v9, v11
	v_ashrrev_i32_e32 v9, 31, v8
	v_exp_f32_e32 v36, v11
	s_delay_alu instid0(VALU_DEP_1) | instskip(SKIP_2) | instid1(VALU_DEP_2)
	v_lshlrev_b64 v[29:30], 2, v[8:9]
	v_ashrrev_i32_e32 v11, 31, v10
	v_cvt_i32_f32_e32 v9, v31
	v_lshlrev_b64 v[31:32], 2, v[10:11]
	v_cndmask_b32_e32 v11, 32, v35, vcc_lo
	v_add_co_u32 v29, vcc_lo, s12, v29
	v_add_co_ci_u32_e32 v30, vcc_lo, s13, v30, vcc_lo
	s_delay_alu instid0(TRANS32_DEP_1) | instskip(SKIP_1) | instid1(VALU_DEP_2)
	v_ldexp_f32 v9, v36, v9
	v_cmp_ngt_f32_e32 vcc_lo, 0xc2ce8ed0, v16
	v_cndmask_b32_e32 v9, 0, v9, vcc_lo
	s_waitcnt lgkmcnt(0)
	v_add_co_u32 v31, vcc_lo, s4, v31
	v_add_co_ci_u32_e32 v32, vcc_lo, s5, v32, vcc_lo
	v_cmp_nlt_f32_e32 vcc_lo, 0x42b17218, v16
	v_cndmask_b32_e32 v16, 0x7f800000, v9, vcc_lo
	v_add_co_u32 v33, vcc_lo, s6, v33
	v_add_co_ci_u32_e32 v34, vcc_lo, s7, v34, vcc_lo
	global_store_b32 v[31:32], v11, off
	global_store_b32 v[29:30], v16, off
	;; [unrolled: 1-line block ×3, first 2 shown]
.LBB58_7:
	s_or_b32 exec_lo, exec_lo, s1
	v_ashrrev_i32_e32 v11, 31, v28
	s_mov_b32 s0, exec_lo
	s_delay_alu instid0(VALU_DEP_1) | instskip(NEXT) | instid1(VALU_DEP_1)
	v_lshrrev_b32_e32 v9, 29, v11
	v_add_nc_u32_e32 v9, v28, v9
	s_delay_alu instid0(VALU_DEP_1) | instskip(NEXT) | instid1(VALU_DEP_1)
	v_ashrrev_i32_e32 v9, 3, v9
	v_lshrrev_b32_e32 v13, 30, v9
	s_delay_alu instid0(VALU_DEP_1) | instskip(NEXT) | instid1(VALU_DEP_1)
	v_add_nc_u32_e32 v13, v9, v13
	v_and_b32_e32 v13, -4, v13
	s_delay_alu instid0(VALU_DEP_1) | instskip(NEXT) | instid1(VALU_DEP_1)
	v_sub_nc_u32_e32 v13, v9, v13
	v_cmpx_eq_u32_e64 v15, v13
	s_cbranch_execz .LBB58_9
; %bb.8:
	v_lshrrev_b32_e32 v11, 27, v11
	v_lshlrev_b32_e32 v9, 3, v9
	s_delay_alu instid0(VALU_DEP_2) | instskip(NEXT) | instid1(VALU_DEP_2)
	v_add_nc_u32_e32 v11, v28, v11
	v_sub_nc_u32_e32 v9, v28, v9
	s_delay_alu instid0(VALU_DEP_2) | instskip(NEXT) | instid1(VALU_DEP_1)
	v_ashrrev_i32_e32 v11, 5, v11
	v_lshl_add_u32 v9, v11, 3, v9
	s_delay_alu instid0(VALU_DEP_1)
	v_cmp_ne_u32_e32 vcc_lo, 7, v9
	v_cndmask_b32_e32 v3, 0xff800000, v3, vcc_lo
	v_cmp_ne_u32_e32 vcc_lo, 6, v9
	v_cndmask_b32_e32 v2, 0xff800000, v2, vcc_lo
	;; [unrolled: 2-line block ×8, first 2 shown]
.LBB58_9:
	s_or_b32 exec_lo, exec_lo, s0
	s_cmp_eq_u32 s8, 1
	s_cbranch_scc1 .LBB58_16
; %bb.10:
	s_add_i32 s18, s18, s16
	v_add_nc_u32_e32 v9, 1, v12
	v_add3_u32 v26, s18, v26, v14
	v_add_nc_u32_e32 v11, 1, v10
	v_add_nc_u32_e32 v13, 1, v8
	s_add_i32 s11, s8, -1
	s_branch .LBB58_12
.LBB58_11:                              ;   in Loop: Header=BB58_12 Depth=1
	s_or_b32 exec_lo, exec_lo, s0
	v_add_nc_u32_e32 v26, s16, v26
	v_add_nc_u32_e32 v9, 1, v9
	;; [unrolled: 1-line block ×4, first 2 shown]
	s_add_i32 s11, s11, -1
	s_delay_alu instid0(SALU_CYCLE_1)
	s_cmp_eq_u32 s11, 0
	s_cbranch_scc1 .LBB58_16
.LBB58_12:                              ; =>This Inner Loop Header: Depth=1
	v_cmp_gt_f32_e32 vcc_lo, v5, v4
	v_cndmask_b32_e32 v12, v4, v5, vcc_lo
	v_cndmask_b32_e32 v10, v18, v19, vcc_lo
	s_delay_alu instid0(VALU_DEP_2) | instskip(SKIP_1) | instid1(VALU_DEP_3)
	v_cmp_gt_f32_e32 vcc_lo, v6, v12
	v_cndmask_b32_e32 v12, v12, v6, vcc_lo
	v_cndmask_b32_e32 v10, v10, v20, vcc_lo
	s_delay_alu instid0(VALU_DEP_2) | instskip(SKIP_1) | instid1(VALU_DEP_3)
	;; [unrolled: 4-line block ×5, first 2 shown]
	v_cmp_gt_f32_e32 vcc_lo, v2, v12
	v_cndmask_b32_e32 v12, v12, v2, vcc_lo
	v_cndmask_b32_e32 v10, v10, v24, vcc_lo
	s_delay_alu instid0(VALU_DEP_2) | instskip(NEXT) | instid1(VALU_DEP_2)
	v_cmp_gt_f32_e32 vcc_lo, v3, v12
	v_cndmask_b32_e32 v14, v10, v25, vcc_lo
	v_cndmask_b32_e32 v10, v12, v3, vcc_lo
	s_delay_alu instid0(VALU_DEP_2) | instskip(NEXT) | instid1(VALU_DEP_2)
	v_mov_b32_dpp v12, v14 quad_perm:[1,0,3,2] row_mask:0xf bank_mask:0xf
	v_mov_b32_dpp v27, v10 quad_perm:[1,0,3,2] row_mask:0xf bank_mask:0xf
	s_delay_alu instid0(VALU_DEP_2) | instskip(NEXT) | instid1(VALU_DEP_2)
	v_cmp_lt_i32_e32 vcc_lo, v12, v14
	v_cmp_eq_f32_e64 s0, v10, v27
	v_cmp_lt_f32_e64 s1, v10, v27
	s_delay_alu instid0(VALU_DEP_2)
	s_and_b32 s0, s0, vcc_lo
	s_delay_alu instid0(VALU_DEP_1) | instid1(SALU_CYCLE_1)
	s_or_b32 vcc_lo, s1, s0
	v_cndmask_b32_e32 v10, v10, v27, vcc_lo
	v_cndmask_b32_e32 v14, v14, v12, vcc_lo
	s_delay_alu instid0(VALU_DEP_2) | instskip(NEXT) | instid1(VALU_DEP_2)
	v_mov_b32_dpp v12, v10 quad_perm:[2,3,0,1] row_mask:0xf bank_mask:0xf
	v_mov_b32_dpp v27, v14 quad_perm:[2,3,0,1] row_mask:0xf bank_mask:0xf
	s_delay_alu instid0(VALU_DEP_2) | instskip(NEXT) | instid1(VALU_DEP_2)
	v_cmp_eq_f32_e32 vcc_lo, v10, v12
	v_cmp_lt_i32_e64 s0, v27, v14
	v_cmp_lt_f32_e64 s1, v10, v12
	s_delay_alu instid0(VALU_DEP_2)
	s_and_b32 s0, vcc_lo, s0
	s_delay_alu instid0(VALU_DEP_1) | instid1(SALU_CYCLE_1)
	s_or_b32 vcc_lo, s1, s0
	v_cndmask_b32_e32 v27, v14, v27, vcc_lo
	s_and_saveexec_b32 s1, s2
	s_cbranch_execz .LBB58_14
; %bb.13:                               ;   in Loop: Header=BB58_12 Depth=1
	v_cndmask_b32_e32 v10, v10, v12, vcc_lo
	s_delay_alu instid0(VALU_DEP_2) | instskip(SKIP_4) | instid1(VALU_DEP_4)
	v_cmp_le_i32_e32 vcc_lo, s9, v27
	v_cmp_gt_i32_e64 s0, s10, v27
	v_ashrrev_i32_e32 v14, 31, v13
	v_subrev_nc_u32_e32 v35, s9, v27
	v_sub_f32_e32 v34, v10, v17
	s_and_b32 s0, vcc_lo, s0
	s_delay_alu instid0(SALU_CYCLE_1) | instskip(NEXT) | instid1(VALU_DEP_1)
	s_and_b32 vcc_lo, s17, s0
	v_mul_f32_e32 v10, 0x3fb8aa3b, v34
	s_delay_alu instid0(VALU_DEP_1) | instskip(SKIP_1) | instid1(VALU_DEP_2)
	v_fma_f32 v12, 0x3fb8aa3b, v34, -v10
	v_rndne_f32_e32 v28, v10
	v_fmac_f32_e32 v12, 0x32a5705f, v34
	s_delay_alu instid0(VALU_DEP_2) | instskip(SKIP_2) | instid1(VALU_DEP_3)
	v_sub_f32_e32 v10, v10, v28
	v_cvt_i32_f32_e32 v33, v28
	v_lshlrev_b64 v[28:29], 2, v[13:14]
	v_add_f32_e32 v10, v10, v12
	v_ashrrev_i32_e32 v12, 31, v11
	s_delay_alu instid0(VALU_DEP_2) | instskip(SKIP_1) | instid1(VALU_DEP_2)
	v_exp_f32_e32 v32, v10
	v_ashrrev_i32_e32 v10, 31, v9
	v_lshlrev_b64 v[30:31], 2, v[11:12]
	s_waitcnt_depctr 0xfff
	v_ldexp_f32 v12, v32, v33
	v_lshlrev_b64 v[32:33], 2, v[9:10]
	v_cndmask_b32_e32 v10, 32, v35, vcc_lo
	v_cmp_ngt_f32_e32 vcc_lo, 0xc2ce8ed0, v34
	s_delay_alu instid0(VALU_DEP_4) | instskip(SKIP_3) | instid1(VALU_DEP_4)
	v_cndmask_b32_e32 v12, 0, v12, vcc_lo
	v_add_co_u32 v28, vcc_lo, s12, v28
	v_add_co_ci_u32_e32 v29, vcc_lo, s13, v29, vcc_lo
	v_cmp_nlt_f32_e32 vcc_lo, 0x42b17218, v34
	v_cndmask_b32_e32 v12, 0x7f800000, v12, vcc_lo
	s_waitcnt lgkmcnt(0)
	v_add_co_u32 v30, vcc_lo, s4, v30
	v_add_co_ci_u32_e32 v31, vcc_lo, s5, v31, vcc_lo
	v_add_co_u32 v32, vcc_lo, s6, v32
	v_add_f32_e32 v16, v16, v12
	v_add_co_ci_u32_e32 v33, vcc_lo, s7, v33, vcc_lo
	global_store_b32 v[28:29], v12, off
	global_store_b32 v[30:31], v10, off
	;; [unrolled: 1-line block ×3, first 2 shown]
.LBB58_14:                              ;   in Loop: Header=BB58_12 Depth=1
	s_or_b32 exec_lo, exec_lo, s1
	s_delay_alu instid0(VALU_DEP_1) | instskip(SKIP_1) | instid1(VALU_DEP_1)
	v_ashrrev_i32_e32 v12, 31, v27
	s_mov_b32 s0, exec_lo
	v_lshrrev_b32_e32 v10, 29, v12
	s_delay_alu instid0(VALU_DEP_1) | instskip(NEXT) | instid1(VALU_DEP_1)
	v_add_nc_u32_e32 v10, v27, v10
	v_ashrrev_i32_e32 v10, 3, v10
	s_delay_alu instid0(VALU_DEP_1) | instskip(NEXT) | instid1(VALU_DEP_1)
	v_lshrrev_b32_e32 v14, 30, v10
	v_add_nc_u32_e32 v14, v10, v14
	s_delay_alu instid0(VALU_DEP_1) | instskip(NEXT) | instid1(VALU_DEP_1)
	v_and_b32_e32 v14, -4, v14
	v_sub_nc_u32_e32 v14, v10, v14
	s_delay_alu instid0(VALU_DEP_1)
	v_cmpx_eq_u32_e64 v15, v14
	s_cbranch_execz .LBB58_11
; %bb.15:                               ;   in Loop: Header=BB58_12 Depth=1
	v_lshrrev_b32_e32 v12, 27, v12
	v_lshlrev_b32_e32 v10, 3, v10
	s_delay_alu instid0(VALU_DEP_2) | instskip(NEXT) | instid1(VALU_DEP_2)
	v_add_nc_u32_e32 v12, v27, v12
	v_sub_nc_u32_e32 v10, v27, v10
	s_delay_alu instid0(VALU_DEP_2) | instskip(NEXT) | instid1(VALU_DEP_1)
	v_ashrrev_i32_e32 v12, 5, v12
	v_lshl_add_u32 v10, v12, 3, v10
	s_delay_alu instid0(VALU_DEP_1)
	v_cmp_ne_u32_e32 vcc_lo, 7, v10
	v_cndmask_b32_e32 v3, 0xff800000, v3, vcc_lo
	v_cmp_ne_u32_e32 vcc_lo, 6, v10
	v_cndmask_b32_e32 v2, 0xff800000, v2, vcc_lo
	;; [unrolled: 2-line block ×8, first 2 shown]
	s_branch .LBB58_11
.LBB58_16:
	v_sub_f32_e32 v6, v6, v17
	v_sub_f32_e32 v4, v4, v17
	;; [unrolled: 1-line block ×4, first 2 shown]
	s_delay_alu instid0(VALU_DEP_4) | instskip(NEXT) | instid1(VALU_DEP_3)
	v_dual_sub_f32 v2, v2, v17 :: v_dual_mul_f32 v11, 0x3fb8aa3b, v6
	v_dual_mul_f32 v9, 0x3fb8aa3b, v4 :: v_dual_mul_f32 v12, 0x3fb8aa3b, v7
	v_cmp_ngt_f32_e32 vcc_lo, 0xc2ce8ed0, v4
	v_sub_f32_e32 v0, v0, v17
	s_delay_alu instid0(VALU_DEP_4) | instskip(NEXT) | instid1(VALU_DEP_4)
	v_fma_f32 v20, 0x3fb8aa3b, v6, -v11
	v_fma_f32 v13, 0x3fb8aa3b, v4, -v9
	v_rndne_f32_e32 v14, v9
	v_mul_f32_e32 v10, 0x3fb8aa3b, v5
	v_rndne_f32_e32 v21, v11
	v_fmac_f32_e32 v20, 0x32a5705f, v6
	v_rndne_f32_e32 v23, v12
	v_sub_f32_e32 v9, v9, v14
	v_fma_f32 v18, 0x3fb8aa3b, v5, -v10
	v_rndne_f32_e32 v19, v10
	v_fmac_f32_e32 v13, 0x32a5705f, v4
	v_sub_f32_e32 v11, v11, v21
	v_sub_f32_e32 v1, v1, v17
	v_fmac_f32_e32 v18, 0x32a5705f, v5
	s_delay_alu instid0(VALU_DEP_4) | instskip(SKIP_3) | instid1(VALU_DEP_4)
	v_dual_sub_f32 v10, v10, v19 :: v_dual_add_f32 v9, v9, v13
	v_cvt_i32_f32_e32 v13, v14
	v_fma_f32 v22, 0x3fb8aa3b, v7, -v12
	v_cvt_i32_f32_e32 v14, v19
	v_add_f32_e32 v10, v10, v18
	v_exp_f32_e32 v9, v9
	s_delay_alu instid0(VALU_DEP_3) | instskip(NEXT) | instid1(VALU_DEP_2)
	v_dual_add_f32 v11, v11, v20 :: v_dual_fmac_f32 v22, 0x32a5705f, v7
	v_exp_f32_e32 v10, v10
	s_delay_alu instid0(VALU_DEP_1) | instskip(NEXT) | instid1(TRANS32_DEP_3)
	v_exp_f32_e32 v11, v11
	v_ldexp_f32 v9, v9, v13
	v_sub_f32_e32 v12, v12, v23
	v_cvt_i32_f32_e32 v13, v21
	s_waitcnt_depctr 0xfff
	v_ldexp_f32 v10, v10, v14
	v_cndmask_b32_e32 v9, 0, v9, vcc_lo
	v_cmp_ngt_f32_e32 vcc_lo, 0xc2ce8ed0, v5
	v_ldexp_f32 v11, v11, v13
	s_delay_alu instid0(VALU_DEP_4) | instskip(SKIP_3) | instid1(VALU_DEP_4)
	v_cndmask_b32_e32 v10, 0, v10, vcc_lo
	v_cmp_nlt_f32_e32 vcc_lo, 0x42b17218, v4
	v_cndmask_b32_e32 v4, 0x7f800000, v9, vcc_lo
	v_cmp_nlt_f32_e32 vcc_lo, 0x42b17218, v5
	v_cndmask_b32_e32 v5, 0x7f800000, v10, vcc_lo
	v_cmp_ngt_f32_e32 vcc_lo, 0xc2ce8ed0, v6
	v_add_f32_e32 v12, v12, v22
	v_cvt_i32_f32_e32 v10, v23
	s_delay_alu instid0(VALU_DEP_4) | instskip(NEXT) | instid1(VALU_DEP_3)
	v_dual_add_f32 v4, v4, v5 :: v_dual_cndmask_b32 v9, 0, v11
	v_exp_f32_e32 v12, v12
	v_cmp_nlt_f32_e32 vcc_lo, 0x42b17218, v6
	v_dual_mul_f32 v6, 0x3fb8aa3b, v0 :: v_dual_mul_f32 v11, 0x3fb8aa3b, v2
	s_delay_alu instid0(VALU_DEP_3) | instskip(SKIP_1) | instid1(VALU_DEP_3)
	v_cndmask_b32_e32 v5, 0x7f800000, v9, vcc_lo
	v_cmp_ngt_f32_e32 vcc_lo, 0xc2ce8ed0, v7
	v_rndne_f32_e32 v13, v11
	s_waitcnt_depctr 0xfff
	v_ldexp_f32 v9, v12, v10
	v_add_f32_e32 v4, v4, v5
	v_fma_f32 v5, 0x3fb8aa3b, v0, -v6
	v_rndne_f32_e32 v10, v6
	v_fma_f32 v12, 0x3fb8aa3b, v2, -v11
	v_cndmask_b32_e32 v9, 0, v9, vcc_lo
	v_cmp_nlt_f32_e32 vcc_lo, 0x42b17218, v7
	s_delay_alu instid0(VALU_DEP_4) | instskip(NEXT) | instid1(VALU_DEP_4)
	v_dual_fmac_f32 v5, 0x32a5705f, v0 :: v_dual_sub_f32 v6, v6, v10
	v_dual_sub_f32 v3, v3, v17 :: v_dual_fmac_f32 v12, 0x32a5705f, v2
	s_delay_alu instid0(VALU_DEP_4) | instskip(SKIP_1) | instid1(VALU_DEP_3)
	v_cndmask_b32_e32 v7, 0x7f800000, v9, vcc_lo
	v_mul_f32_e32 v9, 0x3fb8aa3b, v1
	v_dual_add_f32 v5, v6, v5 :: v_dual_mul_f32 v14, 0x3fb8aa3b, v3
	v_cvt_i32_f32_e32 v10, v10
	s_delay_alu instid0(VALU_DEP_4) | instskip(NEXT) | instid1(VALU_DEP_4)
	v_add_f32_e32 v4, v4, v7
	v_fma_f32 v6, 0x3fb8aa3b, v1, -v9
	v_rndne_f32_e32 v7, v9
	v_exp_f32_e32 v5, v5
	v_cmp_ngt_f32_e32 vcc_lo, 0xc2ce8ed0, v0
	v_rndne_f32_e32 v17, v14
	s_delay_alu instid0(VALU_DEP_3) | instskip(SKIP_1) | instid1(VALU_DEP_2)
	v_dual_fmac_f32 v6, 0x32a5705f, v1 :: v_dual_sub_f32 v9, v9, v7
	v_cvt_i32_f32_e32 v7, v7
	v_add_f32_e32 v6, v9, v6
	s_waitcnt_depctr 0xfff
	v_ldexp_f32 v5, v5, v10
	v_exp_f32_e32 v6, v6
	s_waitcnt_depctr 0xfff
	v_ldexp_f32 v6, v6, v7
	v_cndmask_b32_e32 v5, 0, v5, vcc_lo
	v_cmp_nlt_f32_e32 vcc_lo, 0x42b17218, v0
	s_delay_alu instid0(VALU_DEP_2) | instskip(SKIP_2) | instid1(VALU_DEP_3)
	v_cndmask_b32_e32 v0, 0x7f800000, v5, vcc_lo
	v_cmp_ngt_f32_e32 vcc_lo, 0xc2ce8ed0, v1
	v_cvt_i32_f32_e32 v5, v13
	v_add_f32_e32 v0, v4, v0
	v_cndmask_b32_e32 v6, 0, v6, vcc_lo
	v_cmp_nlt_f32_e32 vcc_lo, 0x42b17218, v1
	s_delay_alu instid0(VALU_DEP_2) | instskip(SKIP_2) | instid1(VALU_DEP_1)
	v_dual_sub_f32 v10, v14, v17 :: v_dual_cndmask_b32 v1, 0x7f800000, v6
	v_sub_f32_e32 v9, v11, v13
	v_fma_f32 v11, 0x3fb8aa3b, v3, -v14
	v_fmac_f32_e32 v11, 0x32a5705f, v3
	s_delay_alu instid0(VALU_DEP_1) | instskip(SKIP_1) | instid1(VALU_DEP_2)
	v_dual_add_f32 v10, v10, v11 :: v_dual_add_f32 v9, v9, v12
	v_cmp_ngt_f32_e32 vcc_lo, 0xc2ce8ed0, v2
	v_exp_f32_e32 v7, v10
	s_delay_alu instid0(VALU_DEP_2) | instskip(SKIP_3) | instid1(VALU_DEP_2)
	v_exp_f32_e32 v9, v9
	s_waitcnt_depctr 0xfff
	v_ldexp_f32 v4, v9, v5
	v_cvt_i32_f32_e32 v5, v17
	v_cndmask_b32_e32 v4, 0, v4, vcc_lo
	v_cmp_nlt_f32_e32 vcc_lo, 0x42b17218, v2
	s_delay_alu instid0(VALU_DEP_3) | instskip(NEXT) | instid1(VALU_DEP_3)
	v_ldexp_f32 v5, v7, v5
	v_dual_add_f32 v0, v0, v1 :: v_dual_cndmask_b32 v1, 0x7f800000, v4
	v_cmp_ngt_f32_e32 vcc_lo, 0xc2ce8ed0, v3
	s_delay_alu instid0(VALU_DEP_2) | instskip(NEXT) | instid1(VALU_DEP_4)
	v_add_f32_e32 v0, v0, v1
	v_cndmask_b32_e32 v2, 0, v5, vcc_lo
	v_cmp_nlt_f32_e32 vcc_lo, 0x42b17218, v3
	s_delay_alu instid0(VALU_DEP_2) | instskip(SKIP_1) | instid1(VALU_DEP_2)
	v_cndmask_b32_e32 v1, 0x7f800000, v2, vcc_lo
	v_cmp_eq_u32_e32 vcc_lo, 0, v15
	v_add_f32_e32 v0, v0, v1
	s_delay_alu instid0(VALU_DEP_1) | instskip(NEXT) | instid1(VALU_DEP_1)
	v_mov_b32_dpp v1, v0 quad_perm:[1,0,3,2] row_mask:0xf bank_mask:0xf
	v_add_f32_e32 v0, v0, v1
	s_delay_alu instid0(VALU_DEP_1)
	v_mov_b32_dpp v1, v0 quad_perm:[2,3,0,1] row_mask:0xf bank_mask:0xf
	s_and_b32 exec_lo, exec_lo, vcc_lo
	s_cbranch_execz .LBB58_21
; %bb.17:
	s_delay_alu instid0(VALU_DEP_1) | instskip(NEXT) | instid1(VALU_DEP_1)
	v_add_f32_e32 v0, v0, v1
	v_add_f32_e32 v0, v16, v0
	s_delay_alu instid0(VALU_DEP_1)
	v_cmp_neq_f32_e32 vcc_lo, 0, v0
	s_and_b32 exec_lo, exec_lo, vcc_lo
	s_cbranch_execz .LBB58_21
; %bb.18:
	s_and_not1_b32 vcc_lo, exec_lo, s3
	s_cbranch_vccnz .LBB58_21
; %bb.19:
	v_div_scale_f32 v1, null, v0, v0, 1.0
	v_div_scale_f32 v4, vcc_lo, 1.0, v0, 1.0
	v_ashrrev_i32_e32 v9, 31, v8
	s_delay_alu instid0(VALU_DEP_3) | instskip(SKIP_2) | instid1(VALU_DEP_1)
	v_rcp_f32_e32 v2, v1
	s_waitcnt_depctr 0xfff
	v_fma_f32 v3, -v1, v2, 1.0
	v_fmac_f32_e32 v2, v3, v2
	s_delay_alu instid0(VALU_DEP_1) | instskip(NEXT) | instid1(VALU_DEP_1)
	v_mul_f32_e32 v3, v4, v2
	v_fma_f32 v5, -v1, v3, v4
	s_delay_alu instid0(VALU_DEP_1) | instskip(NEXT) | instid1(VALU_DEP_1)
	v_fmac_f32_e32 v3, v5, v2
	v_fma_f32 v1, -v1, v3, v4
	s_delay_alu instid0(VALU_DEP_1) | instskip(SKIP_1) | instid1(VALU_DEP_2)
	v_div_fmas_f32 v1, v1, v2, v3
	v_lshlrev_b64 v[3:4], 2, v[8:9]
	v_div_fixup_f32 v2, v1, v0, 1.0
	s_delay_alu instid0(VALU_DEP_2) | instskip(NEXT) | instid1(VALU_DEP_3)
	v_add_co_u32 v0, vcc_lo, s12, v3
	v_add_co_ci_u32_e32 v1, vcc_lo, s13, v4, vcc_lo
.LBB58_20:                              ; =>This Inner Loop Header: Depth=1
	global_load_b32 v3, v[0:1], off
	s_add_i32 s8, s8, -1
	s_delay_alu instid0(SALU_CYCLE_1)
	s_cmp_lg_u32 s8, 0
	s_waitcnt vmcnt(0)
	v_mul_f32_e32 v3, v2, v3
	global_store_b32 v[0:1], v3, off
	v_add_co_u32 v0, vcc_lo, v0, 4
	v_add_co_ci_u32_e32 v1, vcc_lo, 0, v1, vcc_lo
	s_cbranch_scc1 .LBB58_20
.LBB58_21:
	s_nop 0
	s_sendmsg sendmsg(MSG_DEALLOC_VGPRS)
	s_endpgm
	.section	.rodata,"a",@progbits
	.p2align	6, 0x0
	.amdhsa_kernel _ZN4vllm3moe17topkGatingSoftmaxIfLi8ELi32ELi8ELi32ELb0ELi4ELNS0_23SharedExpertScoringFuncE1EEEvPKT_PKbPfiPiS9_iiiiii
		.amdhsa_group_segment_fixed_size 0
		.amdhsa_private_segment_fixed_size 0
		.amdhsa_kernarg_size 72
		.amdhsa_user_sgpr_count 15
		.amdhsa_user_sgpr_dispatch_ptr 0
		.amdhsa_user_sgpr_queue_ptr 0
		.amdhsa_user_sgpr_kernarg_segment_ptr 1
		.amdhsa_user_sgpr_dispatch_id 0
		.amdhsa_user_sgpr_private_segment_size 0
		.amdhsa_wavefront_size32 1
		.amdhsa_uses_dynamic_stack 0
		.amdhsa_enable_private_segment 0
		.amdhsa_system_sgpr_workgroup_id_x 1
		.amdhsa_system_sgpr_workgroup_id_y 0
		.amdhsa_system_sgpr_workgroup_id_z 0
		.amdhsa_system_sgpr_workgroup_info 0
		.amdhsa_system_vgpr_workitem_id 1
		.amdhsa_next_free_vgpr 37
		.amdhsa_next_free_sgpr 19
		.amdhsa_reserve_vcc 1
		.amdhsa_float_round_mode_32 0
		.amdhsa_float_round_mode_16_64 0
		.amdhsa_float_denorm_mode_32 3
		.amdhsa_float_denorm_mode_16_64 3
		.amdhsa_dx10_clamp 1
		.amdhsa_ieee_mode 1
		.amdhsa_fp16_overflow 0
		.amdhsa_workgroup_processor_mode 1
		.amdhsa_memory_ordered 1
		.amdhsa_forward_progress 0
		.amdhsa_shared_vgpr_count 0
		.amdhsa_exception_fp_ieee_invalid_op 0
		.amdhsa_exception_fp_denorm_src 0
		.amdhsa_exception_fp_ieee_div_zero 0
		.amdhsa_exception_fp_ieee_overflow 0
		.amdhsa_exception_fp_ieee_underflow 0
		.amdhsa_exception_fp_ieee_inexact 0
		.amdhsa_exception_int_div_zero 0
	.end_amdhsa_kernel
	.section	.text._ZN4vllm3moe17topkGatingSoftmaxIfLi8ELi32ELi8ELi32ELb0ELi4ELNS0_23SharedExpertScoringFuncE1EEEvPKT_PKbPfiPiS9_iiiiii,"axG",@progbits,_ZN4vllm3moe17topkGatingSoftmaxIfLi8ELi32ELi8ELi32ELb0ELi4ELNS0_23SharedExpertScoringFuncE1EEEvPKT_PKbPfiPiS9_iiiiii,comdat
.Lfunc_end58:
	.size	_ZN4vllm3moe17topkGatingSoftmaxIfLi8ELi32ELi8ELi32ELb0ELi4ELNS0_23SharedExpertScoringFuncE1EEEvPKT_PKbPfiPiS9_iiiiii, .Lfunc_end58-_ZN4vllm3moe17topkGatingSoftmaxIfLi8ELi32ELi8ELi32ELb0ELi4ELNS0_23SharedExpertScoringFuncE1EEEvPKT_PKbPfiPiS9_iiiiii
                                        ; -- End function
	.section	.AMDGPU.csdata,"",@progbits
; Kernel info:
; codeLenInByte = 3220
; NumSgprs: 21
; NumVgprs: 37
; ScratchSize: 0
; MemoryBound: 0
; FloatMode: 240
; IeeeMode: 1
; LDSByteSize: 0 bytes/workgroup (compile time only)
; SGPRBlocks: 2
; VGPRBlocks: 4
; NumSGPRsForWavesPerEU: 21
; NumVGPRsForWavesPerEU: 37
; Occupancy: 16
; WaveLimiterHint : 0
; COMPUTE_PGM_RSRC2:SCRATCH_EN: 0
; COMPUTE_PGM_RSRC2:USER_SGPR: 15
; COMPUTE_PGM_RSRC2:TRAP_HANDLER: 0
; COMPUTE_PGM_RSRC2:TGID_X_EN: 1
; COMPUTE_PGM_RSRC2:TGID_Y_EN: 0
; COMPUTE_PGM_RSRC2:TGID_Z_EN: 0
; COMPUTE_PGM_RSRC2:TIDIG_COMP_CNT: 1
	.section	.text._ZN4vllm3moe17topkGatingSoftmaxIfLi8ELi32ELi8ELi32ELb1ELi8ELNS0_23SharedExpertScoringFuncE1EEEvPKT_PKbPfiPiS9_iiiiii,"axG",@progbits,_ZN4vllm3moe17topkGatingSoftmaxIfLi8ELi32ELi8ELi32ELb1ELi8ELNS0_23SharedExpertScoringFuncE1EEEvPKT_PKbPfiPiS9_iiiiii,comdat
	.protected	_ZN4vllm3moe17topkGatingSoftmaxIfLi8ELi32ELi8ELi32ELb1ELi8ELNS0_23SharedExpertScoringFuncE1EEEvPKT_PKbPfiPiS9_iiiiii ; -- Begin function _ZN4vllm3moe17topkGatingSoftmaxIfLi8ELi32ELi8ELi32ELb1ELi8ELNS0_23SharedExpertScoringFuncE1EEEvPKT_PKbPfiPiS9_iiiiii
	.globl	_ZN4vllm3moe17topkGatingSoftmaxIfLi8ELi32ELi8ELi32ELb1ELi8ELNS0_23SharedExpertScoringFuncE1EEEvPKT_PKbPfiPiS9_iiiiii
	.p2align	8
	.type	_ZN4vllm3moe17topkGatingSoftmaxIfLi8ELi32ELi8ELi32ELb1ELi8ELNS0_23SharedExpertScoringFuncE1EEEvPKT_PKbPfiPiS9_iiiiii,@function
_ZN4vllm3moe17topkGatingSoftmaxIfLi8ELi32ELi8ELi32ELb1ELi8ELNS0_23SharedExpertScoringFuncE1EEEvPKT_PKbPfiPiS9_iiiiii: ; @_ZN4vllm3moe17topkGatingSoftmaxIfLi8ELi32ELi8ELi32ELb1ELi8ELNS0_23SharedExpertScoringFuncE1EEEvPKT_PKbPfiPiS9_iiiiii
; %bb.0:
	s_load_b32 s16, s[0:1], 0x18
	v_bfe_u32 v1, v0, 10, 10
	v_and_b32_e32 v0, 0x3ff, v0
	s_lshl_b32 s18, s15, 6
	s_mov_b32 s2, exec_lo
	s_delay_alu instid0(VALU_DEP_2) | instskip(NEXT) | instid1(VALU_DEP_2)
	v_lshlrev_b32_e32 v14, 3, v1
	v_lshrrev_b32_e32 v24, 2, v0
	s_delay_alu instid0(VALU_DEP_1) | instskip(SKIP_1) | instid1(VALU_DEP_1)
	v_add3_u32 v27, s18, v14, v24
	s_waitcnt lgkmcnt(0)
	v_cmpx_gt_i32_e64 s16, v27
	s_cbranch_execz .LBB59_23
; %bb.1:
	s_clause 0x1
	s_load_b128 s[8:11], s[0:1], 0x0
	s_load_b64 s[12:13], s[0:1], 0x10
	s_waitcnt lgkmcnt(0)
	s_cmp_eq_u64 s[10:11], 0
	s_cbranch_scc1 .LBB59_3
; %bb.2:
	v_ashrrev_i32_e32 v2, 31, v27
	v_add_co_u32 v1, vcc_lo, s10, v27
	s_delay_alu instid0(VALU_DEP_2) | instskip(SKIP_3) | instid1(VALU_DEP_1)
	v_add_co_ci_u32_e32 v2, vcc_lo, s11, v2, vcc_lo
	global_load_u8 v1, v[1:2], off
	s_waitcnt vmcnt(0)
	v_and_b32_e32 v1, 1, v1
	v_cmp_eq_u32_e32 vcc_lo, 1, v1
	s_xor_b32 s2, vcc_lo, -1
	s_delay_alu instid0(SALU_CYCLE_1)
	s_or_not1_b32 s17, s2, exec_lo
	s_branch .LBB59_4
.LBB59_3:
	s_mov_b32 s17, -1
.LBB59_4:
	s_clause 0x1
	s_load_b64 s[14:15], s[0:1], 0x40
	s_load_b128 s[4:7], s[0:1], 0x30
	v_and_b32_e32 v15, 3, v0
	s_mov_b32 s3, 0
	s_delay_alu instid0(VALU_DEP_1)
	v_lshlrev_b32_e32 v0, 5, v15
	v_dual_mov_b32 v12, v15 :: v_dual_lshlrev_b32 v11, 2, v15
	v_lshlrev_b32_e32 v16, 3, v15
	s_waitcnt lgkmcnt(0)
	v_mul_lo_u32 v1, v27, s15
	v_mul_lo_u32 v8, v27, s7
	s_delay_alu instid0(VALU_DEP_2) | instskip(NEXT) | instid1(VALU_DEP_1)
	v_ashrrev_i32_e32 v2, 31, v1
	v_lshlrev_b64 v[9:10], 2, v[1:2]
	s_delay_alu instid0(VALU_DEP_1) | instskip(NEXT) | instid1(VALU_DEP_2)
	v_add_co_u32 v1, vcc_lo, s8, v9
	v_add_co_ci_u32_e32 v2, vcc_lo, s9, v10, vcc_lo
	s_delay_alu instid0(VALU_DEP_2) | instskip(NEXT) | instid1(VALU_DEP_2)
	v_add_co_u32 v4, vcc_lo, v1, v0
	v_add_co_ci_u32_e32 v5, vcc_lo, 0, v2, vcc_lo
	v_add_co_u32 v9, vcc_lo, v9, v11
	v_add_co_ci_u32_e32 v10, vcc_lo, 0, v10, vcc_lo
	s_clause 0x1
	global_load_b128 v[0:3], v[4:5], off offset:16
	global_load_b128 v[4:7], v[4:5], off
	v_add_co_u32 v9, vcc_lo, v9, s8
	v_add_co_ci_u32_e32 v10, vcc_lo, s9, v10, vcc_lo
	v_add_nc_u32_e32 v11, s4, v8
	s_delay_alu instid0(VALU_DEP_3) | instskip(NEXT) | instid1(VALU_DEP_3)
	v_add_co_u32 v9, vcc_lo, 0x80, v9
	v_add_co_ci_u32_e32 v10, vcc_lo, 0, v10, vcc_lo
.LBB59_5:                               ; =>This Inner Loop Header: Depth=1
	global_load_b32 v13, v[9:10], off
	v_add_nc_u32_e32 v23, 4, v12
	v_add_co_u32 v9, s2, v9, 16
	s_delay_alu instid0(VALU_DEP_1) | instskip(SKIP_1) | instid1(VALU_DEP_1)
	v_add_co_ci_u32_e64 v10, s2, 0, v10, s2
	v_cmp_lt_u32_e64 s2, 3, v12
	s_or_b32 s3, s2, s3
	s_waitcnt vmcnt(0)
	v_mul_f32_e32 v17, 0xbfb8aa3b, v13
	v_cmp_nlt_f32_e32 vcc_lo, 0x42ce8ed0, v13
	s_delay_alu instid0(VALU_DEP_2) | instskip(SKIP_1) | instid1(VALU_DEP_2)
	v_rndne_f32_e32 v18, v17
	v_fma_f32 v19, 0xbfb8aa3b, v13, -v17
	v_sub_f32_e32 v17, v17, v18
	s_delay_alu instid0(VALU_DEP_2) | instskip(SKIP_1) | instid1(VALU_DEP_2)
	v_fmac_f32_e32 v19, 0xb2a5705f, v13
	v_cvt_i32_f32_e32 v18, v18
	v_add_f32_e32 v17, v17, v19
	s_delay_alu instid0(VALU_DEP_1) | instskip(SKIP_2) | instid1(VALU_DEP_1)
	v_exp_f32_e32 v17, v17
	s_waitcnt_depctr 0xfff
	v_ldexp_f32 v17, v17, v18
	v_cndmask_b32_e32 v17, 0, v17, vcc_lo
	v_cmp_ngt_f32_e32 vcc_lo, 0xc2b17218, v13
	s_delay_alu instid0(VALU_DEP_2) | instskip(NEXT) | instid1(VALU_DEP_1)
	v_cndmask_b32_e32 v13, 0x7f800000, v17, vcc_lo
	v_add_f32_e32 v19, 1.0, v13
	s_delay_alu instid0(VALU_DEP_1) | instskip(SKIP_1) | instid1(VALU_DEP_2)
	v_div_scale_f32 v13, null, v19, v19, 1.0
	v_div_scale_f32 v21, vcc_lo, 1.0, v19, 1.0
	v_rcp_f32_e32 v20, v13
	s_waitcnt_depctr 0xfff
	v_fma_f32 v17, -v13, v20, 1.0
	s_delay_alu instid0(VALU_DEP_1) | instskip(SKIP_1) | instid1(VALU_DEP_2)
	v_fmac_f32_e32 v20, v17, v20
	v_add_nc_u32_e32 v17, v11, v12
	v_mul_f32_e32 v22, v21, v20
	s_delay_alu instid0(VALU_DEP_1) | instskip(NEXT) | instid1(VALU_DEP_1)
	v_fma_f32 v18, -v13, v22, v21
	v_fmac_f32_e32 v22, v18, v20
	s_delay_alu instid0(VALU_DEP_4) | instskip(NEXT) | instid1(VALU_DEP_2)
	v_ashrrev_i32_e32 v18, 31, v17
	v_fma_f32 v21, -v13, v22, v21
	s_delay_alu instid0(VALU_DEP_2) | instskip(NEXT) | instid1(VALU_DEP_2)
	v_lshlrev_b64 v[12:13], 2, v[17:18]
	v_div_fmas_f32 v20, v21, v20, v22
	s_delay_alu instid0(VALU_DEP_2) | instskip(SKIP_1) | instid1(VALU_DEP_4)
	v_add_co_u32 v17, vcc_lo, s12, v12
	v_mov_b32_e32 v12, v23
	v_add_co_ci_u32_e32 v18, vcc_lo, s13, v13, vcc_lo
	s_delay_alu instid0(VALU_DEP_4)
	v_div_fixup_f32 v13, v20, v19, 1.0
	global_store_b32 v[17:18], v13, off
	s_and_not1_b32 exec_lo, exec_lo, s3
	s_cbranch_execnz .LBB59_5
; %bb.6:
	s_or_b32 exec_lo, exec_lo, s3
	v_cmp_lt_f32_e32 vcc_lo, v4, v5
	v_or_b32_e32 v17, 1, v16
	v_or_b32_e32 v18, 2, v16
	;; [unrolled: 1-line block ×4, first 2 shown]
	v_cndmask_b32_e32 v10, v4, v5, vcc_lo
	v_cndmask_b32_e32 v9, v16, v17, vcc_lo
	v_or_b32_e32 v21, 5, v16
	v_or_b32_e32 v22, 6, v16
	;; [unrolled: 1-line block ×3, first 2 shown]
	v_cmp_lt_f32_e32 vcc_lo, v10, v6
	v_cndmask_b32_e32 v10, v10, v6, vcc_lo
	v_cndmask_b32_e32 v9, v9, v18, vcc_lo
	s_delay_alu instid0(VALU_DEP_2) | instskip(SKIP_1) | instid1(VALU_DEP_3)
	v_cmp_lt_f32_e32 vcc_lo, v10, v7
	v_cndmask_b32_e32 v10, v10, v7, vcc_lo
	v_cndmask_b32_e32 v9, v9, v19, vcc_lo
	s_delay_alu instid0(VALU_DEP_2) | instskip(SKIP_1) | instid1(VALU_DEP_3)
	;; [unrolled: 4-line block ×4, first 2 shown]
	v_cmp_lt_f32_e32 vcc_lo, v10, v2
	v_cndmask_b32_e32 v10, v10, v2, vcc_lo
	v_cndmask_b32_e32 v9, v9, v22, vcc_lo
	s_delay_alu instid0(VALU_DEP_2) | instskip(NEXT) | instid1(VALU_DEP_2)
	v_cmp_lt_f32_e32 vcc_lo, v10, v3
	v_cndmask_b32_e32 v11, v9, v23, vcc_lo
	v_cndmask_b32_e32 v9, v10, v3, vcc_lo
	s_delay_alu instid0(VALU_DEP_2) | instskip(NEXT) | instid1(VALU_DEP_2)
	v_mov_b32_dpp v10, v11 quad_perm:[1,0,3,2] row_mask:0xf bank_mask:0xf
	v_mov_b32_dpp v12, v9 quad_perm:[1,0,3,2] row_mask:0xf bank_mask:0xf
	s_delay_alu instid0(VALU_DEP_2) | instskip(NEXT) | instid1(VALU_DEP_2)
	v_cmp_lt_i32_e32 vcc_lo, v10, v11
	v_cmp_eq_f32_e64 s2, v9, v12
	v_cmp_lt_f32_e64 s3, v9, v12
	s_delay_alu instid0(VALU_DEP_2)
	s_and_b32 s2, s2, vcc_lo
	s_delay_alu instid0(VALU_DEP_1) | instid1(SALU_CYCLE_1)
	s_or_b32 vcc_lo, s3, s2
	s_cmp_gt_i32 s4, 0
	v_cndmask_b32_e32 v9, v9, v12, vcc_lo
	v_cndmask_b32_e32 v11, v11, v10, vcc_lo
	v_cmp_eq_u32_e64 s2, 0, v15
	s_cselect_b32 s3, -1, 0
	s_delay_alu instid0(VALU_DEP_3) | instskip(NEXT) | instid1(VALU_DEP_3)
	v_mov_b32_dpp v13, v9 quad_perm:[2,3,0,1] row_mask:0xf bank_mask:0xf
	v_mov_b32_dpp v25, v11 quad_perm:[2,3,0,1] row_mask:0xf bank_mask:0xf
	s_and_b32 vcc_lo, exec_lo, s3
	s_cbranch_vccz .LBB59_18
; %bb.7:
	s_load_b128 s[8:11], s[0:1], 0x20
	v_cmp_eq_f32_e32 vcc_lo, v9, v13
	v_cmp_lt_i32_e64 s0, v25, v11
	v_cmp_lt_f32_e64 s1, v9, v13
	v_mul_lo_u32 v10, v27, s14
	v_mul_lo_u32 v12, v27, s4
	v_mov_b32_e32 v26, 0
	s_and_b32 s0, vcc_lo, s0
	s_delay_alu instid0(SALU_CYCLE_1)
	s_or_b32 vcc_lo, s1, s0
	v_cndmask_b32_e32 v28, v11, v25, vcc_lo
	v_cndmask_b32_e32 v25, v9, v13, vcc_lo
	s_and_saveexec_b32 s1, s2
	s_cbranch_execz .LBB59_9
; %bb.8:
	s_delay_alu instid0(VALU_DEP_2) | instskip(SKIP_3) | instid1(VALU_DEP_3)
	v_cmp_le_i32_e32 vcc_lo, s5, v28
	v_cmp_gt_i32_e64 s0, s6, v28
	v_subrev_nc_u32_e32 v35, s5, v28
	v_ashrrev_i32_e32 v13, 31, v12
	s_and_b32 s0, vcc_lo, s0
	s_delay_alu instid0(SALU_CYCLE_1) | instskip(SKIP_1) | instid1(VALU_DEP_2)
	s_and_b32 vcc_lo, s17, s0
	v_sub_f32_e32 v26, v25, v25
	v_lshlrev_b64 v[33:34], 2, v[12:13]
	s_delay_alu instid0(VALU_DEP_2) | instskip(NEXT) | instid1(VALU_DEP_1)
	v_mul_f32_e32 v9, 0x3fb8aa3b, v26
	v_rndne_f32_e32 v31, v9
	v_fma_f32 v11, 0x3fb8aa3b, v26, -v9
	s_delay_alu instid0(VALU_DEP_2) | instskip(NEXT) | instid1(VALU_DEP_2)
	v_sub_f32_e32 v9, v9, v31
	v_fmamk_f32 v11, v26, 0x32a5705f, v11
	s_delay_alu instid0(VALU_DEP_1) | instskip(SKIP_1) | instid1(VALU_DEP_2)
	v_add_f32_e32 v11, v9, v11
	v_ashrrev_i32_e32 v9, 31, v8
	v_exp_f32_e32 v36, v11
	s_delay_alu instid0(VALU_DEP_1) | instskip(SKIP_2) | instid1(VALU_DEP_2)
	v_lshlrev_b64 v[29:30], 2, v[8:9]
	v_ashrrev_i32_e32 v11, 31, v10
	v_cvt_i32_f32_e32 v9, v31
	v_lshlrev_b64 v[31:32], 2, v[10:11]
	v_cndmask_b32_e32 v11, 32, v35, vcc_lo
	v_add_co_u32 v29, vcc_lo, s12, v29
	v_add_co_ci_u32_e32 v30, vcc_lo, s13, v30, vcc_lo
	s_delay_alu instid0(TRANS32_DEP_1) | instskip(SKIP_1) | instid1(VALU_DEP_2)
	v_ldexp_f32 v9, v36, v9
	v_cmp_ngt_f32_e32 vcc_lo, 0xc2ce8ed0, v26
	v_cndmask_b32_e32 v9, 0, v9, vcc_lo
	s_waitcnt lgkmcnt(0)
	v_add_co_u32 v31, vcc_lo, s8, v31
	v_add_co_ci_u32_e32 v32, vcc_lo, s9, v32, vcc_lo
	v_cmp_nlt_f32_e32 vcc_lo, 0x42b17218, v26
	v_cndmask_b32_e32 v26, 0x7f800000, v9, vcc_lo
	v_add_co_u32 v33, vcc_lo, s10, v33
	v_add_co_ci_u32_e32 v34, vcc_lo, s11, v34, vcc_lo
	global_store_b32 v[31:32], v11, off
	global_store_b32 v[29:30], v26, off
	;; [unrolled: 1-line block ×3, first 2 shown]
.LBB59_9:
	s_or_b32 exec_lo, exec_lo, s1
	v_ashrrev_i32_e32 v11, 31, v28
	s_mov_b32 s0, exec_lo
	s_delay_alu instid0(VALU_DEP_1) | instskip(NEXT) | instid1(VALU_DEP_1)
	v_lshrrev_b32_e32 v9, 29, v11
	v_add_nc_u32_e32 v9, v28, v9
	s_delay_alu instid0(VALU_DEP_1) | instskip(NEXT) | instid1(VALU_DEP_1)
	v_ashrrev_i32_e32 v9, 3, v9
	v_lshrrev_b32_e32 v13, 30, v9
	s_delay_alu instid0(VALU_DEP_1) | instskip(NEXT) | instid1(VALU_DEP_1)
	v_add_nc_u32_e32 v13, v9, v13
	v_and_b32_e32 v13, -4, v13
	s_delay_alu instid0(VALU_DEP_1) | instskip(NEXT) | instid1(VALU_DEP_1)
	v_sub_nc_u32_e32 v13, v9, v13
	v_cmpx_eq_u32_e64 v15, v13
	s_cbranch_execz .LBB59_11
; %bb.10:
	v_lshrrev_b32_e32 v11, 27, v11
	v_lshlrev_b32_e32 v9, 3, v9
	s_delay_alu instid0(VALU_DEP_2) | instskip(NEXT) | instid1(VALU_DEP_2)
	v_add_nc_u32_e32 v11, v28, v11
	v_sub_nc_u32_e32 v9, v28, v9
	s_delay_alu instid0(VALU_DEP_2) | instskip(NEXT) | instid1(VALU_DEP_1)
	v_ashrrev_i32_e32 v11, 5, v11
	v_lshl_add_u32 v9, v11, 3, v9
	s_delay_alu instid0(VALU_DEP_1)
	v_cmp_ne_u32_e32 vcc_lo, 7, v9
	v_cndmask_b32_e32 v3, 0xff800000, v3, vcc_lo
	v_cmp_ne_u32_e32 vcc_lo, 6, v9
	v_cndmask_b32_e32 v2, 0xff800000, v2, vcc_lo
	;; [unrolled: 2-line block ×8, first 2 shown]
.LBB59_11:
	s_or_b32 exec_lo, exec_lo, s0
	s_cmp_eq_u32 s4, 1
	s_cbranch_scc1 .LBB59_19
; %bb.12:
	s_add_i32 s18, s18, s16
	v_add_nc_u32_e32 v9, 1, v12
	v_add3_u32 v24, s18, v24, v14
	v_add_nc_u32_e32 v11, 1, v10
	v_add_nc_u32_e32 v13, 1, v8
	s_add_i32 s7, s4, -1
	s_branch .LBB59_14
.LBB59_13:                              ;   in Loop: Header=BB59_14 Depth=1
	s_or_b32 exec_lo, exec_lo, s0
	v_add_nc_u32_e32 v24, s16, v24
	v_add_nc_u32_e32 v9, 1, v9
	;; [unrolled: 1-line block ×4, first 2 shown]
	s_add_i32 s7, s7, -1
	s_delay_alu instid0(SALU_CYCLE_1)
	s_cmp_eq_u32 s7, 0
	s_cbranch_scc1 .LBB59_19
.LBB59_14:                              ; =>This Inner Loop Header: Depth=1
	v_cmp_gt_f32_e32 vcc_lo, v5, v4
	v_cndmask_b32_e32 v12, v4, v5, vcc_lo
	v_cndmask_b32_e32 v10, v16, v17, vcc_lo
	s_delay_alu instid0(VALU_DEP_2) | instskip(SKIP_1) | instid1(VALU_DEP_3)
	v_cmp_gt_f32_e32 vcc_lo, v6, v12
	v_cndmask_b32_e32 v12, v12, v6, vcc_lo
	v_cndmask_b32_e32 v10, v10, v18, vcc_lo
	s_delay_alu instid0(VALU_DEP_2) | instskip(SKIP_1) | instid1(VALU_DEP_3)
	;; [unrolled: 4-line block ×5, first 2 shown]
	v_cmp_gt_f32_e32 vcc_lo, v2, v12
	v_cndmask_b32_e32 v12, v12, v2, vcc_lo
	v_cndmask_b32_e32 v10, v10, v22, vcc_lo
	s_delay_alu instid0(VALU_DEP_2) | instskip(NEXT) | instid1(VALU_DEP_2)
	v_cmp_gt_f32_e32 vcc_lo, v3, v12
	v_cndmask_b32_e32 v14, v10, v23, vcc_lo
	v_cndmask_b32_e32 v10, v12, v3, vcc_lo
	s_delay_alu instid0(VALU_DEP_2) | instskip(NEXT) | instid1(VALU_DEP_2)
	v_mov_b32_dpp v12, v14 quad_perm:[1,0,3,2] row_mask:0xf bank_mask:0xf
	v_mov_b32_dpp v27, v10 quad_perm:[1,0,3,2] row_mask:0xf bank_mask:0xf
	s_delay_alu instid0(VALU_DEP_2) | instskip(NEXT) | instid1(VALU_DEP_2)
	v_cmp_lt_i32_e32 vcc_lo, v12, v14
	v_cmp_eq_f32_e64 s0, v10, v27
	v_cmp_lt_f32_e64 s1, v10, v27
	s_delay_alu instid0(VALU_DEP_2)
	s_and_b32 s0, s0, vcc_lo
	s_delay_alu instid0(VALU_DEP_1) | instid1(SALU_CYCLE_1)
	s_or_b32 vcc_lo, s1, s0
	v_cndmask_b32_e32 v10, v10, v27, vcc_lo
	v_cndmask_b32_e32 v14, v14, v12, vcc_lo
	s_delay_alu instid0(VALU_DEP_2) | instskip(NEXT) | instid1(VALU_DEP_2)
	v_mov_b32_dpp v12, v10 quad_perm:[2,3,0,1] row_mask:0xf bank_mask:0xf
	v_mov_b32_dpp v27, v14 quad_perm:[2,3,0,1] row_mask:0xf bank_mask:0xf
	s_delay_alu instid0(VALU_DEP_2) | instskip(NEXT) | instid1(VALU_DEP_2)
	v_cmp_eq_f32_e32 vcc_lo, v10, v12
	v_cmp_lt_i32_e64 s0, v27, v14
	v_cmp_lt_f32_e64 s1, v10, v12
	s_delay_alu instid0(VALU_DEP_2)
	s_and_b32 s0, vcc_lo, s0
	s_delay_alu instid0(VALU_DEP_1) | instid1(SALU_CYCLE_1)
	s_or_b32 vcc_lo, s1, s0
	v_cndmask_b32_e32 v27, v14, v27, vcc_lo
	s_and_saveexec_b32 s1, s2
	s_cbranch_execz .LBB59_16
; %bb.15:                               ;   in Loop: Header=BB59_14 Depth=1
	v_cndmask_b32_e32 v10, v10, v12, vcc_lo
	s_delay_alu instid0(VALU_DEP_2) | instskip(SKIP_4) | instid1(VALU_DEP_4)
	v_cmp_le_i32_e32 vcc_lo, s5, v27
	v_cmp_gt_i32_e64 s0, s6, v27
	v_ashrrev_i32_e32 v14, 31, v13
	v_subrev_nc_u32_e32 v35, s5, v27
	v_sub_f32_e32 v34, v10, v25
	s_and_b32 s0, vcc_lo, s0
	s_delay_alu instid0(SALU_CYCLE_1) | instskip(NEXT) | instid1(VALU_DEP_1)
	s_and_b32 vcc_lo, s17, s0
	v_mul_f32_e32 v10, 0x3fb8aa3b, v34
	s_delay_alu instid0(VALU_DEP_1) | instskip(SKIP_1) | instid1(VALU_DEP_2)
	v_fma_f32 v12, 0x3fb8aa3b, v34, -v10
	v_rndne_f32_e32 v28, v10
	v_fmac_f32_e32 v12, 0x32a5705f, v34
	s_delay_alu instid0(VALU_DEP_2) | instskip(SKIP_2) | instid1(VALU_DEP_3)
	v_sub_f32_e32 v10, v10, v28
	v_cvt_i32_f32_e32 v33, v28
	v_lshlrev_b64 v[28:29], 2, v[13:14]
	v_add_f32_e32 v10, v10, v12
	v_ashrrev_i32_e32 v12, 31, v11
	s_delay_alu instid0(VALU_DEP_2) | instskip(SKIP_1) | instid1(VALU_DEP_2)
	v_exp_f32_e32 v32, v10
	v_ashrrev_i32_e32 v10, 31, v9
	v_lshlrev_b64 v[30:31], 2, v[11:12]
	s_waitcnt_depctr 0xfff
	v_ldexp_f32 v12, v32, v33
	v_lshlrev_b64 v[32:33], 2, v[9:10]
	v_cndmask_b32_e32 v10, 32, v35, vcc_lo
	v_cmp_ngt_f32_e32 vcc_lo, 0xc2ce8ed0, v34
	s_delay_alu instid0(VALU_DEP_4) | instskip(SKIP_3) | instid1(VALU_DEP_4)
	v_cndmask_b32_e32 v12, 0, v12, vcc_lo
	v_add_co_u32 v28, vcc_lo, s12, v28
	v_add_co_ci_u32_e32 v29, vcc_lo, s13, v29, vcc_lo
	v_cmp_nlt_f32_e32 vcc_lo, 0x42b17218, v34
	v_cndmask_b32_e32 v12, 0x7f800000, v12, vcc_lo
	s_waitcnt lgkmcnt(0)
	v_add_co_u32 v30, vcc_lo, s8, v30
	v_add_co_ci_u32_e32 v31, vcc_lo, s9, v31, vcc_lo
	v_add_co_u32 v32, vcc_lo, s10, v32
	v_add_f32_e32 v26, v26, v12
	v_add_co_ci_u32_e32 v33, vcc_lo, s11, v33, vcc_lo
	global_store_b32 v[28:29], v12, off
	global_store_b32 v[30:31], v10, off
	;; [unrolled: 1-line block ×3, first 2 shown]
.LBB59_16:                              ;   in Loop: Header=BB59_14 Depth=1
	s_or_b32 exec_lo, exec_lo, s1
	s_delay_alu instid0(VALU_DEP_1) | instskip(SKIP_1) | instid1(VALU_DEP_1)
	v_ashrrev_i32_e32 v12, 31, v27
	s_mov_b32 s0, exec_lo
	v_lshrrev_b32_e32 v10, 29, v12
	s_delay_alu instid0(VALU_DEP_1) | instskip(NEXT) | instid1(VALU_DEP_1)
	v_add_nc_u32_e32 v10, v27, v10
	v_ashrrev_i32_e32 v10, 3, v10
	s_delay_alu instid0(VALU_DEP_1) | instskip(NEXT) | instid1(VALU_DEP_1)
	v_lshrrev_b32_e32 v14, 30, v10
	v_add_nc_u32_e32 v14, v10, v14
	s_delay_alu instid0(VALU_DEP_1) | instskip(NEXT) | instid1(VALU_DEP_1)
	v_and_b32_e32 v14, -4, v14
	v_sub_nc_u32_e32 v14, v10, v14
	s_delay_alu instid0(VALU_DEP_1)
	v_cmpx_eq_u32_e64 v15, v14
	s_cbranch_execz .LBB59_13
; %bb.17:                               ;   in Loop: Header=BB59_14 Depth=1
	v_lshrrev_b32_e32 v12, 27, v12
	v_lshlrev_b32_e32 v10, 3, v10
	s_delay_alu instid0(VALU_DEP_2) | instskip(NEXT) | instid1(VALU_DEP_2)
	v_add_nc_u32_e32 v12, v27, v12
	v_sub_nc_u32_e32 v10, v27, v10
	s_delay_alu instid0(VALU_DEP_2) | instskip(NEXT) | instid1(VALU_DEP_1)
	v_ashrrev_i32_e32 v12, 5, v12
	v_lshl_add_u32 v10, v12, 3, v10
	s_delay_alu instid0(VALU_DEP_1)
	v_cmp_ne_u32_e32 vcc_lo, 7, v10
	v_cndmask_b32_e32 v3, 0xff800000, v3, vcc_lo
	v_cmp_ne_u32_e32 vcc_lo, 6, v10
	v_cndmask_b32_e32 v2, 0xff800000, v2, vcc_lo
	;; [unrolled: 2-line block ×8, first 2 shown]
	s_branch .LBB59_13
.LBB59_18:
	v_mov_b32_e32 v26, 0
.LBB59_19:
	v_cmp_eq_u32_e32 vcc_lo, 0, v15
	s_delay_alu instid0(VALU_DEP_2) | instskip(NEXT) | instid1(VALU_DEP_1)
	v_cmp_neq_f32_e64 s0, 0, v26
	s_and_b32 s0, vcc_lo, s0
	s_delay_alu instid0(SALU_CYCLE_1)
	s_and_b32 exec_lo, exec_lo, s0
	s_cbranch_execz .LBB59_23
; %bb.20:
	s_and_not1_b32 vcc_lo, exec_lo, s3
	s_cbranch_vccnz .LBB59_23
; %bb.21:
	v_div_scale_f32 v0, null, v26, v26, 1.0
	v_div_scale_f32 v3, vcc_lo, 1.0, v26, 1.0
	v_ashrrev_i32_e32 v9, 31, v8
	s_delay_alu instid0(VALU_DEP_3) | instskip(SKIP_2) | instid1(VALU_DEP_1)
	v_rcp_f32_e32 v1, v0
	s_waitcnt_depctr 0xfff
	v_fma_f32 v2, -v0, v1, 1.0
	v_fmac_f32_e32 v1, v2, v1
	s_delay_alu instid0(VALU_DEP_1) | instskip(NEXT) | instid1(VALU_DEP_1)
	v_mul_f32_e32 v2, v3, v1
	v_fma_f32 v4, -v0, v2, v3
	s_delay_alu instid0(VALU_DEP_1) | instskip(NEXT) | instid1(VALU_DEP_1)
	v_fmac_f32_e32 v2, v4, v1
	v_fma_f32 v0, -v0, v2, v3
	s_delay_alu instid0(VALU_DEP_1) | instskip(SKIP_1) | instid1(VALU_DEP_2)
	v_div_fmas_f32 v2, v0, v1, v2
	v_lshlrev_b64 v[0:1], 2, v[8:9]
	v_div_fixup_f32 v2, v2, v26, 1.0
	s_delay_alu instid0(VALU_DEP_2) | instskip(NEXT) | instid1(VALU_DEP_3)
	v_add_co_u32 v0, vcc_lo, s12, v0
	v_add_co_ci_u32_e32 v1, vcc_lo, s13, v1, vcc_lo
.LBB59_22:                              ; =>This Inner Loop Header: Depth=1
	global_load_b32 v3, v[0:1], off
	s_add_i32 s4, s4, -1
	s_delay_alu instid0(SALU_CYCLE_1)
	s_cmp_lg_u32 s4, 0
	s_waitcnt vmcnt(0)
	v_mul_f32_e32 v3, v2, v3
	global_store_b32 v[0:1], v3, off
	v_add_co_u32 v0, vcc_lo, v0, 4
	v_add_co_ci_u32_e32 v1, vcc_lo, 0, v1, vcc_lo
	s_cbranch_scc1 .LBB59_22
.LBB59_23:
	s_nop 0
	s_sendmsg sendmsg(MSG_DEALLOC_VGPRS)
	s_endpgm
	.section	.rodata,"a",@progbits
	.p2align	6, 0x0
	.amdhsa_kernel _ZN4vllm3moe17topkGatingSoftmaxIfLi8ELi32ELi8ELi32ELb1ELi8ELNS0_23SharedExpertScoringFuncE1EEEvPKT_PKbPfiPiS9_iiiiii
		.amdhsa_group_segment_fixed_size 0
		.amdhsa_private_segment_fixed_size 0
		.amdhsa_kernarg_size 72
		.amdhsa_user_sgpr_count 15
		.amdhsa_user_sgpr_dispatch_ptr 0
		.amdhsa_user_sgpr_queue_ptr 0
		.amdhsa_user_sgpr_kernarg_segment_ptr 1
		.amdhsa_user_sgpr_dispatch_id 0
		.amdhsa_user_sgpr_private_segment_size 0
		.amdhsa_wavefront_size32 1
		.amdhsa_uses_dynamic_stack 0
		.amdhsa_enable_private_segment 0
		.amdhsa_system_sgpr_workgroup_id_x 1
		.amdhsa_system_sgpr_workgroup_id_y 0
		.amdhsa_system_sgpr_workgroup_id_z 0
		.amdhsa_system_sgpr_workgroup_info 0
		.amdhsa_system_vgpr_workitem_id 1
		.amdhsa_next_free_vgpr 37
		.amdhsa_next_free_sgpr 19
		.amdhsa_reserve_vcc 1
		.amdhsa_float_round_mode_32 0
		.amdhsa_float_round_mode_16_64 0
		.amdhsa_float_denorm_mode_32 3
		.amdhsa_float_denorm_mode_16_64 3
		.amdhsa_dx10_clamp 1
		.amdhsa_ieee_mode 1
		.amdhsa_fp16_overflow 0
		.amdhsa_workgroup_processor_mode 1
		.amdhsa_memory_ordered 1
		.amdhsa_forward_progress 0
		.amdhsa_shared_vgpr_count 0
		.amdhsa_exception_fp_ieee_invalid_op 0
		.amdhsa_exception_fp_denorm_src 0
		.amdhsa_exception_fp_ieee_div_zero 0
		.amdhsa_exception_fp_ieee_overflow 0
		.amdhsa_exception_fp_ieee_underflow 0
		.amdhsa_exception_fp_ieee_inexact 0
		.amdhsa_exception_int_div_zero 0
	.end_amdhsa_kernel
	.section	.text._ZN4vllm3moe17topkGatingSoftmaxIfLi8ELi32ELi8ELi32ELb1ELi8ELNS0_23SharedExpertScoringFuncE1EEEvPKT_PKbPfiPiS9_iiiiii,"axG",@progbits,_ZN4vllm3moe17topkGatingSoftmaxIfLi8ELi32ELi8ELi32ELb1ELi8ELNS0_23SharedExpertScoringFuncE1EEEvPKT_PKbPfiPiS9_iiiiii,comdat
.Lfunc_end59:
	.size	_ZN4vllm3moe17topkGatingSoftmaxIfLi8ELi32ELi8ELi32ELb1ELi8ELNS0_23SharedExpertScoringFuncE1EEEvPKT_PKbPfiPiS9_iiiiii, .Lfunc_end59-_ZN4vllm3moe17topkGatingSoftmaxIfLi8ELi32ELi8ELi32ELb1ELi8ELNS0_23SharedExpertScoringFuncE1EEEvPKT_PKbPfiPiS9_iiiiii
                                        ; -- End function
	.section	.AMDGPU.csdata,"",@progbits
; Kernel info:
; codeLenInByte = 2448
; NumSgprs: 21
; NumVgprs: 37
; ScratchSize: 0
; MemoryBound: 0
; FloatMode: 240
; IeeeMode: 1
; LDSByteSize: 0 bytes/workgroup (compile time only)
; SGPRBlocks: 2
; VGPRBlocks: 4
; NumSGPRsForWavesPerEU: 21
; NumVGPRsForWavesPerEU: 37
; Occupancy: 16
; WaveLimiterHint : 0
; COMPUTE_PGM_RSRC2:SCRATCH_EN: 0
; COMPUTE_PGM_RSRC2:USER_SGPR: 15
; COMPUTE_PGM_RSRC2:TRAP_HANDLER: 0
; COMPUTE_PGM_RSRC2:TGID_X_EN: 1
; COMPUTE_PGM_RSRC2:TGID_Y_EN: 0
; COMPUTE_PGM_RSRC2:TGID_Z_EN: 0
; COMPUTE_PGM_RSRC2:TIDIG_COMP_CNT: 1
	.section	.text._ZN4vllm3moe17topkGatingSoftmaxIfLi8ELi32ELi8ELi32ELb0ELi8ELNS0_23SharedExpertScoringFuncE1EEEvPKT_PKbPfiPiS9_iiiiii,"axG",@progbits,_ZN4vllm3moe17topkGatingSoftmaxIfLi8ELi32ELi8ELi32ELb0ELi8ELNS0_23SharedExpertScoringFuncE1EEEvPKT_PKbPfiPiS9_iiiiii,comdat
	.protected	_ZN4vllm3moe17topkGatingSoftmaxIfLi8ELi32ELi8ELi32ELb0ELi8ELNS0_23SharedExpertScoringFuncE1EEEvPKT_PKbPfiPiS9_iiiiii ; -- Begin function _ZN4vllm3moe17topkGatingSoftmaxIfLi8ELi32ELi8ELi32ELb0ELi8ELNS0_23SharedExpertScoringFuncE1EEEvPKT_PKbPfiPiS9_iiiiii
	.globl	_ZN4vllm3moe17topkGatingSoftmaxIfLi8ELi32ELi8ELi32ELb0ELi8ELNS0_23SharedExpertScoringFuncE1EEEvPKT_PKbPfiPiS9_iiiiii
	.p2align	8
	.type	_ZN4vllm3moe17topkGatingSoftmaxIfLi8ELi32ELi8ELi32ELb0ELi8ELNS0_23SharedExpertScoringFuncE1EEEvPKT_PKbPfiPiS9_iiiiii,@function
_ZN4vllm3moe17topkGatingSoftmaxIfLi8ELi32ELi8ELi32ELb0ELi8ELNS0_23SharedExpertScoringFuncE1EEEvPKT_PKbPfiPiS9_iiiiii: ; @_ZN4vllm3moe17topkGatingSoftmaxIfLi8ELi32ELi8ELi32ELb0ELi8ELNS0_23SharedExpertScoringFuncE1EEEvPKT_PKbPfiPiS9_iiiiii
; %bb.0:
	s_load_b32 s16, s[0:1], 0x18
	v_bfe_u32 v1, v0, 10, 10
	v_and_b32_e32 v0, 0x3ff, v0
	s_lshl_b32 s18, s15, 6
	s_mov_b32 s2, exec_lo
	s_delay_alu instid0(VALU_DEP_2) | instskip(NEXT) | instid1(VALU_DEP_2)
	v_lshlrev_b32_e32 v14, 3, v1
	v_lshrrev_b32_e32 v26, 2, v0
	s_delay_alu instid0(VALU_DEP_1) | instskip(SKIP_1) | instid1(VALU_DEP_1)
	v_add3_u32 v27, s18, v14, v26
	s_waitcnt lgkmcnt(0)
	v_cmpx_gt_i32_e64 s16, v27
	s_cbranch_execz .LBB60_24
; %bb.1:
	s_clause 0x1
	s_load_b128 s[8:11], s[0:1], 0x0
	s_load_b64 s[12:13], s[0:1], 0x10
	s_waitcnt lgkmcnt(0)
	s_cmp_eq_u64 s[10:11], 0
	s_cbranch_scc1 .LBB60_3
; %bb.2:
	v_ashrrev_i32_e32 v2, 31, v27
	v_add_co_u32 v1, vcc_lo, s10, v27
	s_delay_alu instid0(VALU_DEP_2) | instskip(SKIP_3) | instid1(VALU_DEP_1)
	v_add_co_ci_u32_e32 v2, vcc_lo, s11, v2, vcc_lo
	global_load_u8 v1, v[1:2], off
	s_waitcnt vmcnt(0)
	v_and_b32_e32 v1, 1, v1
	v_cmp_eq_u32_e32 vcc_lo, 1, v1
	s_xor_b32 s2, vcc_lo, -1
	s_delay_alu instid0(SALU_CYCLE_1)
	s_or_not1_b32 s17, s2, exec_lo
	s_branch .LBB60_4
.LBB60_3:
	s_mov_b32 s17, -1
.LBB60_4:
	s_clause 0x1
	s_load_b64 s[14:15], s[0:1], 0x40
	s_load_b128 s[4:7], s[0:1], 0x30
	v_and_b32_e32 v15, 3, v0
	s_mov_b32 s3, 0
	s_delay_alu instid0(VALU_DEP_1)
	v_lshlrev_b32_e32 v0, 5, v15
	v_dual_mov_b32 v12, v15 :: v_dual_lshlrev_b32 v11, 2, v15
	v_lshlrev_b32_e32 v18, 3, v15
	s_waitcnt lgkmcnt(0)
	v_mul_lo_u32 v1, v27, s15
	v_mul_lo_u32 v8, v27, s7
	s_delay_alu instid0(VALU_DEP_2) | instskip(NEXT) | instid1(VALU_DEP_1)
	v_ashrrev_i32_e32 v2, 31, v1
	v_lshlrev_b64 v[9:10], 2, v[1:2]
	s_delay_alu instid0(VALU_DEP_1) | instskip(NEXT) | instid1(VALU_DEP_2)
	v_add_co_u32 v1, vcc_lo, s8, v9
	v_add_co_ci_u32_e32 v2, vcc_lo, s9, v10, vcc_lo
	s_delay_alu instid0(VALU_DEP_2) | instskip(NEXT) | instid1(VALU_DEP_2)
	v_add_co_u32 v4, vcc_lo, v1, v0
	v_add_co_ci_u32_e32 v5, vcc_lo, 0, v2, vcc_lo
	v_add_co_u32 v9, vcc_lo, v9, v11
	v_add_co_ci_u32_e32 v10, vcc_lo, 0, v10, vcc_lo
	s_clause 0x1
	global_load_b128 v[0:3], v[4:5], off offset:16
	global_load_b128 v[4:7], v[4:5], off
	v_add_co_u32 v9, vcc_lo, v9, s8
	v_add_co_ci_u32_e32 v10, vcc_lo, s9, v10, vcc_lo
	v_add_nc_u32_e32 v11, s4, v8
	s_delay_alu instid0(VALU_DEP_3) | instskip(NEXT) | instid1(VALU_DEP_3)
	v_add_co_u32 v9, vcc_lo, 0x80, v9
	v_add_co_ci_u32_e32 v10, vcc_lo, 0, v10, vcc_lo
.LBB60_5:                               ; =>This Inner Loop Header: Depth=1
	global_load_b32 v13, v[9:10], off
	v_add_co_u32 v9, s2, v9, 16
	s_delay_alu instid0(VALU_DEP_1) | instskip(SKIP_2) | instid1(VALU_DEP_2)
	v_add_co_ci_u32_e64 v10, s2, 0, v10, s2
	v_cmp_lt_u32_e64 s2, 3, v12
	v_add_nc_u32_e32 v23, 4, v12
	s_or_b32 s3, s2, s3
	s_waitcnt vmcnt(0)
	v_mul_f32_e32 v16, 0xbfb8aa3b, v13
	v_cmp_nlt_f32_e32 vcc_lo, 0x42ce8ed0, v13
	s_delay_alu instid0(VALU_DEP_2) | instskip(SKIP_1) | instid1(VALU_DEP_2)
	v_rndne_f32_e32 v17, v16
	v_fma_f32 v19, 0xbfb8aa3b, v13, -v16
	v_sub_f32_e32 v16, v16, v17
	s_delay_alu instid0(VALU_DEP_2) | instskip(SKIP_1) | instid1(VALU_DEP_2)
	v_fmac_f32_e32 v19, 0xb2a5705f, v13
	v_cvt_i32_f32_e32 v17, v17
	v_add_f32_e32 v16, v16, v19
	s_delay_alu instid0(VALU_DEP_1) | instskip(SKIP_2) | instid1(VALU_DEP_1)
	v_exp_f32_e32 v16, v16
	s_waitcnt_depctr 0xfff
	v_ldexp_f32 v16, v16, v17
	v_cndmask_b32_e32 v16, 0, v16, vcc_lo
	v_cmp_ngt_f32_e32 vcc_lo, 0xc2b17218, v13
	s_delay_alu instid0(VALU_DEP_2) | instskip(NEXT) | instid1(VALU_DEP_1)
	v_cndmask_b32_e32 v13, 0x7f800000, v16, vcc_lo
	v_add_f32_e32 v19, 1.0, v13
	s_delay_alu instid0(VALU_DEP_1) | instskip(SKIP_1) | instid1(VALU_DEP_2)
	v_div_scale_f32 v13, null, v19, v19, 1.0
	v_div_scale_f32 v21, vcc_lo, 1.0, v19, 1.0
	v_rcp_f32_e32 v20, v13
	s_waitcnt_depctr 0xfff
	v_fma_f32 v16, -v13, v20, 1.0
	s_delay_alu instid0(VALU_DEP_1) | instskip(SKIP_1) | instid1(VALU_DEP_2)
	v_fmac_f32_e32 v20, v16, v20
	v_add_nc_u32_e32 v16, v11, v12
	v_mul_f32_e32 v22, v21, v20
	s_delay_alu instid0(VALU_DEP_1) | instskip(NEXT) | instid1(VALU_DEP_1)
	v_fma_f32 v17, -v13, v22, v21
	v_fmac_f32_e32 v22, v17, v20
	s_delay_alu instid0(VALU_DEP_4) | instskip(NEXT) | instid1(VALU_DEP_2)
	v_ashrrev_i32_e32 v17, 31, v16
	v_fma_f32 v21, -v13, v22, v21
	s_delay_alu instid0(VALU_DEP_2) | instskip(NEXT) | instid1(VALU_DEP_2)
	v_lshlrev_b64 v[12:13], 2, v[16:17]
	v_div_fmas_f32 v20, v21, v20, v22
	s_delay_alu instid0(VALU_DEP_2) | instskip(SKIP_1) | instid1(VALU_DEP_4)
	v_add_co_u32 v16, vcc_lo, s12, v12
	v_mov_b32_e32 v12, v23
	v_add_co_ci_u32_e32 v17, vcc_lo, s13, v13, vcc_lo
	s_delay_alu instid0(VALU_DEP_4)
	v_div_fixup_f32 v13, v20, v19, 1.0
	global_store_b32 v[16:17], v13, off
	s_and_not1_b32 exec_lo, exec_lo, s3
	s_cbranch_execnz .LBB60_5
; %bb.6:
	s_or_b32 exec_lo, exec_lo, s3
	v_or_b32_e32 v19, 1, v18
	v_cmp_lt_f32_e32 vcc_lo, v4, v5
	v_or_b32_e32 v20, 2, v18
	v_or_b32_e32 v21, 3, v18
	;; [unrolled: 1-line block ×4, first 2 shown]
	v_dual_cndmask_b32 v9, v18, v19 :: v_dual_cndmask_b32 v10, v4, v5
	v_or_b32_e32 v24, 6, v18
	v_or_b32_e32 v25, 7, v18
	s_delay_alu instid0(VALU_DEP_3) | instskip(NEXT) | instid1(VALU_DEP_4)
	v_cmp_lt_f32_e32 vcc_lo, v10, v6
	v_dual_cndmask_b32 v9, v9, v20 :: v_dual_cndmask_b32 v10, v10, v6
	s_delay_alu instid0(VALU_DEP_1) | instskip(NEXT) | instid1(VALU_DEP_2)
	v_cmp_lt_f32_e32 vcc_lo, v10, v7
	v_dual_cndmask_b32 v9, v9, v21 :: v_dual_cndmask_b32 v10, v10, v7
	s_delay_alu instid0(VALU_DEP_1) | instskip(NEXT) | instid1(VALU_DEP_2)
	v_cmp_lt_f32_e32 vcc_lo, v10, v0
	v_dual_cndmask_b32 v9, v9, v22 :: v_dual_cndmask_b32 v10, v10, v0
	s_delay_alu instid0(VALU_DEP_1) | instskip(NEXT) | instid1(VALU_DEP_2)
	v_cmp_lt_f32_e32 vcc_lo, v10, v1
	v_dual_cndmask_b32 v9, v9, v23 :: v_dual_cndmask_b32 v10, v10, v1
	s_delay_alu instid0(VALU_DEP_1) | instskip(NEXT) | instid1(VALU_DEP_2)
	v_cmp_lt_f32_e32 vcc_lo, v10, v2
	v_dual_cndmask_b32 v9, v9, v24 :: v_dual_cndmask_b32 v10, v10, v2
	s_delay_alu instid0(VALU_DEP_1) | instskip(NEXT) | instid1(VALU_DEP_2)
	v_cmp_lt_f32_e32 vcc_lo, v10, v3
	v_dual_cndmask_b32 v9, v9, v25 :: v_dual_cndmask_b32 v10, v10, v3
	s_delay_alu instid0(VALU_DEP_1) | instskip(NEXT) | instid1(VALU_DEP_2)
	v_mov_b32_dpp v11, v9 quad_perm:[1,0,3,2] row_mask:0xf bank_mask:0xf
	v_mov_b32_dpp v12, v10 quad_perm:[1,0,3,2] row_mask:0xf bank_mask:0xf
	s_delay_alu instid0(VALU_DEP_2) | instskip(NEXT) | instid1(VALU_DEP_2)
	v_cmp_lt_i32_e32 vcc_lo, v11, v9
	v_cmp_eq_f32_e64 s2, v10, v12
	v_cmp_lt_f32_e64 s3, v10, v12
	s_delay_alu instid0(VALU_DEP_2)
	s_and_b32 s2, s2, vcc_lo
	s_delay_alu instid0(VALU_DEP_1) | instid1(SALU_CYCLE_1)
	s_or_b32 vcc_lo, s3, s2
	v_dual_cndmask_b32 v10, v10, v12 :: v_dual_cndmask_b32 v9, v9, v11
	s_delay_alu instid0(VALU_DEP_1) | instskip(NEXT) | instid1(VALU_DEP_2)
	v_mov_b32_dpp v12, v10 quad_perm:[2,3,0,1] row_mask:0xf bank_mask:0xf
	v_mov_b32_dpp v11, v9 quad_perm:[2,3,0,1] row_mask:0xf bank_mask:0xf
	s_delay_alu instid0(VALU_DEP_2) | instskip(NEXT) | instid1(VALU_DEP_2)
	v_cmp_eq_f32_e32 vcc_lo, v10, v12
	v_cmp_lt_i32_e64 s2, v11, v9
	v_cmp_lt_f32_e64 s3, v10, v12
	s_delay_alu instid0(VALU_DEP_2)
	s_and_b32 s2, vcc_lo, s2
	s_delay_alu instid0(VALU_DEP_1) | instid1(SALU_CYCLE_1)
	s_or_b32 s3, s3, s2
	s_cmp_gt_i32 s4, 0
	v_cndmask_b32_e64 v16, v10, v12, s3
	v_cmp_eq_u32_e64 s2, 0, v15
	s_cselect_b32 s7, -1, 0
	s_delay_alu instid0(SALU_CYCLE_1)
	s_and_b32 vcc_lo, exec_lo, s7
	s_cbranch_vccz .LBB60_18
; %bb.7:
	s_load_b128 s[8:11], s[0:1], 0x20
	v_mul_lo_u32 v10, v27, s14
	v_mul_lo_u32 v12, v27, s4
	v_cndmask_b32_e64 v28, v9, v11, s3
	v_mov_b32_e32 v17, 0
	s_and_saveexec_b32 s1, s2
	s_cbranch_execz .LBB60_9
; %bb.8:
	v_sub_f32_e32 v17, v16, v16
	v_cmp_le_i32_e32 vcc_lo, s5, v28
	v_cmp_gt_i32_e64 s0, s6, v28
	v_subrev_nc_u32_e32 v35, s5, v28
	v_ashrrev_i32_e32 v13, 31, v12
	v_mul_f32_e32 v9, 0x3fb8aa3b, v17
	s_delay_alu instid0(VALU_DEP_4) | instskip(NEXT) | instid1(SALU_CYCLE_1)
	s_and_b32 s0, vcc_lo, s0
	s_and_b32 vcc_lo, s17, s0
	s_delay_alu instid0(VALU_DEP_1) | instskip(SKIP_2) | instid1(VALU_DEP_3)
	v_rndne_f32_e32 v31, v9
	v_fma_f32 v11, 0x3fb8aa3b, v17, -v9
	v_lshlrev_b64 v[33:34], 2, v[12:13]
	v_sub_f32_e32 v9, v9, v31
	s_delay_alu instid0(VALU_DEP_3) | instskip(NEXT) | instid1(VALU_DEP_1)
	v_fmamk_f32 v11, v17, 0x32a5705f, v11
	v_add_f32_e32 v11, v9, v11
	v_ashrrev_i32_e32 v9, 31, v8
	s_delay_alu instid0(VALU_DEP_2) | instskip(NEXT) | instid1(VALU_DEP_1)
	v_exp_f32_e32 v36, v11
	v_lshlrev_b64 v[29:30], 2, v[8:9]
	v_ashrrev_i32_e32 v11, 31, v10
	v_cvt_i32_f32_e32 v9, v31
	s_delay_alu instid0(VALU_DEP_2) | instskip(SKIP_3) | instid1(TRANS32_DEP_1)
	v_lshlrev_b64 v[31:32], 2, v[10:11]
	v_cndmask_b32_e32 v11, 32, v35, vcc_lo
	v_add_co_u32 v29, vcc_lo, s12, v29
	v_add_co_ci_u32_e32 v30, vcc_lo, s13, v30, vcc_lo
	v_ldexp_f32 v9, v36, v9
	v_cmp_ngt_f32_e32 vcc_lo, 0xc2ce8ed0, v17
	s_delay_alu instid0(VALU_DEP_2)
	v_cndmask_b32_e32 v9, 0, v9, vcc_lo
	s_waitcnt lgkmcnt(0)
	v_add_co_u32 v31, vcc_lo, s8, v31
	v_add_co_ci_u32_e32 v32, vcc_lo, s9, v32, vcc_lo
	v_cmp_nlt_f32_e32 vcc_lo, 0x42b17218, v17
	v_cndmask_b32_e32 v17, 0x7f800000, v9, vcc_lo
	v_add_co_u32 v33, vcc_lo, s10, v33
	v_add_co_ci_u32_e32 v34, vcc_lo, s11, v34, vcc_lo
	global_store_b32 v[31:32], v11, off
	global_store_b32 v[29:30], v17, off
	;; [unrolled: 1-line block ×3, first 2 shown]
.LBB60_9:
	s_or_b32 exec_lo, exec_lo, s1
	v_ashrrev_i32_e32 v11, 31, v28
	s_mov_b32 s0, exec_lo
	s_delay_alu instid0(VALU_DEP_1) | instskip(NEXT) | instid1(VALU_DEP_1)
	v_lshrrev_b32_e32 v9, 29, v11
	v_add_nc_u32_e32 v9, v28, v9
	s_delay_alu instid0(VALU_DEP_1) | instskip(NEXT) | instid1(VALU_DEP_1)
	v_ashrrev_i32_e32 v9, 3, v9
	v_lshrrev_b32_e32 v13, 30, v9
	s_delay_alu instid0(VALU_DEP_1) | instskip(NEXT) | instid1(VALU_DEP_1)
	v_add_nc_u32_e32 v13, v9, v13
	v_and_b32_e32 v13, -4, v13
	s_delay_alu instid0(VALU_DEP_1) | instskip(NEXT) | instid1(VALU_DEP_1)
	v_sub_nc_u32_e32 v13, v9, v13
	v_cmpx_eq_u32_e64 v15, v13
	s_cbranch_execz .LBB60_11
; %bb.10:
	v_lshrrev_b32_e32 v11, 27, v11
	v_lshlrev_b32_e32 v9, 3, v9
	s_delay_alu instid0(VALU_DEP_2) | instskip(NEXT) | instid1(VALU_DEP_2)
	v_add_nc_u32_e32 v11, v28, v11
	v_sub_nc_u32_e32 v9, v28, v9
	s_delay_alu instid0(VALU_DEP_2) | instskip(NEXT) | instid1(VALU_DEP_1)
	v_ashrrev_i32_e32 v11, 5, v11
	v_lshl_add_u32 v9, v11, 3, v9
	s_delay_alu instid0(VALU_DEP_1)
	v_cmp_ne_u32_e32 vcc_lo, 7, v9
	v_cndmask_b32_e32 v3, 0xff800000, v3, vcc_lo
	v_cmp_ne_u32_e32 vcc_lo, 6, v9
	v_cndmask_b32_e32 v2, 0xff800000, v2, vcc_lo
	;; [unrolled: 2-line block ×8, first 2 shown]
.LBB60_11:
	s_or_b32 exec_lo, exec_lo, s0
	s_cmp_eq_u32 s4, 1
	s_cbranch_scc1 .LBB60_19
; %bb.12:
	s_add_i32 s18, s18, s16
	v_add_nc_u32_e32 v9, 1, v12
	v_add3_u32 v26, s18, v26, v14
	v_add_nc_u32_e32 v11, 1, v10
	v_add_nc_u32_e32 v13, 1, v8
	s_add_i32 s3, s4, -1
	s_branch .LBB60_14
.LBB60_13:                              ;   in Loop: Header=BB60_14 Depth=1
	s_or_b32 exec_lo, exec_lo, s0
	v_add_nc_u32_e32 v26, s16, v26
	v_add_nc_u32_e32 v9, 1, v9
	;; [unrolled: 1-line block ×4, first 2 shown]
	s_add_i32 s3, s3, -1
	s_delay_alu instid0(SALU_CYCLE_1)
	s_cmp_eq_u32 s3, 0
	s_cbranch_scc1 .LBB60_19
.LBB60_14:                              ; =>This Inner Loop Header: Depth=1
	v_cmp_gt_f32_e32 vcc_lo, v5, v4
	v_cndmask_b32_e32 v12, v4, v5, vcc_lo
	v_cndmask_b32_e32 v10, v18, v19, vcc_lo
	s_delay_alu instid0(VALU_DEP_2) | instskip(SKIP_1) | instid1(VALU_DEP_3)
	v_cmp_gt_f32_e32 vcc_lo, v6, v12
	v_cndmask_b32_e32 v12, v12, v6, vcc_lo
	v_cndmask_b32_e32 v10, v10, v20, vcc_lo
	s_delay_alu instid0(VALU_DEP_2) | instskip(SKIP_1) | instid1(VALU_DEP_3)
	;; [unrolled: 4-line block ×5, first 2 shown]
	v_cmp_gt_f32_e32 vcc_lo, v2, v12
	v_cndmask_b32_e32 v12, v12, v2, vcc_lo
	v_cndmask_b32_e32 v10, v10, v24, vcc_lo
	s_delay_alu instid0(VALU_DEP_2) | instskip(NEXT) | instid1(VALU_DEP_2)
	v_cmp_gt_f32_e32 vcc_lo, v3, v12
	v_cndmask_b32_e32 v14, v10, v25, vcc_lo
	v_cndmask_b32_e32 v10, v12, v3, vcc_lo
	s_delay_alu instid0(VALU_DEP_2) | instskip(NEXT) | instid1(VALU_DEP_2)
	v_mov_b32_dpp v12, v14 quad_perm:[1,0,3,2] row_mask:0xf bank_mask:0xf
	v_mov_b32_dpp v27, v10 quad_perm:[1,0,3,2] row_mask:0xf bank_mask:0xf
	s_delay_alu instid0(VALU_DEP_2) | instskip(NEXT) | instid1(VALU_DEP_2)
	v_cmp_lt_i32_e32 vcc_lo, v12, v14
	v_cmp_eq_f32_e64 s0, v10, v27
	v_cmp_lt_f32_e64 s1, v10, v27
	s_delay_alu instid0(VALU_DEP_2)
	s_and_b32 s0, s0, vcc_lo
	s_delay_alu instid0(VALU_DEP_1) | instid1(SALU_CYCLE_1)
	s_or_b32 vcc_lo, s1, s0
	v_cndmask_b32_e32 v10, v10, v27, vcc_lo
	v_cndmask_b32_e32 v14, v14, v12, vcc_lo
	s_delay_alu instid0(VALU_DEP_2) | instskip(NEXT) | instid1(VALU_DEP_2)
	v_mov_b32_dpp v12, v10 quad_perm:[2,3,0,1] row_mask:0xf bank_mask:0xf
	v_mov_b32_dpp v27, v14 quad_perm:[2,3,0,1] row_mask:0xf bank_mask:0xf
	s_delay_alu instid0(VALU_DEP_2) | instskip(NEXT) | instid1(VALU_DEP_2)
	v_cmp_eq_f32_e32 vcc_lo, v10, v12
	v_cmp_lt_i32_e64 s0, v27, v14
	v_cmp_lt_f32_e64 s1, v10, v12
	s_delay_alu instid0(VALU_DEP_2)
	s_and_b32 s0, vcc_lo, s0
	s_delay_alu instid0(VALU_DEP_1) | instid1(SALU_CYCLE_1)
	s_or_b32 vcc_lo, s1, s0
	v_cndmask_b32_e32 v27, v14, v27, vcc_lo
	s_and_saveexec_b32 s1, s2
	s_cbranch_execz .LBB60_16
; %bb.15:                               ;   in Loop: Header=BB60_14 Depth=1
	v_cndmask_b32_e32 v10, v10, v12, vcc_lo
	s_delay_alu instid0(VALU_DEP_2) | instskip(SKIP_4) | instid1(VALU_DEP_4)
	v_cmp_le_i32_e32 vcc_lo, s5, v27
	v_cmp_gt_i32_e64 s0, s6, v27
	v_ashrrev_i32_e32 v14, 31, v13
	v_subrev_nc_u32_e32 v35, s5, v27
	v_sub_f32_e32 v34, v10, v16
	s_and_b32 s0, vcc_lo, s0
	s_delay_alu instid0(SALU_CYCLE_1) | instskip(NEXT) | instid1(VALU_DEP_1)
	s_and_b32 vcc_lo, s17, s0
	v_mul_f32_e32 v10, 0x3fb8aa3b, v34
	s_delay_alu instid0(VALU_DEP_1) | instskip(SKIP_1) | instid1(VALU_DEP_2)
	v_fma_f32 v12, 0x3fb8aa3b, v34, -v10
	v_rndne_f32_e32 v28, v10
	v_fmac_f32_e32 v12, 0x32a5705f, v34
	s_delay_alu instid0(VALU_DEP_2) | instskip(SKIP_2) | instid1(VALU_DEP_3)
	v_sub_f32_e32 v10, v10, v28
	v_cvt_i32_f32_e32 v33, v28
	v_lshlrev_b64 v[28:29], 2, v[13:14]
	v_add_f32_e32 v10, v10, v12
	v_ashrrev_i32_e32 v12, 31, v11
	s_delay_alu instid0(VALU_DEP_2) | instskip(SKIP_1) | instid1(VALU_DEP_2)
	v_exp_f32_e32 v32, v10
	v_ashrrev_i32_e32 v10, 31, v9
	v_lshlrev_b64 v[30:31], 2, v[11:12]
	s_waitcnt_depctr 0xfff
	v_ldexp_f32 v12, v32, v33
	v_lshlrev_b64 v[32:33], 2, v[9:10]
	v_cndmask_b32_e32 v10, 32, v35, vcc_lo
	v_cmp_ngt_f32_e32 vcc_lo, 0xc2ce8ed0, v34
	s_delay_alu instid0(VALU_DEP_4) | instskip(SKIP_3) | instid1(VALU_DEP_4)
	v_cndmask_b32_e32 v12, 0, v12, vcc_lo
	v_add_co_u32 v28, vcc_lo, s12, v28
	v_add_co_ci_u32_e32 v29, vcc_lo, s13, v29, vcc_lo
	v_cmp_nlt_f32_e32 vcc_lo, 0x42b17218, v34
	v_cndmask_b32_e32 v12, 0x7f800000, v12, vcc_lo
	s_waitcnt lgkmcnt(0)
	v_add_co_u32 v30, vcc_lo, s8, v30
	v_add_co_ci_u32_e32 v31, vcc_lo, s9, v31, vcc_lo
	s_delay_alu instid0(VALU_DEP_3)
	v_add_f32_e32 v17, v17, v12
	v_add_co_u32 v32, vcc_lo, s10, v32
	v_add_co_ci_u32_e32 v33, vcc_lo, s11, v33, vcc_lo
	global_store_b32 v[28:29], v12, off
	global_store_b32 v[30:31], v10, off
	;; [unrolled: 1-line block ×3, first 2 shown]
.LBB60_16:                              ;   in Loop: Header=BB60_14 Depth=1
	s_or_b32 exec_lo, exec_lo, s1
	s_delay_alu instid0(VALU_DEP_1) | instskip(SKIP_1) | instid1(VALU_DEP_1)
	v_ashrrev_i32_e32 v12, 31, v27
	s_mov_b32 s0, exec_lo
	v_lshrrev_b32_e32 v10, 29, v12
	s_delay_alu instid0(VALU_DEP_1) | instskip(NEXT) | instid1(VALU_DEP_1)
	v_add_nc_u32_e32 v10, v27, v10
	v_ashrrev_i32_e32 v10, 3, v10
	s_delay_alu instid0(VALU_DEP_1) | instskip(NEXT) | instid1(VALU_DEP_1)
	v_lshrrev_b32_e32 v14, 30, v10
	v_add_nc_u32_e32 v14, v10, v14
	s_delay_alu instid0(VALU_DEP_1) | instskip(NEXT) | instid1(VALU_DEP_1)
	v_and_b32_e32 v14, -4, v14
	v_sub_nc_u32_e32 v14, v10, v14
	s_delay_alu instid0(VALU_DEP_1)
	v_cmpx_eq_u32_e64 v15, v14
	s_cbranch_execz .LBB60_13
; %bb.17:                               ;   in Loop: Header=BB60_14 Depth=1
	v_lshrrev_b32_e32 v12, 27, v12
	v_lshlrev_b32_e32 v10, 3, v10
	s_delay_alu instid0(VALU_DEP_2) | instskip(NEXT) | instid1(VALU_DEP_2)
	v_add_nc_u32_e32 v12, v27, v12
	v_sub_nc_u32_e32 v10, v27, v10
	s_delay_alu instid0(VALU_DEP_2) | instskip(NEXT) | instid1(VALU_DEP_1)
	v_ashrrev_i32_e32 v12, 5, v12
	v_lshl_add_u32 v10, v12, 3, v10
	s_delay_alu instid0(VALU_DEP_1)
	v_cmp_ne_u32_e32 vcc_lo, 7, v10
	v_cndmask_b32_e32 v3, 0xff800000, v3, vcc_lo
	v_cmp_ne_u32_e32 vcc_lo, 6, v10
	v_cndmask_b32_e32 v2, 0xff800000, v2, vcc_lo
	;; [unrolled: 2-line block ×8, first 2 shown]
	s_branch .LBB60_13
.LBB60_18:
	v_mov_b32_e32 v17, 0
.LBB60_19:
	v_sub_f32_e32 v7, v7, v16
	v_sub_f32_e32 v5, v5, v16
	;; [unrolled: 1-line block ×4, first 2 shown]
	s_delay_alu instid0(VALU_DEP_4) | instskip(NEXT) | instid1(VALU_DEP_3)
	v_dual_sub_f32 v1, v1, v16 :: v_dual_mul_f32 v12, 0x3fb8aa3b, v7
	v_dual_mul_f32 v10, 0x3fb8aa3b, v5 :: v_dual_mul_f32 v11, 0x3fb8aa3b, v6
	s_delay_alu instid0(VALU_DEP_3) | instskip(SKIP_1) | instid1(VALU_DEP_4)
	v_cmp_ngt_f32_e32 vcc_lo, 0xc2ce8ed0, v4
	v_sub_f32_e32 v0, v0, v16
	v_fma_f32 v22, 0x3fb8aa3b, v7, -v12
	s_delay_alu instid0(VALU_DEP_4)
	v_rndne_f32_e32 v19, v10
	v_mul_f32_e32 v9, 0x3fb8aa3b, v4
	v_fma_f32 v18, 0x3fb8aa3b, v5, -v10
	v_rndne_f32_e32 v21, v11
	v_rndne_f32_e32 v23, v12
	v_sub_f32_e32 v10, v10, v19
	v_fma_f32 v13, 0x3fb8aa3b, v4, -v9
	v_rndne_f32_e32 v14, v9
	v_fmac_f32_e32 v18, 0x32a5705f, v5
	v_sub_f32_e32 v2, v2, v16
	s_delay_alu instid0(VALU_DEP_4) | instskip(NEXT) | instid1(VALU_DEP_4)
	v_fmac_f32_e32 v13, 0x32a5705f, v4
	v_sub_f32_e32 v9, v9, v14
	v_fma_f32 v20, 0x3fb8aa3b, v6, -v11
	v_dual_add_f32 v10, v10, v18 :: v_dual_sub_f32 v11, v11, v21
	s_delay_alu instid0(VALU_DEP_2) | instskip(NEXT) | instid1(VALU_DEP_2)
	v_dual_add_f32 v9, v9, v13 :: v_dual_fmac_f32 v20, 0x32a5705f, v6
	v_exp_f32_e32 v10, v10
	v_cvt_i32_f32_e32 v13, v14
	v_cvt_i32_f32_e32 v14, v19
	s_delay_alu instid0(VALU_DEP_3)
	v_exp_f32_e32 v9, v9
	v_dual_fmac_f32 v22, 0x32a5705f, v7 :: v_dual_add_f32 v11, v11, v20
	s_waitcnt_depctr 0xfff
	v_ldexp_f32 v10, v10, v14
	v_exp_f32_e32 v11, v11
	v_ldexp_f32 v9, v9, v13
	v_sub_f32_e32 v12, v12, v23
	v_cvt_i32_f32_e32 v13, v21
	s_delay_alu instid0(VALU_DEP_3)
	v_cndmask_b32_e32 v9, 0, v9, vcc_lo
	v_cmp_ngt_f32_e32 vcc_lo, 0xc2ce8ed0, v5
	s_waitcnt_depctr 0xfff
	v_ldexp_f32 v11, v11, v13
	v_cndmask_b32_e32 v10, 0, v10, vcc_lo
	v_cmp_nlt_f32_e32 vcc_lo, 0x42b17218, v4
	v_cndmask_b32_e32 v4, 0x7f800000, v9, vcc_lo
	v_cmp_nlt_f32_e32 vcc_lo, 0x42b17218, v5
	s_delay_alu instid0(VALU_DEP_4) | instskip(SKIP_3) | instid1(VALU_DEP_4)
	v_cndmask_b32_e32 v5, 0x7f800000, v10, vcc_lo
	v_cmp_ngt_f32_e32 vcc_lo, 0xc2ce8ed0, v6
	v_add_f32_e32 v12, v12, v22
	v_cvt_i32_f32_e32 v10, v23
	v_dual_add_f32 v4, v4, v5 :: v_dual_cndmask_b32 v9, 0, v11
	s_delay_alu instid0(VALU_DEP_3) | instskip(SKIP_2) | instid1(VALU_DEP_3)
	v_exp_f32_e32 v12, v12
	v_cmp_nlt_f32_e32 vcc_lo, 0x42b17218, v6
	v_dual_mul_f32 v6, 0x3fb8aa3b, v0 :: v_dual_mul_f32 v11, 0x3fb8aa3b, v2
	v_cndmask_b32_e32 v5, 0x7f800000, v9, vcc_lo
	v_cmp_ngt_f32_e32 vcc_lo, 0xc2ce8ed0, v7
	s_delay_alu instid0(VALU_DEP_3) | instskip(SKIP_4) | instid1(VALU_DEP_3)
	v_rndne_f32_e32 v13, v11
	s_waitcnt_depctr 0xfff
	v_ldexp_f32 v9, v12, v10
	v_add_f32_e32 v4, v4, v5
	v_fma_f32 v12, 0x3fb8aa3b, v2, -v11
	v_cndmask_b32_e32 v9, 0, v9, vcc_lo
	v_cmp_nlt_f32_e32 vcc_lo, 0x42b17218, v7
	s_delay_alu instid0(VALU_DEP_3) | instskip(NEXT) | instid1(VALU_DEP_3)
	v_fmac_f32_e32 v12, 0x32a5705f, v2
	v_cndmask_b32_e32 v7, 0x7f800000, v9, vcc_lo
	v_mul_f32_e32 v9, 0x3fb8aa3b, v1
	v_fma_f32 v5, 0x3fb8aa3b, v0, -v6
	v_rndne_f32_e32 v10, v6
	v_cmp_ngt_f32_e32 vcc_lo, 0xc2ce8ed0, v0
	v_add_f32_e32 v4, v4, v7
	v_rndne_f32_e32 v7, v9
	s_delay_alu instid0(VALU_DEP_4) | instskip(SKIP_1) | instid1(VALU_DEP_2)
	v_dual_fmac_f32 v5, 0x32a5705f, v0 :: v_dual_sub_f32 v6, v6, v10
	v_cvt_i32_f32_e32 v10, v10
	v_add_f32_e32 v5, v6, v5
	v_fma_f32 v6, 0x3fb8aa3b, v1, -v9
	v_sub_f32_e32 v3, v3, v16
	v_sub_f32_e32 v9, v9, v7
	v_cvt_i32_f32_e32 v7, v7
	v_exp_f32_e32 v5, v5
	v_fmac_f32_e32 v6, 0x32a5705f, v1
	v_mul_f32_e32 v14, 0x3fb8aa3b, v3
	s_delay_alu instid0(VALU_DEP_2) | instskip(NEXT) | instid1(VALU_DEP_2)
	v_dual_add_f32 v6, v9, v6 :: v_dual_sub_f32 v9, v11, v13
	v_fma_f32 v11, 0x3fb8aa3b, v3, -v14
	v_rndne_f32_e32 v16, v14
	s_waitcnt_depctr 0xfff
	v_ldexp_f32 v5, v5, v10
	v_fmac_f32_e32 v11, 0x32a5705f, v3
	v_exp_f32_e32 v6, v6
	s_delay_alu instid0(VALU_DEP_2) | instskip(SKIP_2) | instid1(VALU_DEP_3)
	v_dual_sub_f32 v10, v14, v16 :: v_dual_cndmask_b32 v5, 0, v5
	v_add_f32_e32 v9, v9, v12
	v_cmp_nlt_f32_e32 vcc_lo, 0x42b17218, v0
	v_add_f32_e32 v10, v10, v11
	s_delay_alu instid0(VALU_DEP_3) | instskip(SKIP_1) | instid1(TRANS32_DEP_2)
	v_exp_f32_e32 v9, v9
	v_cndmask_b32_e32 v0, 0x7f800000, v5, vcc_lo
	v_ldexp_f32 v6, v6, v7
	v_cmp_ngt_f32_e32 vcc_lo, 0xc2ce8ed0, v1
	v_cvt_i32_f32_e32 v5, v13
	v_exp_f32_e32 v7, v10
	s_delay_alu instid0(VALU_DEP_3) | instskip(SKIP_2) | instid1(TRANS32_DEP_2)
	v_cndmask_b32_e32 v6, 0, v6, vcc_lo
	v_cmp_nlt_f32_e32 vcc_lo, 0x42b17218, v1
	v_add_f32_e32 v0, v4, v0
	v_ldexp_f32 v4, v9, v5
	v_cvt_i32_f32_e32 v5, v16
	v_cndmask_b32_e32 v1, 0x7f800000, v6, vcc_lo
	v_cmp_ngt_f32_e32 vcc_lo, 0xc2ce8ed0, v2
	s_delay_alu instid0(TRANS32_DEP_1) | instid1(VALU_DEP_3)
	v_ldexp_f32 v5, v7, v5
	v_cndmask_b32_e32 v4, 0, v4, vcc_lo
	v_cmp_nlt_f32_e32 vcc_lo, 0x42b17218, v2
	s_delay_alu instid0(VALU_DEP_2) | instskip(SKIP_3) | instid1(VALU_DEP_2)
	v_dual_add_f32 v0, v0, v1 :: v_dual_cndmask_b32 v1, 0x7f800000, v4
	v_cmp_ngt_f32_e32 vcc_lo, 0xc2ce8ed0, v3
	v_cndmask_b32_e32 v2, 0, v5, vcc_lo
	v_cmp_nlt_f32_e32 vcc_lo, 0x42b17218, v3
	v_dual_add_f32 v0, v0, v1 :: v_dual_cndmask_b32 v1, 0x7f800000, v2
	v_cmp_eq_u32_e32 vcc_lo, 0, v15
	s_delay_alu instid0(VALU_DEP_2) | instskip(NEXT) | instid1(VALU_DEP_1)
	v_add_f32_e32 v0, v0, v1
	v_mov_b32_dpp v1, v0 quad_perm:[1,0,3,2] row_mask:0xf bank_mask:0xf
	s_delay_alu instid0(VALU_DEP_1) | instskip(NEXT) | instid1(VALU_DEP_1)
	v_add_f32_e32 v0, v0, v1
	v_mov_b32_dpp v1, v0 quad_perm:[2,3,0,1] row_mask:0xf bank_mask:0xf
	s_and_b32 exec_lo, exec_lo, vcc_lo
	s_cbranch_execz .LBB60_24
; %bb.20:
	s_delay_alu instid0(VALU_DEP_1) | instskip(NEXT) | instid1(VALU_DEP_1)
	v_add_f32_e32 v0, v0, v1
	v_add_f32_e32 v0, v17, v0
	s_delay_alu instid0(VALU_DEP_1)
	v_cmp_neq_f32_e32 vcc_lo, 0, v0
	s_and_b32 exec_lo, exec_lo, vcc_lo
	s_cbranch_execz .LBB60_24
; %bb.21:
	s_and_not1_b32 vcc_lo, exec_lo, s7
	s_cbranch_vccnz .LBB60_24
; %bb.22:
	v_div_scale_f32 v1, null, v0, v0, 1.0
	v_div_scale_f32 v4, vcc_lo, 1.0, v0, 1.0
	v_ashrrev_i32_e32 v9, 31, v8
	s_delay_alu instid0(VALU_DEP_3) | instskip(SKIP_2) | instid1(VALU_DEP_1)
	v_rcp_f32_e32 v2, v1
	s_waitcnt_depctr 0xfff
	v_fma_f32 v3, -v1, v2, 1.0
	v_fmac_f32_e32 v2, v3, v2
	s_delay_alu instid0(VALU_DEP_1) | instskip(NEXT) | instid1(VALU_DEP_1)
	v_mul_f32_e32 v3, v4, v2
	v_fma_f32 v5, -v1, v3, v4
	s_delay_alu instid0(VALU_DEP_1) | instskip(NEXT) | instid1(VALU_DEP_1)
	v_fmac_f32_e32 v3, v5, v2
	v_fma_f32 v1, -v1, v3, v4
	s_delay_alu instid0(VALU_DEP_1) | instskip(SKIP_1) | instid1(VALU_DEP_2)
	v_div_fmas_f32 v1, v1, v2, v3
	v_lshlrev_b64 v[3:4], 2, v[8:9]
	v_div_fixup_f32 v2, v1, v0, 1.0
	s_delay_alu instid0(VALU_DEP_2) | instskip(NEXT) | instid1(VALU_DEP_3)
	v_add_co_u32 v0, vcc_lo, s12, v3
	v_add_co_ci_u32_e32 v1, vcc_lo, s13, v4, vcc_lo
.LBB60_23:                              ; =>This Inner Loop Header: Depth=1
	global_load_b32 v3, v[0:1], off
	s_add_i32 s4, s4, -1
	s_delay_alu instid0(SALU_CYCLE_1)
	s_cmp_lg_u32 s4, 0
	s_waitcnt vmcnt(0)
	v_mul_f32_e32 v3, v2, v3
	global_store_b32 v[0:1], v3, off
	v_add_co_u32 v0, vcc_lo, v0, 4
	v_add_co_ci_u32_e32 v1, vcc_lo, 0, v1, vcc_lo
	s_cbranch_scc1 .LBB60_23
.LBB60_24:
	s_nop 0
	s_sendmsg sendmsg(MSG_DEALLOC_VGPRS)
	s_endpgm
	.section	.rodata,"a",@progbits
	.p2align	6, 0x0
	.amdhsa_kernel _ZN4vllm3moe17topkGatingSoftmaxIfLi8ELi32ELi8ELi32ELb0ELi8ELNS0_23SharedExpertScoringFuncE1EEEvPKT_PKbPfiPiS9_iiiiii
		.amdhsa_group_segment_fixed_size 0
		.amdhsa_private_segment_fixed_size 0
		.amdhsa_kernarg_size 72
		.amdhsa_user_sgpr_count 15
		.amdhsa_user_sgpr_dispatch_ptr 0
		.amdhsa_user_sgpr_queue_ptr 0
		.amdhsa_user_sgpr_kernarg_segment_ptr 1
		.amdhsa_user_sgpr_dispatch_id 0
		.amdhsa_user_sgpr_private_segment_size 0
		.amdhsa_wavefront_size32 1
		.amdhsa_uses_dynamic_stack 0
		.amdhsa_enable_private_segment 0
		.amdhsa_system_sgpr_workgroup_id_x 1
		.amdhsa_system_sgpr_workgroup_id_y 0
		.amdhsa_system_sgpr_workgroup_id_z 0
		.amdhsa_system_sgpr_workgroup_info 0
		.amdhsa_system_vgpr_workitem_id 1
		.amdhsa_next_free_vgpr 37
		.amdhsa_next_free_sgpr 19
		.amdhsa_reserve_vcc 1
		.amdhsa_float_round_mode_32 0
		.amdhsa_float_round_mode_16_64 0
		.amdhsa_float_denorm_mode_32 3
		.amdhsa_float_denorm_mode_16_64 3
		.amdhsa_dx10_clamp 1
		.amdhsa_ieee_mode 1
		.amdhsa_fp16_overflow 0
		.amdhsa_workgroup_processor_mode 1
		.amdhsa_memory_ordered 1
		.amdhsa_forward_progress 0
		.amdhsa_shared_vgpr_count 0
		.amdhsa_exception_fp_ieee_invalid_op 0
		.amdhsa_exception_fp_denorm_src 0
		.amdhsa_exception_fp_ieee_div_zero 0
		.amdhsa_exception_fp_ieee_overflow 0
		.amdhsa_exception_fp_ieee_underflow 0
		.amdhsa_exception_fp_ieee_inexact 0
		.amdhsa_exception_int_div_zero 0
	.end_amdhsa_kernel
	.section	.text._ZN4vllm3moe17topkGatingSoftmaxIfLi8ELi32ELi8ELi32ELb0ELi8ELNS0_23SharedExpertScoringFuncE1EEEvPKT_PKbPfiPiS9_iiiiii,"axG",@progbits,_ZN4vllm3moe17topkGatingSoftmaxIfLi8ELi32ELi8ELi32ELb0ELi8ELNS0_23SharedExpertScoringFuncE1EEEvPKT_PKbPfiPiS9_iiiiii,comdat
.Lfunc_end60:
	.size	_ZN4vllm3moe17topkGatingSoftmaxIfLi8ELi32ELi8ELi32ELb0ELi8ELNS0_23SharedExpertScoringFuncE1EEEvPKT_PKbPfiPiS9_iiiiii, .Lfunc_end60-_ZN4vllm3moe17topkGatingSoftmaxIfLi8ELi32ELi8ELi32ELb0ELi8ELNS0_23SharedExpertScoringFuncE1EEEvPKT_PKbPfiPiS9_iiiiii
                                        ; -- End function
	.section	.AMDGPU.csdata,"",@progbits
; Kernel info:
; codeLenInByte = 3320
; NumSgprs: 21
; NumVgprs: 37
; ScratchSize: 0
; MemoryBound: 0
; FloatMode: 240
; IeeeMode: 1
; LDSByteSize: 0 bytes/workgroup (compile time only)
; SGPRBlocks: 2
; VGPRBlocks: 4
; NumSGPRsForWavesPerEU: 21
; NumVGPRsForWavesPerEU: 37
; Occupancy: 16
; WaveLimiterHint : 0
; COMPUTE_PGM_RSRC2:SCRATCH_EN: 0
; COMPUTE_PGM_RSRC2:USER_SGPR: 15
; COMPUTE_PGM_RSRC2:TRAP_HANDLER: 0
; COMPUTE_PGM_RSRC2:TGID_X_EN: 1
; COMPUTE_PGM_RSRC2:TGID_Y_EN: 0
; COMPUTE_PGM_RSRC2:TGID_Z_EN: 0
; COMPUTE_PGM_RSRC2:TIDIG_COMP_CNT: 1
	.section	.text._ZN4vllm3moe17topkGatingSoftmaxIfLi8ELi64ELi8ELi32ELb1ELi0ELNS0_23SharedExpertScoringFuncE0EEEvPKT_PKbPfiPiS9_iiiiii,"axG",@progbits,_ZN4vllm3moe17topkGatingSoftmaxIfLi8ELi64ELi8ELi32ELb1ELi0ELNS0_23SharedExpertScoringFuncE0EEEvPKT_PKbPfiPiS9_iiiiii,comdat
	.protected	_ZN4vllm3moe17topkGatingSoftmaxIfLi8ELi64ELi8ELi32ELb1ELi0ELNS0_23SharedExpertScoringFuncE0EEEvPKT_PKbPfiPiS9_iiiiii ; -- Begin function _ZN4vllm3moe17topkGatingSoftmaxIfLi8ELi64ELi8ELi32ELb1ELi0ELNS0_23SharedExpertScoringFuncE0EEEvPKT_PKbPfiPiS9_iiiiii
	.globl	_ZN4vllm3moe17topkGatingSoftmaxIfLi8ELi64ELi8ELi32ELb1ELi0ELNS0_23SharedExpertScoringFuncE0EEEvPKT_PKbPfiPiS9_iiiiii
	.p2align	8
	.type	_ZN4vllm3moe17topkGatingSoftmaxIfLi8ELi64ELi8ELi32ELb1ELi0ELNS0_23SharedExpertScoringFuncE0EEEvPKT_PKbPfiPiS9_iiiiii,@function
_ZN4vllm3moe17topkGatingSoftmaxIfLi8ELi64ELi8ELi32ELb1ELi0ELNS0_23SharedExpertScoringFuncE0EEEvPKT_PKbPfiPiS9_iiiiii: ; @_ZN4vllm3moe17topkGatingSoftmaxIfLi8ELi64ELi8ELi32ELb1ELi0ELNS0_23SharedExpertScoringFuncE0EEEvPKT_PKbPfiPiS9_iiiiii
; %bb.0:
	s_load_b32 s16, s[0:1], 0x18
	v_bfe_u32 v1, v0, 10, 10
	v_and_b32_e32 v0, 0x3ff, v0
	s_lshl_b32 s18, s15, 5
	s_mov_b32 s2, exec_lo
	s_delay_alu instid0(VALU_DEP_2) | instskip(NEXT) | instid1(VALU_DEP_2)
	v_lshlrev_b32_e32 v26, 2, v1
	v_lshrrev_b32_e32 v27, 3, v0
	s_delay_alu instid0(VALU_DEP_1) | instskip(SKIP_1) | instid1(VALU_DEP_1)
	v_add3_u32 v15, s18, v26, v27
	s_waitcnt lgkmcnt(0)
	v_cmpx_gt_i32_e64 s16, v15
	s_cbranch_execz .LBB61_20
; %bb.1:
	s_clause 0x1
	s_load_b128 s[4:7], s[0:1], 0x0
	s_load_b64 s[12:13], s[0:1], 0x10
	s_waitcnt lgkmcnt(0)
	s_cmp_eq_u64 s[6:7], 0
	s_cbranch_scc1 .LBB61_3
; %bb.2:
	v_ashrrev_i32_e32 v2, 31, v15
	v_add_co_u32 v1, vcc_lo, s6, v15
	s_delay_alu instid0(VALU_DEP_2) | instskip(SKIP_3) | instid1(VALU_DEP_1)
	v_add_co_ci_u32_e32 v2, vcc_lo, s7, v2, vcc_lo
	global_load_u8 v1, v[1:2], off
	s_waitcnt vmcnt(0)
	v_and_b32_e32 v1, 1, v1
	v_cmp_eq_u32_e32 vcc_lo, 1, v1
	s_xor_b32 s2, vcc_lo, -1
	s_delay_alu instid0(SALU_CYCLE_1)
	s_or_not1_b32 s17, s2, exec_lo
	s_branch .LBB61_4
.LBB61_3:
	s_mov_b32 s17, -1
.LBB61_4:
	s_load_b64 s[14:15], s[0:1], 0x40
	v_and_b32_e32 v16, 7, v0
	v_mov_b32_e32 v14, 0
	s_waitcnt lgkmcnt(0)
	v_mul_lo_u32 v1, v15, s15
	s_delay_alu instid0(VALU_DEP_1) | instskip(NEXT) | instid1(VALU_DEP_1)
	v_ashrrev_i32_e32 v2, 31, v1
	v_lshlrev_b64 v[0:1], 2, v[1:2]
	v_lshlrev_b32_e32 v2, 5, v16
	s_delay_alu instid0(VALU_DEP_2) | instskip(NEXT) | instid1(VALU_DEP_3)
	v_add_co_u32 v0, vcc_lo, s4, v0
	v_add_co_ci_u32_e32 v1, vcc_lo, s5, v1, vcc_lo
	s_load_b128 s[4:7], s[0:1], 0x30
	s_delay_alu instid0(VALU_DEP_2) | instskip(NEXT) | instid1(VALU_DEP_2)
	v_add_co_u32 v4, vcc_lo, v0, v2
	v_add_co_ci_u32_e32 v5, vcc_lo, 0, v1, vcc_lo
	s_clause 0x1
	global_load_b128 v[0:3], v[4:5], off
	global_load_b128 v[4:7], v[4:5], off offset:16
	s_waitcnt vmcnt(1)
	v_cmp_lt_f32_e32 vcc_lo, v0, v1
	v_cndmask_b32_e32 v9, v0, v1, vcc_lo
	v_lshlrev_b32_e32 v17, 3, v16
	s_delay_alu instid0(VALU_DEP_1) | instskip(SKIP_1) | instid1(VALU_DEP_2)
	v_or_b32_e32 v18, 1, v17
	v_or_b32_e32 v19, 2, v17
	v_cndmask_b32_e32 v8, v17, v18, vcc_lo
	v_cmp_lt_f32_e32 vcc_lo, v9, v2
	s_delay_alu instid0(VALU_DEP_2)
	v_cndmask_b32_e32 v8, v8, v19, vcc_lo
	v_or_b32_e32 v20, 3, v17
	v_cndmask_b32_e32 v9, v9, v2, vcc_lo
	v_or_b32_e32 v21, 4, v17
	v_or_b32_e32 v22, 5, v17
	v_or_b32_e32 v23, 6, v17
	v_or_b32_e32 v24, 7, v17
	v_cmp_lt_f32_e32 vcc_lo, v9, v3
	v_dual_cndmask_b32 v8, v8, v20 :: v_dual_cndmask_b32 v9, v9, v3
	s_waitcnt vmcnt(0)
	s_delay_alu instid0(VALU_DEP_1) | instskip(NEXT) | instid1(VALU_DEP_2)
	v_cmp_lt_f32_e32 vcc_lo, v9, v4
	v_dual_cndmask_b32 v8, v8, v21 :: v_dual_cndmask_b32 v9, v9, v4
	s_delay_alu instid0(VALU_DEP_1) | instskip(NEXT) | instid1(VALU_DEP_2)
	v_cmp_lt_f32_e32 vcc_lo, v9, v5
	v_dual_cndmask_b32 v8, v8, v22 :: v_dual_cndmask_b32 v9, v9, v5
	;; [unrolled: 3-line block ×4, first 2 shown]
	s_delay_alu instid0(VALU_DEP_1) | instskip(NEXT) | instid1(VALU_DEP_2)
	v_mov_b32_dpp v10, v8 quad_perm:[1,0,3,2] row_mask:0xf bank_mask:0xf
	v_mov_b32_dpp v11, v9 quad_perm:[1,0,3,2] row_mask:0xf bank_mask:0xf
	s_delay_alu instid0(VALU_DEP_2) | instskip(NEXT) | instid1(VALU_DEP_2)
	v_cmp_lt_i32_e32 vcc_lo, v10, v8
	v_cmp_eq_f32_e64 s2, v9, v11
	v_cmp_lt_f32_e64 s3, v9, v11
	s_delay_alu instid0(VALU_DEP_2)
	s_and_b32 s2, s2, vcc_lo
	s_delay_alu instid0(VALU_DEP_1) | instid1(SALU_CYCLE_1)
	s_or_b32 vcc_lo, s3, s2
	v_dual_cndmask_b32 v9, v9, v11 :: v_dual_cndmask_b32 v8, v8, v10
	s_delay_alu instid0(VALU_DEP_1) | instskip(NEXT) | instid1(VALU_DEP_2)
	v_mov_b32_dpp v10, v9 quad_perm:[2,3,0,1] row_mask:0xf bank_mask:0xf
	v_mov_b32_dpp v11, v8 quad_perm:[2,3,0,1] row_mask:0xf bank_mask:0xf
	s_delay_alu instid0(VALU_DEP_2) | instskip(NEXT) | instid1(VALU_DEP_2)
	v_cmp_eq_f32_e32 vcc_lo, v9, v10
	v_cmp_lt_i32_e64 s2, v11, v8
	v_cmp_lt_f32_e64 s3, v9, v10
	s_delay_alu instid0(VALU_DEP_2)
	s_and_b32 s2, vcc_lo, s2
	s_delay_alu instid0(VALU_DEP_1) | instid1(SALU_CYCLE_1)
	s_or_b32 vcc_lo, s3, s2
	s_waitcnt lgkmcnt(0)
	s_cmp_gt_i32 s4, 0
	v_cndmask_b32_e32 v10, v9, v10, vcc_lo
	v_cndmask_b32_e32 v8, v8, v11, vcc_lo
	v_cmp_eq_u32_e32 vcc_lo, 0, v16
	s_cselect_b32 s3, -1, 0
	s_cmp_lt_i32 s4, 1
	v_mov_b32_dpp v12, v10 row_half_mirror row_mask:0xf bank_mask:0xf
	v_mov_b32_dpp v25, v8 row_half_mirror row_mask:0xf bank_mask:0xf
	s_cbranch_scc1 .LBB61_16
; %bb.5:
	s_load_b128 s[8:11], s[0:1], 0x20
	s_delay_alu instid0(VALU_DEP_2) | instskip(NEXT) | instid1(VALU_DEP_2)
	v_cmp_eq_f32_e64 s0, v10, v12
	v_cmp_lt_i32_e64 s1, v25, v8
	v_cmp_lt_f32_e64 s2, v10, v12
	v_mul_lo_u32 v9, v15, s7
	v_mul_lo_u32 v11, v15, s14
	;; [unrolled: 1-line block ×3, first 2 shown]
	s_and_b32 s0, s0, s1
	v_mov_b32_e32 v14, 0
	s_or_b32 s0, s2, s0
	s_delay_alu instid0(SALU_CYCLE_1)
	v_cndmask_b32_e64 v8, v8, v25, s0
	v_cndmask_b32_e64 v25, v10, v12, s0
	s_and_saveexec_b32 s2, vcc_lo
	s_cbranch_execz .LBB61_7
; %bb.6:
	s_delay_alu instid0(VALU_DEP_1)
	v_sub_f32_e32 v34, v25, v25
	v_cmp_le_i32_e64 s0, s5, v8
	v_cmp_gt_i32_e64 s1, s6, v8
	v_subrev_nc_u32_e32 v35, s5, v8
	v_ashrrev_i32_e32 v14, 31, v13
	v_mul_f32_e32 v10, 0x3fb8aa3b, v34
	s_delay_alu instid0(VALU_DEP_4) | instskip(NEXT) | instid1(SALU_CYCLE_1)
	s_and_b32 s0, s0, s1
	s_and_b32 s0, s17, s0
	s_delay_alu instid0(VALU_DEP_1) | instskip(SKIP_2) | instid1(VALU_DEP_3)
	v_rndne_f32_e32 v30, v10
	v_fma_f32 v12, 0x3fb8aa3b, v34, -v10
	v_lshlrev_b64 v[32:33], 2, v[13:14]
	v_sub_f32_e32 v10, v10, v30
	s_delay_alu instid0(VALU_DEP_3) | instskip(NEXT) | instid1(VALU_DEP_1)
	v_fmamk_f32 v12, v34, 0x32a5705f, v12
	v_add_f32_e32 v12, v10, v12
	v_ashrrev_i32_e32 v10, 31, v9
	s_delay_alu instid0(VALU_DEP_2) | instskip(NEXT) | instid1(VALU_DEP_1)
	v_exp_f32_e32 v36, v12
	v_lshlrev_b64 v[28:29], 2, v[9:10]
	v_ashrrev_i32_e32 v12, 31, v11
	v_cvt_i32_f32_e32 v10, v30
	s_delay_alu instid0(VALU_DEP_2) | instskip(SKIP_2) | instid1(VALU_DEP_1)
	v_lshlrev_b64 v[30:31], 2, v[11:12]
	v_cndmask_b32_e64 v12, 64, v35, s0
	v_add_co_u32 v28, s0, s12, v28
	v_add_co_ci_u32_e64 v29, s0, s13, v29, s0
	s_delay_alu instid0(TRANS32_DEP_1) | instskip(SKIP_1) | instid1(VALU_DEP_1)
	v_ldexp_f32 v10, v36, v10
	v_cmp_ngt_f32_e64 s0, 0xc2ce8ed0, v34
	v_cndmask_b32_e64 v10, 0, v10, s0
	s_waitcnt lgkmcnt(0)
	v_add_co_u32 v30, s0, s8, v30
	s_delay_alu instid0(VALU_DEP_1) | instskip(SKIP_1) | instid1(VALU_DEP_1)
	v_add_co_ci_u32_e64 v31, s0, s9, v31, s0
	v_cmp_nlt_f32_e64 s0, 0x42b17218, v34
	v_cndmask_b32_e64 v14, 0x7f800000, v10, s0
	v_add_co_u32 v32, s0, s10, v32
	s_delay_alu instid0(VALU_DEP_1)
	v_add_co_ci_u32_e64 v33, s0, s11, v33, s0
	global_store_b32 v[30:31], v12, off
	global_store_b32 v[28:29], v14, off
	;; [unrolled: 1-line block ×3, first 2 shown]
.LBB61_7:
	s_or_b32 exec_lo, exec_lo, s2
	v_ashrrev_i32_e32 v12, 31, v8
	s_mov_b32 s1, exec_lo
	s_delay_alu instid0(VALU_DEP_1) | instskip(NEXT) | instid1(VALU_DEP_1)
	v_lshrrev_b32_e32 v10, 29, v12
	v_add_nc_u32_e32 v10, v8, v10
	s_delay_alu instid0(VALU_DEP_1) | instskip(NEXT) | instid1(VALU_DEP_1)
	v_ashrrev_i32_e32 v10, 3, v10
	v_lshrrev_b32_e32 v28, 29, v10
	s_delay_alu instid0(VALU_DEP_1) | instskip(NEXT) | instid1(VALU_DEP_1)
	v_add_nc_u32_e32 v28, v10, v28
	v_and_b32_e32 v28, -8, v28
	s_delay_alu instid0(VALU_DEP_1) | instskip(NEXT) | instid1(VALU_DEP_1)
	v_sub_nc_u32_e32 v28, v10, v28
	v_cmpx_eq_u32_e64 v16, v28
	s_cbranch_execz .LBB61_9
; %bb.8:
	v_lshrrev_b32_e32 v12, 26, v12
	v_lshlrev_b32_e32 v10, 3, v10
	s_delay_alu instid0(VALU_DEP_2) | instskip(NEXT) | instid1(VALU_DEP_2)
	v_add_nc_u32_e32 v12, v8, v12
	v_sub_nc_u32_e32 v8, v8, v10
	s_delay_alu instid0(VALU_DEP_2) | instskip(NEXT) | instid1(VALU_DEP_1)
	v_ashrrev_i32_e32 v10, 6, v12
	v_lshl_add_u32 v8, v10, 3, v8
	s_delay_alu instid0(VALU_DEP_1) | instskip(NEXT) | instid1(VALU_DEP_1)
	v_cmp_ne_u32_e64 s0, 7, v8
	v_cndmask_b32_e64 v7, 0xff800000, v7, s0
	v_cmp_ne_u32_e64 s0, 6, v8
	s_delay_alu instid0(VALU_DEP_1) | instskip(SKIP_1) | instid1(VALU_DEP_1)
	v_cndmask_b32_e64 v6, 0xff800000, v6, s0
	v_cmp_ne_u32_e64 s0, 5, v8
	v_cndmask_b32_e64 v5, 0xff800000, v5, s0
	v_cmp_ne_u32_e64 s0, 4, v8
	s_delay_alu instid0(VALU_DEP_1) | instskip(SKIP_1) | instid1(VALU_DEP_1)
	v_cndmask_b32_e64 v4, 0xff800000, v4, s0
	;; [unrolled: 5-line block ×3, first 2 shown]
	v_cmp_ne_u32_e64 s0, 1, v8
	v_cndmask_b32_e64 v1, 0xff800000, v1, s0
	v_cmp_ne_u32_e64 s0, 0, v8
	s_delay_alu instid0(VALU_DEP_1)
	v_cndmask_b32_e64 v0, 0xff800000, v0, s0
.LBB61_9:
	s_or_b32 exec_lo, exec_lo, s1
	s_cmp_eq_u32 s4, 1
	s_cbranch_scc1 .LBB61_16
; %bb.10:
	s_add_i32 s18, s18, s16
	v_add_nc_u32_e32 v8, 1, v13
	v_add3_u32 v26, s18, v27, v26
	v_add_nc_u32_e32 v10, 1, v11
	v_add_nc_u32_e32 v12, 1, v9
	s_add_i32 s14, s4, -1
	s_branch .LBB61_12
.LBB61_11:                              ;   in Loop: Header=BB61_12 Depth=1
	s_or_b32 exec_lo, exec_lo, s1
	v_add_nc_u32_e32 v26, s16, v26
	v_add_nc_u32_e32 v8, 1, v8
	;; [unrolled: 1-line block ×4, first 2 shown]
	s_add_i32 s14, s14, -1
	s_delay_alu instid0(SALU_CYCLE_1)
	s_cmp_eq_u32 s14, 0
	s_cbranch_scc1 .LBB61_16
.LBB61_12:                              ; =>This Inner Loop Header: Depth=1
	v_cmp_gt_f32_e64 s0, v1, v0
	s_delay_alu instid0(VALU_DEP_1) | instskip(SKIP_1) | instid1(VALU_DEP_2)
	v_cndmask_b32_e64 v11, v0, v1, s0
	v_cndmask_b32_e64 v9, v17, v18, s0
	v_cmp_gt_f32_e64 s0, v2, v11
	s_delay_alu instid0(VALU_DEP_1) | instskip(NEXT) | instid1(VALU_DEP_3)
	v_cndmask_b32_e64 v11, v11, v2, s0
	v_cndmask_b32_e64 v9, v9, v19, s0
	s_delay_alu instid0(VALU_DEP_2) | instskip(NEXT) | instid1(VALU_DEP_1)
	v_cmp_gt_f32_e64 s0, v3, v11
	v_cndmask_b32_e64 v11, v11, v3, s0
	s_delay_alu instid0(VALU_DEP_3) | instskip(NEXT) | instid1(VALU_DEP_2)
	v_cndmask_b32_e64 v9, v9, v20, s0
	v_cmp_gt_f32_e64 s0, v4, v11
	s_delay_alu instid0(VALU_DEP_1) | instskip(NEXT) | instid1(VALU_DEP_3)
	v_cndmask_b32_e64 v11, v11, v4, s0
	v_cndmask_b32_e64 v9, v9, v21, s0
	s_delay_alu instid0(VALU_DEP_2) | instskip(NEXT) | instid1(VALU_DEP_1)
	v_cmp_gt_f32_e64 s0, v5, v11
	v_cndmask_b32_e64 v11, v11, v5, s0
	s_delay_alu instid0(VALU_DEP_3) | instskip(NEXT) | instid1(VALU_DEP_2)
	v_cndmask_b32_e64 v9, v9, v22, s0
	v_cmp_gt_f32_e64 s0, v6, v11
	s_delay_alu instid0(VALU_DEP_1) | instskip(NEXT) | instid1(VALU_DEP_3)
	v_cndmask_b32_e64 v11, v11, v6, s0
	v_cndmask_b32_e64 v9, v9, v23, s0
	s_delay_alu instid0(VALU_DEP_2) | instskip(NEXT) | instid1(VALU_DEP_1)
	v_cmp_gt_f32_e64 s0, v7, v11
	v_cndmask_b32_e64 v9, v9, v24, s0
	v_cndmask_b32_e64 v11, v11, v7, s0
	s_delay_alu instid0(VALU_DEP_2) | instskip(NEXT) | instid1(VALU_DEP_2)
	v_mov_b32_dpp v13, v9 quad_perm:[1,0,3,2] row_mask:0xf bank_mask:0xf
	v_mov_b32_dpp v27, v11 quad_perm:[1,0,3,2] row_mask:0xf bank_mask:0xf
	s_delay_alu instid0(VALU_DEP_2) | instskip(NEXT) | instid1(VALU_DEP_2)
	v_cmp_lt_i32_e64 s0, v13, v9
	v_cmp_eq_f32_e64 s1, v11, v27
	v_cmp_lt_f32_e64 s2, v11, v27
	s_delay_alu instid0(VALU_DEP_2)
	s_and_b32 s0, s1, s0
	s_delay_alu instid0(VALU_DEP_1) | instid1(SALU_CYCLE_1)
	s_or_b32 s0, s2, s0
	s_delay_alu instid0(SALU_CYCLE_1) | instskip(SKIP_1) | instid1(VALU_DEP_2)
	v_cndmask_b32_e64 v11, v11, v27, s0
	v_cndmask_b32_e64 v13, v9, v13, s0
	v_mov_b32_dpp v9, v11 quad_perm:[2,3,0,1] row_mask:0xf bank_mask:0xf
	s_delay_alu instid0(VALU_DEP_2) | instskip(NEXT) | instid1(VALU_DEP_2)
	v_mov_b32_dpp v27, v13 quad_perm:[2,3,0,1] row_mask:0xf bank_mask:0xf
	v_cmp_eq_f32_e64 s0, v11, v9
	s_delay_alu instid0(VALU_DEP_2) | instskip(SKIP_1) | instid1(VALU_DEP_2)
	v_cmp_lt_i32_e64 s1, v27, v13
	v_cmp_lt_f32_e64 s2, v11, v9
	s_and_b32 s0, s0, s1
	s_delay_alu instid0(VALU_DEP_1) | instid1(SALU_CYCLE_1)
	s_or_b32 s0, s2, s0
	s_delay_alu instid0(SALU_CYCLE_1) | instskip(SKIP_1) | instid1(VALU_DEP_2)
	v_cndmask_b32_e64 v9, v11, v9, s0
	v_cndmask_b32_e64 v13, v13, v27, s0
	v_mov_b32_dpp v11, v9 row_half_mirror row_mask:0xf bank_mask:0xf
	s_delay_alu instid0(VALU_DEP_2) | instskip(NEXT) | instid1(VALU_DEP_2)
	v_mov_b32_dpp v27, v13 row_half_mirror row_mask:0xf bank_mask:0xf
	v_cmp_eq_f32_e64 s0, v9, v11
	s_delay_alu instid0(VALU_DEP_2) | instskip(SKIP_1) | instid1(VALU_DEP_2)
	v_cmp_lt_i32_e64 s1, v27, v13
	v_cmp_lt_f32_e64 s2, v9, v11
	s_and_b32 s0, s0, s1
	s_delay_alu instid0(VALU_DEP_1) | instid1(SALU_CYCLE_1)
	s_or_b32 s0, s2, s0
	s_delay_alu instid0(SALU_CYCLE_1)
	v_cndmask_b32_e64 v27, v13, v27, s0
	s_and_saveexec_b32 s2, vcc_lo
	s_cbranch_execz .LBB61_14
; %bb.13:                               ;   in Loop: Header=BB61_12 Depth=1
	v_cndmask_b32_e64 v9, v9, v11, s0
	s_delay_alu instid0(VALU_DEP_2) | instskip(SKIP_4) | instid1(VALU_DEP_4)
	v_cmp_le_i32_e64 s0, s5, v27
	v_cmp_gt_i32_e64 s1, s6, v27
	v_ashrrev_i32_e32 v13, 31, v12
	v_subrev_nc_u32_e32 v35, s5, v27
	v_sub_f32_e32 v34, v9, v25
	s_and_b32 s0, s0, s1
	s_delay_alu instid0(SALU_CYCLE_1) | instskip(NEXT) | instid1(VALU_DEP_1)
	s_and_b32 s0, s17, s0
	v_mul_f32_e32 v9, 0x3fb8aa3b, v34
	s_delay_alu instid0(VALU_DEP_1) | instskip(SKIP_1) | instid1(VALU_DEP_2)
	v_fma_f32 v11, 0x3fb8aa3b, v34, -v9
	v_rndne_f32_e32 v28, v9
	v_fmac_f32_e32 v11, 0x32a5705f, v34
	s_delay_alu instid0(VALU_DEP_2) | instskip(SKIP_2) | instid1(VALU_DEP_3)
	v_sub_f32_e32 v9, v9, v28
	v_cvt_i32_f32_e32 v33, v28
	v_lshlrev_b64 v[28:29], 2, v[12:13]
	v_add_f32_e32 v9, v9, v11
	v_ashrrev_i32_e32 v11, 31, v10
	s_delay_alu instid0(VALU_DEP_2) | instskip(SKIP_1) | instid1(VALU_DEP_2)
	v_exp_f32_e32 v32, v9
	v_ashrrev_i32_e32 v9, 31, v8
	v_lshlrev_b64 v[30:31], 2, v[10:11]
	s_waitcnt_depctr 0xfff
	v_ldexp_f32 v11, v32, v33
	v_lshlrev_b64 v[32:33], 2, v[8:9]
	v_cndmask_b32_e64 v9, 64, v35, s0
	v_cmp_ngt_f32_e64 s0, 0xc2ce8ed0, v34
	s_delay_alu instid0(VALU_DEP_1) | instskip(SKIP_1) | instid1(VALU_DEP_1)
	v_cndmask_b32_e64 v11, 0, v11, s0
	v_add_co_u32 v28, s0, s12, v28
	v_add_co_ci_u32_e64 v29, s0, s13, v29, s0
	v_cmp_nlt_f32_e64 s0, 0x42b17218, v34
	s_delay_alu instid0(VALU_DEP_1) | instskip(SKIP_2) | instid1(VALU_DEP_1)
	v_cndmask_b32_e64 v11, 0x7f800000, v11, s0
	s_waitcnt lgkmcnt(0)
	v_add_co_u32 v30, s0, s8, v30
	v_add_co_ci_u32_e64 v31, s0, s9, v31, s0
	s_delay_alu instid0(VALU_DEP_3) | instskip(SKIP_1) | instid1(VALU_DEP_1)
	v_add_f32_e32 v14, v14, v11
	v_add_co_u32 v32, s0, s10, v32
	v_add_co_ci_u32_e64 v33, s0, s11, v33, s0
	global_store_b32 v[28:29], v11, off
	global_store_b32 v[30:31], v9, off
	;; [unrolled: 1-line block ×3, first 2 shown]
.LBB61_14:                              ;   in Loop: Header=BB61_12 Depth=1
	s_or_b32 exec_lo, exec_lo, s2
	s_delay_alu instid0(VALU_DEP_1) | instskip(SKIP_1) | instid1(VALU_DEP_1)
	v_ashrrev_i32_e32 v11, 31, v27
	s_mov_b32 s1, exec_lo
	v_lshrrev_b32_e32 v9, 29, v11
	s_delay_alu instid0(VALU_DEP_1) | instskip(NEXT) | instid1(VALU_DEP_1)
	v_add_nc_u32_e32 v9, v27, v9
	v_ashrrev_i32_e32 v9, 3, v9
	s_delay_alu instid0(VALU_DEP_1) | instskip(NEXT) | instid1(VALU_DEP_1)
	v_lshrrev_b32_e32 v13, 29, v9
	v_add_nc_u32_e32 v13, v9, v13
	s_delay_alu instid0(VALU_DEP_1) | instskip(NEXT) | instid1(VALU_DEP_1)
	v_and_b32_e32 v13, -8, v13
	v_sub_nc_u32_e32 v13, v9, v13
	s_delay_alu instid0(VALU_DEP_1)
	v_cmpx_eq_u32_e64 v16, v13
	s_cbranch_execz .LBB61_11
; %bb.15:                               ;   in Loop: Header=BB61_12 Depth=1
	v_lshrrev_b32_e32 v11, 26, v11
	v_lshlrev_b32_e32 v9, 3, v9
	s_delay_alu instid0(VALU_DEP_2) | instskip(NEXT) | instid1(VALU_DEP_2)
	v_add_nc_u32_e32 v11, v27, v11
	v_sub_nc_u32_e32 v9, v27, v9
	s_delay_alu instid0(VALU_DEP_2) | instskip(NEXT) | instid1(VALU_DEP_1)
	v_ashrrev_i32_e32 v11, 6, v11
	v_lshl_add_u32 v9, v11, 3, v9
	s_delay_alu instid0(VALU_DEP_1) | instskip(NEXT) | instid1(VALU_DEP_1)
	v_cmp_ne_u32_e64 s0, 7, v9
	v_cndmask_b32_e64 v7, 0xff800000, v7, s0
	v_cmp_ne_u32_e64 s0, 6, v9
	s_delay_alu instid0(VALU_DEP_1) | instskip(SKIP_1) | instid1(VALU_DEP_1)
	v_cndmask_b32_e64 v6, 0xff800000, v6, s0
	v_cmp_ne_u32_e64 s0, 5, v9
	v_cndmask_b32_e64 v5, 0xff800000, v5, s0
	v_cmp_ne_u32_e64 s0, 4, v9
	s_delay_alu instid0(VALU_DEP_1) | instskip(SKIP_1) | instid1(VALU_DEP_1)
	v_cndmask_b32_e64 v4, 0xff800000, v4, s0
	;; [unrolled: 5-line block ×3, first 2 shown]
	v_cmp_ne_u32_e64 s0, 1, v9
	v_cndmask_b32_e64 v1, 0xff800000, v1, s0
	v_cmp_ne_u32_e64 s0, 0, v9
	s_delay_alu instid0(VALU_DEP_1)
	v_cndmask_b32_e64 v0, 0xff800000, v0, s0
	s_branch .LBB61_11
.LBB61_16:
	v_cmp_eq_u32_e32 vcc_lo, 0, v16
	v_cmp_neq_f32_e64 s0, 0, v14
	s_delay_alu instid0(VALU_DEP_1) | instskip(NEXT) | instid1(SALU_CYCLE_1)
	s_and_b32 s0, vcc_lo, s0
	s_and_b32 exec_lo, exec_lo, s0
	s_cbranch_execz .LBB61_20
; %bb.17:
	s_and_not1_b32 vcc_lo, exec_lo, s3
	s_cbranch_vccnz .LBB61_20
; %bb.18:
	v_div_scale_f32 v1, null, v14, v14, 1.0
	v_div_scale_f32 v3, vcc_lo, 1.0, v14, 1.0
	s_delay_alu instid0(VALU_DEP_2) | instskip(SKIP_2) | instid1(VALU_DEP_1)
	v_rcp_f32_e32 v2, v1
	s_waitcnt_depctr 0xfff
	v_fma_f32 v0, -v1, v2, 1.0
	v_fmac_f32_e32 v2, v0, v2
	v_mul_lo_u32 v0, v15, s7
	s_delay_alu instid0(VALU_DEP_2) | instskip(NEXT) | instid1(VALU_DEP_1)
	v_mul_f32_e32 v4, v3, v2
	v_fma_f32 v5, -v1, v4, v3
	s_delay_alu instid0(VALU_DEP_1) | instskip(NEXT) | instid1(VALU_DEP_1)
	v_fmac_f32_e32 v4, v5, v2
	v_fma_f32 v3, -v1, v4, v3
	v_ashrrev_i32_e32 v1, 31, v0
	s_delay_alu instid0(VALU_DEP_2) | instskip(NEXT) | instid1(VALU_DEP_2)
	v_div_fmas_f32 v2, v3, v2, v4
	v_lshlrev_b64 v[0:1], 2, v[0:1]
	s_delay_alu instid0(VALU_DEP_2) | instskip(NEXT) | instid1(VALU_DEP_2)
	v_div_fixup_f32 v2, v2, v14, 1.0
	v_add_co_u32 v0, vcc_lo, s12, v0
	s_delay_alu instid0(VALU_DEP_3)
	v_add_co_ci_u32_e32 v1, vcc_lo, s13, v1, vcc_lo
.LBB61_19:                              ; =>This Inner Loop Header: Depth=1
	global_load_b32 v3, v[0:1], off
	s_add_i32 s4, s4, -1
	s_delay_alu instid0(SALU_CYCLE_1)
	s_cmp_lg_u32 s4, 0
	s_waitcnt vmcnt(0)
	v_mul_f32_e32 v3, v2, v3
	global_store_b32 v[0:1], v3, off
	v_add_co_u32 v0, vcc_lo, v0, 4
	v_add_co_ci_u32_e32 v1, vcc_lo, 0, v1, vcc_lo
	s_cbranch_scc1 .LBB61_19
.LBB61_20:
	s_nop 0
	s_sendmsg sendmsg(MSG_DEALLOC_VGPRS)
	s_endpgm
	.section	.rodata,"a",@progbits
	.p2align	6, 0x0
	.amdhsa_kernel _ZN4vllm3moe17topkGatingSoftmaxIfLi8ELi64ELi8ELi32ELb1ELi0ELNS0_23SharedExpertScoringFuncE0EEEvPKT_PKbPfiPiS9_iiiiii
		.amdhsa_group_segment_fixed_size 0
		.amdhsa_private_segment_fixed_size 0
		.amdhsa_kernarg_size 72
		.amdhsa_user_sgpr_count 15
		.amdhsa_user_sgpr_dispatch_ptr 0
		.amdhsa_user_sgpr_queue_ptr 0
		.amdhsa_user_sgpr_kernarg_segment_ptr 1
		.amdhsa_user_sgpr_dispatch_id 0
		.amdhsa_user_sgpr_private_segment_size 0
		.amdhsa_wavefront_size32 1
		.amdhsa_uses_dynamic_stack 0
		.amdhsa_enable_private_segment 0
		.amdhsa_system_sgpr_workgroup_id_x 1
		.amdhsa_system_sgpr_workgroup_id_y 0
		.amdhsa_system_sgpr_workgroup_id_z 0
		.amdhsa_system_sgpr_workgroup_info 0
		.amdhsa_system_vgpr_workitem_id 1
		.amdhsa_next_free_vgpr 37
		.amdhsa_next_free_sgpr 19
		.amdhsa_reserve_vcc 1
		.amdhsa_float_round_mode_32 0
		.amdhsa_float_round_mode_16_64 0
		.amdhsa_float_denorm_mode_32 3
		.amdhsa_float_denorm_mode_16_64 3
		.amdhsa_dx10_clamp 1
		.amdhsa_ieee_mode 1
		.amdhsa_fp16_overflow 0
		.amdhsa_workgroup_processor_mode 1
		.amdhsa_memory_ordered 1
		.amdhsa_forward_progress 0
		.amdhsa_shared_vgpr_count 0
		.amdhsa_exception_fp_ieee_invalid_op 0
		.amdhsa_exception_fp_denorm_src 0
		.amdhsa_exception_fp_ieee_div_zero 0
		.amdhsa_exception_fp_ieee_overflow 0
		.amdhsa_exception_fp_ieee_underflow 0
		.amdhsa_exception_fp_ieee_inexact 0
		.amdhsa_exception_int_div_zero 0
	.end_amdhsa_kernel
	.section	.text._ZN4vllm3moe17topkGatingSoftmaxIfLi8ELi64ELi8ELi32ELb1ELi0ELNS0_23SharedExpertScoringFuncE0EEEvPKT_PKbPfiPiS9_iiiiii,"axG",@progbits,_ZN4vllm3moe17topkGatingSoftmaxIfLi8ELi64ELi8ELi32ELb1ELi0ELNS0_23SharedExpertScoringFuncE0EEEvPKT_PKbPfiPiS9_iiiiii,comdat
.Lfunc_end61:
	.size	_ZN4vllm3moe17topkGatingSoftmaxIfLi8ELi64ELi8ELi32ELb1ELi0ELNS0_23SharedExpertScoringFuncE0EEEvPKT_PKbPfiPiS9_iiiiii, .Lfunc_end61-_ZN4vllm3moe17topkGatingSoftmaxIfLi8ELi64ELi8ELi32ELb1ELi0ELNS0_23SharedExpertScoringFuncE0EEEvPKT_PKbPfiPiS9_iiiiii
                                        ; -- End function
	.section	.AMDGPU.csdata,"",@progbits
; Kernel info:
; codeLenInByte = 2620
; NumSgprs: 21
; NumVgprs: 37
; ScratchSize: 0
; MemoryBound: 0
; FloatMode: 240
; IeeeMode: 1
; LDSByteSize: 0 bytes/workgroup (compile time only)
; SGPRBlocks: 2
; VGPRBlocks: 4
; NumSGPRsForWavesPerEU: 21
; NumVGPRsForWavesPerEU: 37
; Occupancy: 16
; WaveLimiterHint : 0
; COMPUTE_PGM_RSRC2:SCRATCH_EN: 0
; COMPUTE_PGM_RSRC2:USER_SGPR: 15
; COMPUTE_PGM_RSRC2:TRAP_HANDLER: 0
; COMPUTE_PGM_RSRC2:TGID_X_EN: 1
; COMPUTE_PGM_RSRC2:TGID_Y_EN: 0
; COMPUTE_PGM_RSRC2:TGID_Z_EN: 0
; COMPUTE_PGM_RSRC2:TIDIG_COMP_CNT: 1
	.section	.text._ZN4vllm3moe17topkGatingSoftmaxIfLi8ELi64ELi8ELi32ELb0ELi0ELNS0_23SharedExpertScoringFuncE0EEEvPKT_PKbPfiPiS9_iiiiii,"axG",@progbits,_ZN4vllm3moe17topkGatingSoftmaxIfLi8ELi64ELi8ELi32ELb0ELi0ELNS0_23SharedExpertScoringFuncE0EEEvPKT_PKbPfiPiS9_iiiiii,comdat
	.protected	_ZN4vllm3moe17topkGatingSoftmaxIfLi8ELi64ELi8ELi32ELb0ELi0ELNS0_23SharedExpertScoringFuncE0EEEvPKT_PKbPfiPiS9_iiiiii ; -- Begin function _ZN4vllm3moe17topkGatingSoftmaxIfLi8ELi64ELi8ELi32ELb0ELi0ELNS0_23SharedExpertScoringFuncE0EEEvPKT_PKbPfiPiS9_iiiiii
	.globl	_ZN4vllm3moe17topkGatingSoftmaxIfLi8ELi64ELi8ELi32ELb0ELi0ELNS0_23SharedExpertScoringFuncE0EEEvPKT_PKbPfiPiS9_iiiiii
	.p2align	8
	.type	_ZN4vllm3moe17topkGatingSoftmaxIfLi8ELi64ELi8ELi32ELb0ELi0ELNS0_23SharedExpertScoringFuncE0EEEvPKT_PKbPfiPiS9_iiiiii,@function
_ZN4vllm3moe17topkGatingSoftmaxIfLi8ELi64ELi8ELi32ELb0ELi0ELNS0_23SharedExpertScoringFuncE0EEEvPKT_PKbPfiPiS9_iiiiii: ; @_ZN4vllm3moe17topkGatingSoftmaxIfLi8ELi64ELi8ELi32ELb0ELi0ELNS0_23SharedExpertScoringFuncE0EEEvPKT_PKbPfiPiS9_iiiiii
; %bb.0:
	s_load_b32 s16, s[0:1], 0x18
	v_bfe_u32 v1, v0, 10, 10
	v_and_b32_e32 v0, 0x3ff, v0
	s_lshl_b32 s18, s15, 5
	s_mov_b32 s2, exec_lo
	s_delay_alu instid0(VALU_DEP_2) | instskip(NEXT) | instid1(VALU_DEP_2)
	v_lshlrev_b32_e32 v26, 2, v1
	v_lshrrev_b32_e32 v27, 3, v0
	s_delay_alu instid0(VALU_DEP_1) | instskip(SKIP_1) | instid1(VALU_DEP_1)
	v_add3_u32 v15, s18, v26, v27
	s_waitcnt lgkmcnt(0)
	v_cmpx_gt_i32_e64 s16, v15
	s_cbranch_execz .LBB62_21
; %bb.1:
	s_clause 0x1
	s_load_b128 s[4:7], s[0:1], 0x0
	s_load_b64 s[12:13], s[0:1], 0x10
	s_waitcnt lgkmcnt(0)
	s_cmp_eq_u64 s[6:7], 0
	s_cbranch_scc1 .LBB62_3
; %bb.2:
	v_ashrrev_i32_e32 v2, 31, v15
	v_add_co_u32 v1, vcc_lo, s6, v15
	s_delay_alu instid0(VALU_DEP_2) | instskip(SKIP_3) | instid1(VALU_DEP_1)
	v_add_co_ci_u32_e32 v2, vcc_lo, s7, v2, vcc_lo
	global_load_u8 v1, v[1:2], off
	s_waitcnt vmcnt(0)
	v_and_b32_e32 v1, 1, v1
	v_cmp_eq_u32_e32 vcc_lo, 1, v1
	s_xor_b32 s2, vcc_lo, -1
	s_delay_alu instid0(SALU_CYCLE_1)
	s_or_not1_b32 s17, s2, exec_lo
	s_branch .LBB62_4
.LBB62_3:
	s_mov_b32 s17, -1
.LBB62_4:
	s_load_b64 s[14:15], s[0:1], 0x40
	v_and_b32_e32 v16, 7, v0
	v_mov_b32_e32 v14, 0
	s_waitcnt lgkmcnt(0)
	v_mul_lo_u32 v1, v15, s15
	s_delay_alu instid0(VALU_DEP_1) | instskip(NEXT) | instid1(VALU_DEP_1)
	v_ashrrev_i32_e32 v2, 31, v1
	v_lshlrev_b64 v[0:1], 2, v[1:2]
	v_lshlrev_b32_e32 v2, 5, v16
	s_delay_alu instid0(VALU_DEP_2) | instskip(NEXT) | instid1(VALU_DEP_3)
	v_add_co_u32 v0, vcc_lo, s4, v0
	v_add_co_ci_u32_e32 v1, vcc_lo, s5, v1, vcc_lo
	s_load_b128 s[4:7], s[0:1], 0x30
	s_delay_alu instid0(VALU_DEP_2) | instskip(NEXT) | instid1(VALU_DEP_2)
	v_add_co_u32 v0, vcc_lo, v0, v2
	v_add_co_ci_u32_e32 v1, vcc_lo, 0, v1, vcc_lo
	s_clause 0x1
	global_load_b128 v[4:7], v[0:1], off
	global_load_b128 v[0:3], v[0:1], off offset:16
	s_waitcnt vmcnt(1)
	v_cmp_lt_f32_e32 vcc_lo, v4, v5
	v_dual_cndmask_b32 v9, v4, v5 :: v_dual_lshlrev_b32 v18, 3, v16
	s_delay_alu instid0(VALU_DEP_1) | instskip(SKIP_1) | instid1(VALU_DEP_2)
	v_or_b32_e32 v19, 1, v18
	v_or_b32_e32 v20, 2, v18
	v_cndmask_b32_e32 v8, v18, v19, vcc_lo
	s_delay_alu instid0(VALU_DEP_4) | instskip(NEXT) | instid1(VALU_DEP_2)
	v_cmp_lt_f32_e32 vcc_lo, v9, v6
	v_dual_cndmask_b32 v9, v9, v6 :: v_dual_cndmask_b32 v8, v8, v20
	s_delay_alu instid0(VALU_DEP_1)
	v_cmp_lt_f32_e32 vcc_lo, v9, v7
	v_cndmask_b32_e32 v9, v9, v7, vcc_lo
	v_or_b32_e32 v21, 3, v18
	v_or_b32_e32 v22, 4, v18
	;; [unrolled: 1-line block ×5, first 2 shown]
	v_cndmask_b32_e32 v8, v8, v21, vcc_lo
	s_waitcnt vmcnt(0)
	v_cmp_lt_f32_e32 vcc_lo, v9, v0
	s_delay_alu instid0(VALU_DEP_2) | instskip(NEXT) | instid1(VALU_DEP_1)
	v_dual_cndmask_b32 v9, v9, v0 :: v_dual_cndmask_b32 v8, v8, v22
	v_cmp_lt_f32_e32 vcc_lo, v9, v1
	s_delay_alu instid0(VALU_DEP_2) | instskip(NEXT) | instid1(VALU_DEP_1)
	v_dual_cndmask_b32 v9, v9, v1 :: v_dual_cndmask_b32 v8, v8, v23
	;; [unrolled: 3-line block ×4, first 2 shown]
	v_mov_b32_dpp v10, v8 quad_perm:[1,0,3,2] row_mask:0xf bank_mask:0xf
	s_delay_alu instid0(VALU_DEP_2) | instskip(NEXT) | instid1(VALU_DEP_2)
	v_mov_b32_dpp v11, v9 quad_perm:[1,0,3,2] row_mask:0xf bank_mask:0xf
	v_cmp_lt_i32_e32 vcc_lo, v10, v8
	s_delay_alu instid0(VALU_DEP_2) | instskip(SKIP_1) | instid1(VALU_DEP_2)
	v_cmp_eq_f32_e64 s2, v9, v11
	v_cmp_lt_f32_e64 s3, v9, v11
	s_and_b32 s2, s2, vcc_lo
	s_delay_alu instid0(VALU_DEP_1) | instid1(SALU_CYCLE_1)
	s_or_b32 vcc_lo, s3, s2
	v_dual_cndmask_b32 v9, v9, v11 :: v_dual_cndmask_b32 v8, v8, v10
	s_delay_alu instid0(VALU_DEP_1) | instskip(NEXT) | instid1(VALU_DEP_2)
	v_mov_b32_dpp v10, v9 quad_perm:[2,3,0,1] row_mask:0xf bank_mask:0xf
	v_mov_b32_dpp v11, v8 quad_perm:[2,3,0,1] row_mask:0xf bank_mask:0xf
	s_delay_alu instid0(VALU_DEP_2) | instskip(NEXT) | instid1(VALU_DEP_2)
	v_cmp_eq_f32_e32 vcc_lo, v9, v10
	v_cmp_lt_i32_e64 s2, v11, v8
	v_cmp_lt_f32_e64 s3, v9, v10
	s_delay_alu instid0(VALU_DEP_2)
	s_and_b32 s2, vcc_lo, s2
	s_delay_alu instid0(VALU_DEP_1) | instid1(SALU_CYCLE_1)
	s_or_b32 vcc_lo, s3, s2
	v_dual_cndmask_b32 v9, v9, v10 :: v_dual_cndmask_b32 v8, v8, v11
	s_delay_alu instid0(VALU_DEP_1) | instskip(NEXT) | instid1(VALU_DEP_2)
	v_mov_b32_dpp v11, v9 row_half_mirror row_mask:0xf bank_mask:0xf
	v_mov_b32_dpp v10, v8 row_half_mirror row_mask:0xf bank_mask:0xf
	s_delay_alu instid0(VALU_DEP_2) | instskip(NEXT) | instid1(VALU_DEP_2)
	v_cmp_eq_f32_e32 vcc_lo, v9, v11
	v_cmp_lt_i32_e64 s2, v10, v8
	v_cmp_lt_f32_e64 s3, v9, v11
	s_delay_alu instid0(VALU_DEP_2) | instskip(SKIP_1) | instid1(VALU_DEP_2)
	s_and_b32 s2, vcc_lo, s2
	v_cmp_eq_u32_e32 vcc_lo, 0, v16
	s_or_b32 s2, s3, s2
	s_waitcnt lgkmcnt(0)
	s_cmp_gt_i32 s4, 0
	v_cndmask_b32_e64 v17, v9, v11, s2
	s_cselect_b32 s3, -1, 0
	s_cmp_lt_i32 s4, 1
	s_cbranch_scc1 .LBB62_16
; %bb.5:
	s_load_b128 s[8:11], s[0:1], 0x20
	v_mul_lo_u32 v9, v15, s7
	v_mul_lo_u32 v11, v15, s14
	;; [unrolled: 1-line block ×3, first 2 shown]
	v_cndmask_b32_e64 v8, v8, v10, s2
	v_mov_b32_e32 v14, 0
	s_and_saveexec_b32 s2, vcc_lo
	s_cbranch_execz .LBB62_7
; %bb.6:
	v_sub_f32_e32 v34, v17, v17
	v_cmp_le_i32_e64 s0, s5, v8
	v_cmp_gt_i32_e64 s1, s6, v8
	v_subrev_nc_u32_e32 v35, s5, v8
	v_ashrrev_i32_e32 v14, 31, v13
	v_mul_f32_e32 v10, 0x3fb8aa3b, v34
	s_delay_alu instid0(VALU_DEP_4) | instskip(NEXT) | instid1(SALU_CYCLE_1)
	s_and_b32 s0, s0, s1
	s_and_b32 s0, s17, s0
	s_delay_alu instid0(VALU_DEP_1) | instskip(SKIP_2) | instid1(VALU_DEP_3)
	v_rndne_f32_e32 v30, v10
	v_fma_f32 v12, 0x3fb8aa3b, v34, -v10
	v_lshlrev_b64 v[32:33], 2, v[13:14]
	v_sub_f32_e32 v10, v10, v30
	s_delay_alu instid0(VALU_DEP_3) | instskip(NEXT) | instid1(VALU_DEP_1)
	v_fmamk_f32 v12, v34, 0x32a5705f, v12
	v_add_f32_e32 v12, v10, v12
	v_ashrrev_i32_e32 v10, 31, v9
	s_delay_alu instid0(VALU_DEP_2) | instskip(NEXT) | instid1(VALU_DEP_1)
	v_exp_f32_e32 v36, v12
	v_lshlrev_b64 v[28:29], 2, v[9:10]
	v_ashrrev_i32_e32 v12, 31, v11
	v_cvt_i32_f32_e32 v10, v30
	s_delay_alu instid0(VALU_DEP_2) | instskip(SKIP_2) | instid1(VALU_DEP_1)
	v_lshlrev_b64 v[30:31], 2, v[11:12]
	v_cndmask_b32_e64 v12, 64, v35, s0
	v_add_co_u32 v28, s0, s12, v28
	v_add_co_ci_u32_e64 v29, s0, s13, v29, s0
	s_delay_alu instid0(TRANS32_DEP_1) | instskip(SKIP_1) | instid1(VALU_DEP_1)
	v_ldexp_f32 v10, v36, v10
	v_cmp_ngt_f32_e64 s0, 0xc2ce8ed0, v34
	v_cndmask_b32_e64 v10, 0, v10, s0
	s_waitcnt lgkmcnt(0)
	v_add_co_u32 v30, s0, s8, v30
	s_delay_alu instid0(VALU_DEP_1) | instskip(SKIP_1) | instid1(VALU_DEP_1)
	v_add_co_ci_u32_e64 v31, s0, s9, v31, s0
	v_cmp_nlt_f32_e64 s0, 0x42b17218, v34
	v_cndmask_b32_e64 v14, 0x7f800000, v10, s0
	v_add_co_u32 v32, s0, s10, v32
	s_delay_alu instid0(VALU_DEP_1)
	v_add_co_ci_u32_e64 v33, s0, s11, v33, s0
	global_store_b32 v[30:31], v12, off
	global_store_b32 v[28:29], v14, off
	;; [unrolled: 1-line block ×3, first 2 shown]
.LBB62_7:
	s_or_b32 exec_lo, exec_lo, s2
	v_ashrrev_i32_e32 v12, 31, v8
	s_mov_b32 s1, exec_lo
	s_delay_alu instid0(VALU_DEP_1) | instskip(NEXT) | instid1(VALU_DEP_1)
	v_lshrrev_b32_e32 v10, 29, v12
	v_add_nc_u32_e32 v10, v8, v10
	s_delay_alu instid0(VALU_DEP_1) | instskip(NEXT) | instid1(VALU_DEP_1)
	v_ashrrev_i32_e32 v10, 3, v10
	v_lshrrev_b32_e32 v28, 29, v10
	s_delay_alu instid0(VALU_DEP_1) | instskip(NEXT) | instid1(VALU_DEP_1)
	v_add_nc_u32_e32 v28, v10, v28
	v_and_b32_e32 v28, -8, v28
	s_delay_alu instid0(VALU_DEP_1) | instskip(NEXT) | instid1(VALU_DEP_1)
	v_sub_nc_u32_e32 v28, v10, v28
	v_cmpx_eq_u32_e64 v16, v28
	s_cbranch_execz .LBB62_9
; %bb.8:
	v_lshrrev_b32_e32 v12, 26, v12
	v_lshlrev_b32_e32 v10, 3, v10
	s_delay_alu instid0(VALU_DEP_2) | instskip(NEXT) | instid1(VALU_DEP_2)
	v_add_nc_u32_e32 v12, v8, v12
	v_sub_nc_u32_e32 v8, v8, v10
	s_delay_alu instid0(VALU_DEP_2) | instskip(NEXT) | instid1(VALU_DEP_1)
	v_ashrrev_i32_e32 v10, 6, v12
	v_lshl_add_u32 v8, v10, 3, v8
	s_delay_alu instid0(VALU_DEP_1) | instskip(NEXT) | instid1(VALU_DEP_1)
	v_cmp_ne_u32_e64 s0, 7, v8
	v_cndmask_b32_e64 v3, 0xff800000, v3, s0
	v_cmp_ne_u32_e64 s0, 6, v8
	s_delay_alu instid0(VALU_DEP_1) | instskip(SKIP_1) | instid1(VALU_DEP_1)
	v_cndmask_b32_e64 v2, 0xff800000, v2, s0
	v_cmp_ne_u32_e64 s0, 5, v8
	v_cndmask_b32_e64 v1, 0xff800000, v1, s0
	v_cmp_ne_u32_e64 s0, 4, v8
	s_delay_alu instid0(VALU_DEP_1) | instskip(SKIP_1) | instid1(VALU_DEP_1)
	v_cndmask_b32_e64 v0, 0xff800000, v0, s0
	;; [unrolled: 5-line block ×3, first 2 shown]
	v_cmp_ne_u32_e64 s0, 1, v8
	v_cndmask_b32_e64 v5, 0xff800000, v5, s0
	v_cmp_ne_u32_e64 s0, 0, v8
	s_delay_alu instid0(VALU_DEP_1)
	v_cndmask_b32_e64 v4, 0xff800000, v4, s0
.LBB62_9:
	s_or_b32 exec_lo, exec_lo, s1
	s_cmp_eq_u32 s4, 1
	s_cbranch_scc1 .LBB62_16
; %bb.10:
	s_add_i32 s18, s18, s16
	v_add_nc_u32_e32 v8, 1, v13
	v_add3_u32 v26, s18, v27, v26
	v_add_nc_u32_e32 v10, 1, v11
	v_add_nc_u32_e32 v12, 1, v9
	s_add_i32 s14, s4, -1
	s_branch .LBB62_12
.LBB62_11:                              ;   in Loop: Header=BB62_12 Depth=1
	s_or_b32 exec_lo, exec_lo, s1
	v_add_nc_u32_e32 v26, s16, v26
	v_add_nc_u32_e32 v8, 1, v8
	;; [unrolled: 1-line block ×4, first 2 shown]
	s_add_i32 s14, s14, -1
	s_delay_alu instid0(SALU_CYCLE_1)
	s_cmp_eq_u32 s14, 0
	s_cbranch_scc1 .LBB62_16
.LBB62_12:                              ; =>This Inner Loop Header: Depth=1
	v_cmp_gt_f32_e64 s0, v5, v4
	s_delay_alu instid0(VALU_DEP_1) | instskip(SKIP_1) | instid1(VALU_DEP_2)
	v_cndmask_b32_e64 v11, v4, v5, s0
	v_cndmask_b32_e64 v9, v18, v19, s0
	v_cmp_gt_f32_e64 s0, v6, v11
	s_delay_alu instid0(VALU_DEP_1) | instskip(NEXT) | instid1(VALU_DEP_3)
	v_cndmask_b32_e64 v11, v11, v6, s0
	v_cndmask_b32_e64 v9, v9, v20, s0
	s_delay_alu instid0(VALU_DEP_2) | instskip(NEXT) | instid1(VALU_DEP_1)
	v_cmp_gt_f32_e64 s0, v7, v11
	v_cndmask_b32_e64 v11, v11, v7, s0
	s_delay_alu instid0(VALU_DEP_3) | instskip(NEXT) | instid1(VALU_DEP_2)
	v_cndmask_b32_e64 v9, v9, v21, s0
	v_cmp_gt_f32_e64 s0, v0, v11
	s_delay_alu instid0(VALU_DEP_1) | instskip(NEXT) | instid1(VALU_DEP_3)
	v_cndmask_b32_e64 v11, v11, v0, s0
	v_cndmask_b32_e64 v9, v9, v22, s0
	s_delay_alu instid0(VALU_DEP_2) | instskip(NEXT) | instid1(VALU_DEP_1)
	v_cmp_gt_f32_e64 s0, v1, v11
	v_cndmask_b32_e64 v11, v11, v1, s0
	s_delay_alu instid0(VALU_DEP_3) | instskip(NEXT) | instid1(VALU_DEP_2)
	v_cndmask_b32_e64 v9, v9, v23, s0
	v_cmp_gt_f32_e64 s0, v2, v11
	s_delay_alu instid0(VALU_DEP_1) | instskip(NEXT) | instid1(VALU_DEP_3)
	v_cndmask_b32_e64 v11, v11, v2, s0
	v_cndmask_b32_e64 v9, v9, v24, s0
	s_delay_alu instid0(VALU_DEP_2) | instskip(NEXT) | instid1(VALU_DEP_1)
	v_cmp_gt_f32_e64 s0, v3, v11
	v_cndmask_b32_e64 v9, v9, v25, s0
	v_cndmask_b32_e64 v11, v11, v3, s0
	s_delay_alu instid0(VALU_DEP_2) | instskip(NEXT) | instid1(VALU_DEP_2)
	v_mov_b32_dpp v13, v9 quad_perm:[1,0,3,2] row_mask:0xf bank_mask:0xf
	v_mov_b32_dpp v27, v11 quad_perm:[1,0,3,2] row_mask:0xf bank_mask:0xf
	s_delay_alu instid0(VALU_DEP_2) | instskip(NEXT) | instid1(VALU_DEP_2)
	v_cmp_lt_i32_e64 s0, v13, v9
	v_cmp_eq_f32_e64 s1, v11, v27
	v_cmp_lt_f32_e64 s2, v11, v27
	s_delay_alu instid0(VALU_DEP_2)
	s_and_b32 s0, s1, s0
	s_delay_alu instid0(VALU_DEP_1) | instid1(SALU_CYCLE_1)
	s_or_b32 s0, s2, s0
	s_delay_alu instid0(SALU_CYCLE_1) | instskip(SKIP_1) | instid1(VALU_DEP_2)
	v_cndmask_b32_e64 v11, v11, v27, s0
	v_cndmask_b32_e64 v13, v9, v13, s0
	v_mov_b32_dpp v9, v11 quad_perm:[2,3,0,1] row_mask:0xf bank_mask:0xf
	s_delay_alu instid0(VALU_DEP_2) | instskip(NEXT) | instid1(VALU_DEP_2)
	v_mov_b32_dpp v27, v13 quad_perm:[2,3,0,1] row_mask:0xf bank_mask:0xf
	v_cmp_eq_f32_e64 s0, v11, v9
	s_delay_alu instid0(VALU_DEP_2) | instskip(SKIP_1) | instid1(VALU_DEP_2)
	v_cmp_lt_i32_e64 s1, v27, v13
	v_cmp_lt_f32_e64 s2, v11, v9
	s_and_b32 s0, s0, s1
	s_delay_alu instid0(VALU_DEP_1) | instid1(SALU_CYCLE_1)
	s_or_b32 s0, s2, s0
	s_delay_alu instid0(SALU_CYCLE_1) | instskip(SKIP_1) | instid1(VALU_DEP_2)
	v_cndmask_b32_e64 v9, v11, v9, s0
	v_cndmask_b32_e64 v13, v13, v27, s0
	v_mov_b32_dpp v11, v9 row_half_mirror row_mask:0xf bank_mask:0xf
	s_delay_alu instid0(VALU_DEP_2) | instskip(NEXT) | instid1(VALU_DEP_2)
	v_mov_b32_dpp v27, v13 row_half_mirror row_mask:0xf bank_mask:0xf
	v_cmp_eq_f32_e64 s0, v9, v11
	s_delay_alu instid0(VALU_DEP_2) | instskip(SKIP_1) | instid1(VALU_DEP_2)
	v_cmp_lt_i32_e64 s1, v27, v13
	v_cmp_lt_f32_e64 s2, v9, v11
	s_and_b32 s0, s0, s1
	s_delay_alu instid0(VALU_DEP_1) | instid1(SALU_CYCLE_1)
	s_or_b32 s0, s2, s0
	s_delay_alu instid0(SALU_CYCLE_1)
	v_cndmask_b32_e64 v27, v13, v27, s0
	s_and_saveexec_b32 s2, vcc_lo
	s_cbranch_execz .LBB62_14
; %bb.13:                               ;   in Loop: Header=BB62_12 Depth=1
	v_cndmask_b32_e64 v9, v9, v11, s0
	s_delay_alu instid0(VALU_DEP_2) | instskip(SKIP_4) | instid1(VALU_DEP_4)
	v_cmp_le_i32_e64 s0, s5, v27
	v_cmp_gt_i32_e64 s1, s6, v27
	v_ashrrev_i32_e32 v13, 31, v12
	v_subrev_nc_u32_e32 v35, s5, v27
	v_sub_f32_e32 v34, v9, v17
	s_and_b32 s0, s0, s1
	s_delay_alu instid0(SALU_CYCLE_1) | instskip(NEXT) | instid1(VALU_DEP_1)
	s_and_b32 s0, s17, s0
	v_mul_f32_e32 v9, 0x3fb8aa3b, v34
	s_delay_alu instid0(VALU_DEP_1) | instskip(SKIP_1) | instid1(VALU_DEP_2)
	v_fma_f32 v11, 0x3fb8aa3b, v34, -v9
	v_rndne_f32_e32 v28, v9
	v_fmac_f32_e32 v11, 0x32a5705f, v34
	s_delay_alu instid0(VALU_DEP_2) | instskip(SKIP_2) | instid1(VALU_DEP_3)
	v_sub_f32_e32 v9, v9, v28
	v_cvt_i32_f32_e32 v33, v28
	v_lshlrev_b64 v[28:29], 2, v[12:13]
	v_add_f32_e32 v9, v9, v11
	v_ashrrev_i32_e32 v11, 31, v10
	s_delay_alu instid0(VALU_DEP_2) | instskip(SKIP_1) | instid1(VALU_DEP_2)
	v_exp_f32_e32 v32, v9
	v_ashrrev_i32_e32 v9, 31, v8
	v_lshlrev_b64 v[30:31], 2, v[10:11]
	s_waitcnt_depctr 0xfff
	v_ldexp_f32 v11, v32, v33
	v_lshlrev_b64 v[32:33], 2, v[8:9]
	v_cndmask_b32_e64 v9, 64, v35, s0
	v_cmp_ngt_f32_e64 s0, 0xc2ce8ed0, v34
	s_delay_alu instid0(VALU_DEP_1) | instskip(SKIP_1) | instid1(VALU_DEP_1)
	v_cndmask_b32_e64 v11, 0, v11, s0
	v_add_co_u32 v28, s0, s12, v28
	v_add_co_ci_u32_e64 v29, s0, s13, v29, s0
	v_cmp_nlt_f32_e64 s0, 0x42b17218, v34
	s_delay_alu instid0(VALU_DEP_1) | instskip(SKIP_2) | instid1(VALU_DEP_1)
	v_cndmask_b32_e64 v11, 0x7f800000, v11, s0
	s_waitcnt lgkmcnt(0)
	v_add_co_u32 v30, s0, s8, v30
	v_add_co_ci_u32_e64 v31, s0, s9, v31, s0
	s_delay_alu instid0(VALU_DEP_3) | instskip(SKIP_1) | instid1(VALU_DEP_1)
	v_add_f32_e32 v14, v14, v11
	v_add_co_u32 v32, s0, s10, v32
	v_add_co_ci_u32_e64 v33, s0, s11, v33, s0
	global_store_b32 v[28:29], v11, off
	global_store_b32 v[30:31], v9, off
	;; [unrolled: 1-line block ×3, first 2 shown]
.LBB62_14:                              ;   in Loop: Header=BB62_12 Depth=1
	s_or_b32 exec_lo, exec_lo, s2
	s_delay_alu instid0(VALU_DEP_1) | instskip(SKIP_1) | instid1(VALU_DEP_1)
	v_ashrrev_i32_e32 v11, 31, v27
	s_mov_b32 s1, exec_lo
	v_lshrrev_b32_e32 v9, 29, v11
	s_delay_alu instid0(VALU_DEP_1) | instskip(NEXT) | instid1(VALU_DEP_1)
	v_add_nc_u32_e32 v9, v27, v9
	v_ashrrev_i32_e32 v9, 3, v9
	s_delay_alu instid0(VALU_DEP_1) | instskip(NEXT) | instid1(VALU_DEP_1)
	v_lshrrev_b32_e32 v13, 29, v9
	v_add_nc_u32_e32 v13, v9, v13
	s_delay_alu instid0(VALU_DEP_1) | instskip(NEXT) | instid1(VALU_DEP_1)
	v_and_b32_e32 v13, -8, v13
	v_sub_nc_u32_e32 v13, v9, v13
	s_delay_alu instid0(VALU_DEP_1)
	v_cmpx_eq_u32_e64 v16, v13
	s_cbranch_execz .LBB62_11
; %bb.15:                               ;   in Loop: Header=BB62_12 Depth=1
	v_lshrrev_b32_e32 v11, 26, v11
	v_lshlrev_b32_e32 v9, 3, v9
	s_delay_alu instid0(VALU_DEP_2) | instskip(NEXT) | instid1(VALU_DEP_2)
	v_add_nc_u32_e32 v11, v27, v11
	v_sub_nc_u32_e32 v9, v27, v9
	s_delay_alu instid0(VALU_DEP_2) | instskip(NEXT) | instid1(VALU_DEP_1)
	v_ashrrev_i32_e32 v11, 6, v11
	v_lshl_add_u32 v9, v11, 3, v9
	s_delay_alu instid0(VALU_DEP_1) | instskip(NEXT) | instid1(VALU_DEP_1)
	v_cmp_ne_u32_e64 s0, 7, v9
	v_cndmask_b32_e64 v3, 0xff800000, v3, s0
	v_cmp_ne_u32_e64 s0, 6, v9
	s_delay_alu instid0(VALU_DEP_1) | instskip(SKIP_1) | instid1(VALU_DEP_1)
	v_cndmask_b32_e64 v2, 0xff800000, v2, s0
	v_cmp_ne_u32_e64 s0, 5, v9
	v_cndmask_b32_e64 v1, 0xff800000, v1, s0
	v_cmp_ne_u32_e64 s0, 4, v9
	s_delay_alu instid0(VALU_DEP_1) | instskip(SKIP_1) | instid1(VALU_DEP_1)
	v_cndmask_b32_e64 v0, 0xff800000, v0, s0
	v_cmp_ne_u32_e64 s0, 3, v9
	v_cndmask_b32_e64 v7, 0xff800000, v7, s0
	v_cmp_ne_u32_e64 s0, 2, v9
	s_delay_alu instid0(VALU_DEP_1) | instskip(SKIP_1) | instid1(VALU_DEP_1)
	v_cndmask_b32_e64 v6, 0xff800000, v6, s0
	v_cmp_ne_u32_e64 s0, 1, v9
	v_cndmask_b32_e64 v5, 0xff800000, v5, s0
	v_cmp_ne_u32_e64 s0, 0, v9
	s_delay_alu instid0(VALU_DEP_1)
	v_cndmask_b32_e64 v4, 0xff800000, v4, s0
	s_branch .LBB62_11
.LBB62_16:
	s_delay_alu instid0(VALU_DEP_1)
	v_sub_f32_e32 v7, v7, v17
	v_sub_f32_e32 v4, v4, v17
	;; [unrolled: 1-line block ×5, first 2 shown]
	v_mul_f32_e32 v11, 0x3fb8aa3b, v7
	v_dual_sub_f32 v5, v5, v17 :: v_dual_mul_f32 v8, 0x3fb8aa3b, v4
	v_cmp_ngt_f32_e32 vcc_lo, 0xc2ce8ed0, v4
	v_sub_f32_e32 v3, v3, v17
	s_delay_alu instid0(VALU_DEP_4) | instskip(NEXT) | instid1(VALU_DEP_4)
	v_rndne_f32_e32 v23, v11
	v_fma_f32 v12, 0x3fb8aa3b, v4, -v8
	v_rndne_f32_e32 v13, v8
	s_delay_alu instid0(VALU_DEP_2) | instskip(NEXT) | instid1(VALU_DEP_2)
	v_fmac_f32_e32 v12, 0x32a5705f, v4
	v_sub_f32_e32 v8, v8, v13
	s_delay_alu instid0(VALU_DEP_1) | instskip(NEXT) | instid1(VALU_DEP_1)
	v_dual_mul_f32 v9, 0x3fb8aa3b, v5 :: v_dual_add_f32 v8, v8, v12
	v_rndne_f32_e32 v19, v9
	v_sub_f32_e32 v6, v6, v17
	v_fma_f32 v18, 0x3fb8aa3b, v5, -v9
	v_cvt_i32_f32_e32 v12, v13
	v_exp_f32_e32 v8, v8
	s_delay_alu instid0(VALU_DEP_3) | instskip(SKIP_3) | instid1(VALU_DEP_4)
	v_dual_sub_f32 v9, v9, v19 :: v_dual_mul_f32 v10, 0x3fb8aa3b, v6
	v_fma_f32 v22, 0x3fb8aa3b, v7, -v11
	v_sub_f32_e32 v11, v11, v23
	v_cvt_i32_f32_e32 v13, v19
	v_fma_f32 v20, 0x3fb8aa3b, v6, -v10
	s_delay_alu instid0(VALU_DEP_4) | instskip(SKIP_1) | instid1(TRANS32_DEP_1)
	v_fmac_f32_e32 v22, 0x32a5705f, v7
	v_fmac_f32_e32 v18, 0x32a5705f, v5
	v_ldexp_f32 v8, v8, v12
	v_rndne_f32_e32 v21, v10
	s_delay_alu instid0(VALU_DEP_4) | instskip(NEXT) | instid1(VALU_DEP_3)
	v_add_f32_e32 v11, v11, v22
	v_dual_add_f32 v9, v9, v18 :: v_dual_cndmask_b32 v8, 0, v8
	v_cmp_ngt_f32_e32 vcc_lo, 0xc2ce8ed0, v5
	s_delay_alu instid0(VALU_DEP_4) | instskip(SKIP_1) | instid1(VALU_DEP_4)
	v_sub_f32_e32 v10, v10, v21
	v_cvt_i32_f32_e32 v12, v21
	v_exp_f32_e32 v9, v9
	v_exp_f32_e32 v11, v11
	s_waitcnt_depctr 0xfff
	v_ldexp_f32 v9, v9, v13
	v_fmac_f32_e32 v20, 0x32a5705f, v6
	v_mul_f32_e32 v13, 0x3fb8aa3b, v3
	s_delay_alu instid0(VALU_DEP_3) | instskip(SKIP_1) | instid1(VALU_DEP_3)
	v_cndmask_b32_e32 v9, 0, v9, vcc_lo
	v_cmp_nlt_f32_e32 vcc_lo, 0x42b17218, v4
	v_rndne_f32_e32 v17, v13
	v_cndmask_b32_e32 v4, 0x7f800000, v8, vcc_lo
	v_cmp_nlt_f32_e32 vcc_lo, 0x42b17218, v5
	v_dual_add_f32 v10, v10, v20 :: v_dual_cndmask_b32 v5, 0x7f800000, v9
	s_delay_alu instid0(VALU_DEP_1) | instskip(SKIP_2) | instid1(VALU_DEP_3)
	v_exp_f32_e32 v10, v10
	v_cmp_ngt_f32_e32 vcc_lo, 0xc2ce8ed0, v6
	v_cvt_i32_f32_e32 v9, v23
	v_add_f32_e32 v4, v4, v5
	s_waitcnt_depctr 0xfff
	v_ldexp_f32 v10, v10, v12
	s_delay_alu instid0(VALU_DEP_1) | instskip(SKIP_2) | instid1(VALU_DEP_3)
	v_cndmask_b32_e32 v8, 0, v10, vcc_lo
	v_cmp_nlt_f32_e32 vcc_lo, 0x42b17218, v6
	v_mul_f32_e32 v10, 0x3fb8aa3b, v2
	v_cndmask_b32_e32 v5, 0x7f800000, v8, vcc_lo
	v_ldexp_f32 v8, v11, v9
	v_cmp_ngt_f32_e32 vcc_lo, 0xc2ce8ed0, v7
	s_delay_alu instid0(VALU_DEP_4)
	v_fma_f32 v11, 0x3fb8aa3b, v2, -v10
	v_rndne_f32_e32 v12, v10
	v_add_f32_e32 v4, v4, v5
	v_cndmask_b32_e32 v8, 0, v8, vcc_lo
	v_cmp_nlt_f32_e32 vcc_lo, 0x42b17218, v7
	v_fmac_f32_e32 v11, 0x32a5705f, v2
	s_delay_alu instid0(VALU_DEP_3) | instskip(SKIP_3) | instid1(VALU_DEP_4)
	v_cndmask_b32_e32 v7, 0x7f800000, v8, vcc_lo
	v_mul_f32_e32 v6, 0x3fb8aa3b, v0
	v_mul_f32_e32 v8, 0x3fb8aa3b, v1
	v_cmp_ngt_f32_e32 vcc_lo, 0xc2ce8ed0, v0
	v_add_f32_e32 v4, v4, v7
	s_delay_alu instid0(VALU_DEP_4) | instskip(SKIP_2) | instid1(VALU_DEP_2)
	v_fma_f32 v5, 0x3fb8aa3b, v0, -v6
	v_rndne_f32_e32 v9, v6
	v_rndne_f32_e32 v7, v8
	v_dual_fmac_f32 v5, 0x32a5705f, v0 :: v_dual_sub_f32 v6, v6, v9
	v_cvt_i32_f32_e32 v9, v9
	s_delay_alu instid0(VALU_DEP_2) | instskip(SKIP_3) | instid1(VALU_DEP_4)
	v_add_f32_e32 v5, v6, v5
	v_fma_f32 v6, 0x3fb8aa3b, v1, -v8
	v_sub_f32_e32 v8, v8, v7
	v_cvt_i32_f32_e32 v7, v7
	v_exp_f32_e32 v5, v5
	s_delay_alu instid0(VALU_DEP_3) | instskip(NEXT) | instid1(VALU_DEP_1)
	v_fmac_f32_e32 v6, 0x32a5705f, v1
	v_add_f32_e32 v6, v8, v6
	v_sub_f32_e32 v8, v10, v12
	v_fma_f32 v10, 0x3fb8aa3b, v3, -v13
	s_waitcnt_depctr 0xfff
	v_ldexp_f32 v5, v5, v9
	v_exp_f32_e32 v6, v6
	v_add_f32_e32 v8, v8, v11
	v_dual_fmac_f32 v10, 0x32a5705f, v3 :: v_dual_sub_f32 v9, v13, v17
	s_delay_alu instid0(VALU_DEP_3) | instskip(SKIP_1) | instid1(VALU_DEP_4)
	v_cndmask_b32_e32 v5, 0, v5, vcc_lo
	v_cmp_nlt_f32_e32 vcc_lo, 0x42b17218, v0
	v_exp_f32_e32 v8, v8
	s_delay_alu instid0(VALU_DEP_3) | instskip(NEXT) | instid1(TRANS32_DEP_2)
	v_add_f32_e32 v9, v9, v10
	v_ldexp_f32 v6, v6, v7
	v_cndmask_b32_e32 v0, 0x7f800000, v5, vcc_lo
	v_cmp_ngt_f32_e32 vcc_lo, 0xc2ce8ed0, v1
	v_cvt_i32_f32_e32 v5, v12
	v_exp_f32_e32 v7, v9
	s_delay_alu instid0(VALU_DEP_3) | instskip(SKIP_4) | instid1(VALU_DEP_4)
	v_add_f32_e32 v0, v4, v0
	v_cndmask_b32_e32 v6, 0, v6, vcc_lo
	v_cmp_nlt_f32_e32 vcc_lo, 0x42b17218, v1
	v_ldexp_f32 v4, v8, v5
	v_cvt_i32_f32_e32 v5, v17
	v_cndmask_b32_e32 v1, 0x7f800000, v6, vcc_lo
	v_cmp_ngt_f32_e32 vcc_lo, 0xc2ce8ed0, v2
	s_delay_alu instid0(TRANS32_DEP_1) | instid1(VALU_DEP_3)
	v_ldexp_f32 v5, v7, v5
	s_delay_alu instid0(VALU_DEP_3) | instskip(SKIP_2) | instid1(VALU_DEP_2)
	v_add_f32_e32 v0, v0, v1
	v_cndmask_b32_e32 v4, 0, v4, vcc_lo
	v_cmp_nlt_f32_e32 vcc_lo, 0x42b17218, v2
	v_cndmask_b32_e32 v1, 0x7f800000, v4, vcc_lo
	v_cmp_ngt_f32_e32 vcc_lo, 0xc2ce8ed0, v3
	s_delay_alu instid0(VALU_DEP_2) | instskip(SKIP_2) | instid1(VALU_DEP_2)
	v_add_f32_e32 v0, v0, v1
	v_cndmask_b32_e32 v2, 0, v5, vcc_lo
	v_cmp_nlt_f32_e32 vcc_lo, 0x42b17218, v3
	v_cndmask_b32_e32 v1, 0x7f800000, v2, vcc_lo
	v_cmp_eq_u32_e32 vcc_lo, 0, v16
	s_delay_alu instid0(VALU_DEP_2) | instskip(NEXT) | instid1(VALU_DEP_1)
	v_add_f32_e32 v0, v0, v1
	v_mov_b32_dpp v1, v0 quad_perm:[1,0,3,2] row_mask:0xf bank_mask:0xf
	s_delay_alu instid0(VALU_DEP_1) | instskip(NEXT) | instid1(VALU_DEP_1)
	v_add_f32_e32 v0, v0, v1
	v_mov_b32_dpp v1, v0 quad_perm:[2,3,0,1] row_mask:0xf bank_mask:0xf
	s_delay_alu instid0(VALU_DEP_1) | instskip(NEXT) | instid1(VALU_DEP_1)
	v_add_f32_e32 v0, v0, v1
	v_mov_b32_dpp v1, v0 row_half_mirror row_mask:0xf bank_mask:0xf
	s_and_b32 exec_lo, exec_lo, vcc_lo
	s_cbranch_execz .LBB62_21
; %bb.17:
	s_delay_alu instid0(VALU_DEP_1) | instskip(NEXT) | instid1(VALU_DEP_1)
	v_add_f32_e32 v0, v0, v1
	v_add_f32_e32 v0, v14, v0
	s_delay_alu instid0(VALU_DEP_1)
	v_cmp_neq_f32_e32 vcc_lo, 0, v0
	s_and_b32 exec_lo, exec_lo, vcc_lo
	s_cbranch_execz .LBB62_21
; %bb.18:
	s_and_not1_b32 vcc_lo, exec_lo, s3
	s_cbranch_vccnz .LBB62_21
; %bb.19:
	v_div_scale_f32 v2, null, v0, v0, 1.0
	v_div_scale_f32 v4, vcc_lo, 1.0, v0, 1.0
	s_delay_alu instid0(VALU_DEP_2) | instskip(SKIP_2) | instid1(VALU_DEP_1)
	v_rcp_f32_e32 v3, v2
	s_waitcnt_depctr 0xfff
	v_fma_f32 v1, -v2, v3, 1.0
	v_fmac_f32_e32 v3, v1, v3
	v_mul_lo_u32 v1, v15, s7
	s_delay_alu instid0(VALU_DEP_2) | instskip(NEXT) | instid1(VALU_DEP_1)
	v_mul_f32_e32 v5, v4, v3
	v_fma_f32 v6, -v2, v5, v4
	s_delay_alu instid0(VALU_DEP_1) | instskip(NEXT) | instid1(VALU_DEP_1)
	v_fmac_f32_e32 v5, v6, v3
	v_fma_f32 v4, -v2, v5, v4
	v_ashrrev_i32_e32 v2, 31, v1
	s_delay_alu instid0(VALU_DEP_2) | instskip(NEXT) | instid1(VALU_DEP_2)
	v_div_fmas_f32 v5, v4, v3, v5
	v_lshlrev_b64 v[3:4], 2, v[1:2]
	s_delay_alu instid0(VALU_DEP_2) | instskip(NEXT) | instid1(VALU_DEP_2)
	v_div_fixup_f32 v2, v5, v0, 1.0
	v_add_co_u32 v0, vcc_lo, s12, v3
	s_delay_alu instid0(VALU_DEP_3)
	v_add_co_ci_u32_e32 v1, vcc_lo, s13, v4, vcc_lo
.LBB62_20:                              ; =>This Inner Loop Header: Depth=1
	global_load_b32 v3, v[0:1], off
	s_add_i32 s4, s4, -1
	s_delay_alu instid0(SALU_CYCLE_1)
	s_cmp_lg_u32 s4, 0
	s_waitcnt vmcnt(0)
	v_mul_f32_e32 v3, v2, v3
	global_store_b32 v[0:1], v3, off
	v_add_co_u32 v0, vcc_lo, v0, 4
	v_add_co_ci_u32_e32 v1, vcc_lo, 0, v1, vcc_lo
	s_cbranch_scc1 .LBB62_20
.LBB62_21:
	s_nop 0
	s_sendmsg sendmsg(MSG_DEALLOC_VGPRS)
	s_endpgm
	.section	.rodata,"a",@progbits
	.p2align	6, 0x0
	.amdhsa_kernel _ZN4vllm3moe17topkGatingSoftmaxIfLi8ELi64ELi8ELi32ELb0ELi0ELNS0_23SharedExpertScoringFuncE0EEEvPKT_PKbPfiPiS9_iiiiii
		.amdhsa_group_segment_fixed_size 0
		.amdhsa_private_segment_fixed_size 0
		.amdhsa_kernarg_size 72
		.amdhsa_user_sgpr_count 15
		.amdhsa_user_sgpr_dispatch_ptr 0
		.amdhsa_user_sgpr_queue_ptr 0
		.amdhsa_user_sgpr_kernarg_segment_ptr 1
		.amdhsa_user_sgpr_dispatch_id 0
		.amdhsa_user_sgpr_private_segment_size 0
		.amdhsa_wavefront_size32 1
		.amdhsa_uses_dynamic_stack 0
		.amdhsa_enable_private_segment 0
		.amdhsa_system_sgpr_workgroup_id_x 1
		.amdhsa_system_sgpr_workgroup_id_y 0
		.amdhsa_system_sgpr_workgroup_id_z 0
		.amdhsa_system_sgpr_workgroup_info 0
		.amdhsa_system_vgpr_workitem_id 1
		.amdhsa_next_free_vgpr 37
		.amdhsa_next_free_sgpr 19
		.amdhsa_reserve_vcc 1
		.amdhsa_float_round_mode_32 0
		.amdhsa_float_round_mode_16_64 0
		.amdhsa_float_denorm_mode_32 3
		.amdhsa_float_denorm_mode_16_64 3
		.amdhsa_dx10_clamp 1
		.amdhsa_ieee_mode 1
		.amdhsa_fp16_overflow 0
		.amdhsa_workgroup_processor_mode 1
		.amdhsa_memory_ordered 1
		.amdhsa_forward_progress 0
		.amdhsa_shared_vgpr_count 0
		.amdhsa_exception_fp_ieee_invalid_op 0
		.amdhsa_exception_fp_denorm_src 0
		.amdhsa_exception_fp_ieee_div_zero 0
		.amdhsa_exception_fp_ieee_overflow 0
		.amdhsa_exception_fp_ieee_underflow 0
		.amdhsa_exception_fp_ieee_inexact 0
		.amdhsa_exception_int_div_zero 0
	.end_amdhsa_kernel
	.section	.text._ZN4vllm3moe17topkGatingSoftmaxIfLi8ELi64ELi8ELi32ELb0ELi0ELNS0_23SharedExpertScoringFuncE0EEEvPKT_PKbPfiPiS9_iiiiii,"axG",@progbits,_ZN4vllm3moe17topkGatingSoftmaxIfLi8ELi64ELi8ELi32ELb0ELi0ELNS0_23SharedExpertScoringFuncE0EEEvPKT_PKbPfiPiS9_iiiiii,comdat
.Lfunc_end62:
	.size	_ZN4vllm3moe17topkGatingSoftmaxIfLi8ELi64ELi8ELi32ELb0ELi0ELNS0_23SharedExpertScoringFuncE0EEEvPKT_PKbPfiPiS9_iiiiii, .Lfunc_end62-_ZN4vllm3moe17topkGatingSoftmaxIfLi8ELi64ELi8ELi32ELb0ELi0ELNS0_23SharedExpertScoringFuncE0EEEvPKT_PKbPfiPiS9_iiiiii
                                        ; -- End function
	.section	.AMDGPU.csdata,"",@progbits
; Kernel info:
; codeLenInByte = 3504
; NumSgprs: 21
; NumVgprs: 37
; ScratchSize: 0
; MemoryBound: 0
; FloatMode: 240
; IeeeMode: 1
; LDSByteSize: 0 bytes/workgroup (compile time only)
; SGPRBlocks: 2
; VGPRBlocks: 4
; NumSGPRsForWavesPerEU: 21
; NumVGPRsForWavesPerEU: 37
; Occupancy: 16
; WaveLimiterHint : 0
; COMPUTE_PGM_RSRC2:SCRATCH_EN: 0
; COMPUTE_PGM_RSRC2:USER_SGPR: 15
; COMPUTE_PGM_RSRC2:TRAP_HANDLER: 0
; COMPUTE_PGM_RSRC2:TGID_X_EN: 1
; COMPUTE_PGM_RSRC2:TGID_Y_EN: 0
; COMPUTE_PGM_RSRC2:TGID_Z_EN: 0
; COMPUTE_PGM_RSRC2:TIDIG_COMP_CNT: 1
	.section	.text._ZN4vllm3moe17topkGatingSoftmaxIfLi8ELi64ELi8ELi32ELb1ELi1ELNS0_23SharedExpertScoringFuncE1EEEvPKT_PKbPfiPiS9_iiiiii,"axG",@progbits,_ZN4vllm3moe17topkGatingSoftmaxIfLi8ELi64ELi8ELi32ELb1ELi1ELNS0_23SharedExpertScoringFuncE1EEEvPKT_PKbPfiPiS9_iiiiii,comdat
	.protected	_ZN4vllm3moe17topkGatingSoftmaxIfLi8ELi64ELi8ELi32ELb1ELi1ELNS0_23SharedExpertScoringFuncE1EEEvPKT_PKbPfiPiS9_iiiiii ; -- Begin function _ZN4vllm3moe17topkGatingSoftmaxIfLi8ELi64ELi8ELi32ELb1ELi1ELNS0_23SharedExpertScoringFuncE1EEEvPKT_PKbPfiPiS9_iiiiii
	.globl	_ZN4vllm3moe17topkGatingSoftmaxIfLi8ELi64ELi8ELi32ELb1ELi1ELNS0_23SharedExpertScoringFuncE1EEEvPKT_PKbPfiPiS9_iiiiii
	.p2align	8
	.type	_ZN4vllm3moe17topkGatingSoftmaxIfLi8ELi64ELi8ELi32ELb1ELi1ELNS0_23SharedExpertScoringFuncE1EEEvPKT_PKbPfiPiS9_iiiiii,@function
_ZN4vllm3moe17topkGatingSoftmaxIfLi8ELi64ELi8ELi32ELb1ELi1ELNS0_23SharedExpertScoringFuncE1EEEvPKT_PKbPfiPiS9_iiiiii: ; @_ZN4vllm3moe17topkGatingSoftmaxIfLi8ELi64ELi8ELi32ELb1ELi1ELNS0_23SharedExpertScoringFuncE1EEEvPKT_PKbPfiPiS9_iiiiii
; %bb.0:
	s_load_b32 s16, s[0:1], 0x18
	v_bfe_u32 v1, v0, 10, 10
	v_and_b32_e32 v0, 0x3ff, v0
	s_lshl_b32 s18, s15, 5
	s_mov_b32 s2, exec_lo
	s_delay_alu instid0(VALU_DEP_2) | instskip(NEXT) | instid1(VALU_DEP_2)
	v_lshlrev_b32_e32 v25, 2, v1
	v_lshrrev_b32_e32 v26, 3, v0
	s_delay_alu instid0(VALU_DEP_1) | instskip(SKIP_1) | instid1(VALU_DEP_1)
	v_add3_u32 v15, s18, v25, v26
	s_waitcnt lgkmcnt(0)
	v_cmpx_gt_i32_e64 s16, v15
	s_cbranch_execz .LBB63_22
; %bb.1:
	s_clause 0x1
	s_load_b128 s[4:7], s[0:1], 0x0
	s_load_b64 s[12:13], s[0:1], 0x10
	s_waitcnt lgkmcnt(0)
	s_cmp_eq_u64 s[6:7], 0
	s_cbranch_scc1 .LBB63_3
; %bb.2:
	v_ashrrev_i32_e32 v2, 31, v15
	v_add_co_u32 v1, vcc_lo, s6, v15
	s_delay_alu instid0(VALU_DEP_2) | instskip(SKIP_3) | instid1(VALU_DEP_1)
	v_add_co_ci_u32_e32 v2, vcc_lo, s7, v2, vcc_lo
	global_load_u8 v1, v[1:2], off
	s_waitcnt vmcnt(0)
	v_and_b32_e32 v1, 1, v1
	v_cmp_eq_u32_e32 vcc_lo, 1, v1
	s_xor_b32 s2, vcc_lo, -1
	s_delay_alu instid0(SALU_CYCLE_1)
	s_or_not1_b32 s17, s2, exec_lo
	s_branch .LBB63_4
.LBB63_3:
	s_mov_b32 s17, -1
.LBB63_4:
	s_clause 0x1
	s_load_b64 s[14:15], s[0:1], 0x40
	s_load_b128 s[8:11], s[0:1], 0x30
	v_and_b32_e32 v16, 7, v0
	s_delay_alu instid0(VALU_DEP_1) | instskip(SKIP_3) | instid1(VALU_DEP_1)
	v_dual_mov_b32 v14, 0 :: v_dual_lshlrev_b32 v17, 3, v16
	v_cmp_eq_u32_e64 s2, 0, v16
	s_waitcnt lgkmcnt(0)
	v_mul_lo_u32 v1, v15, s15
	v_ashrrev_i32_e32 v2, 31, v1
	s_delay_alu instid0(VALU_DEP_1) | instskip(SKIP_1) | instid1(VALU_DEP_2)
	v_lshlrev_b64 v[0:1], 2, v[1:2]
	v_lshlrev_b32_e32 v2, 5, v16
	v_add_co_u32 v8, vcc_lo, s4, v0
	s_delay_alu instid0(VALU_DEP_3) | instskip(NEXT) | instid1(VALU_DEP_2)
	v_add_co_ci_u32_e32 v9, vcc_lo, s5, v1, vcc_lo
	v_add_co_u32 v4, vcc_lo, v8, v2
	s_delay_alu instid0(VALU_DEP_2)
	v_add_co_ci_u32_e32 v5, vcc_lo, 0, v9, vcc_lo
	s_clause 0x1
	global_load_b128 v[0:3], v[4:5], off offset:16
	global_load_b128 v[4:7], v[4:5], off
	s_and_saveexec_b32 s3, s2
	s_cbranch_execz .LBB63_6
; %bb.5:
	global_load_b32 v8, v[8:9], off offset:256
	s_waitcnt vmcnt(0)
	v_mul_f32_e32 v9, 0xbfb8aa3b, v8
	v_cmp_nlt_f32_e32 vcc_lo, 0x42ce8ed0, v8
	s_delay_alu instid0(VALU_DEP_2) | instskip(SKIP_1) | instid1(VALU_DEP_2)
	v_rndne_f32_e32 v10, v9
	v_fma_f32 v11, 0xbfb8aa3b, v8, -v9
	v_sub_f32_e32 v9, v9, v10
	s_delay_alu instid0(VALU_DEP_2) | instskip(SKIP_1) | instid1(VALU_DEP_2)
	v_fmamk_f32 v11, v8, 0xb2a5705f, v11
	v_cvt_i32_f32_e32 v10, v10
	v_add_f32_e32 v9, v9, v11
	s_delay_alu instid0(VALU_DEP_1) | instskip(SKIP_2) | instid1(VALU_DEP_1)
	v_exp_f32_e32 v9, v9
	s_waitcnt_depctr 0xfff
	v_ldexp_f32 v9, v9, v10
	v_cndmask_b32_e32 v9, 0, v9, vcc_lo
	v_cmp_ngt_f32_e32 vcc_lo, 0xc2b17218, v8
	s_delay_alu instid0(VALU_DEP_2) | instskip(NEXT) | instid1(VALU_DEP_1)
	v_cndmask_b32_e32 v8, 0x7f800000, v9, vcc_lo
	v_add_f32_e32 v10, 1.0, v8
	s_delay_alu instid0(VALU_DEP_1) | instskip(SKIP_1) | instid1(VALU_DEP_2)
	v_div_scale_f32 v11, null, v10, v10, 1.0
	v_div_scale_f32 v13, vcc_lo, 1.0, v10, 1.0
	v_rcp_f32_e32 v12, v11
	s_waitcnt_depctr 0xfff
	v_fma_f32 v8, -v11, v12, 1.0
	s_delay_alu instid0(VALU_DEP_1) | instskip(SKIP_1) | instid1(VALU_DEP_2)
	v_fmac_f32_e32 v12, v8, v12
	v_mad_u64_u32 v[8:9], null, v15, s11, s[8:9]
	v_mul_f32_e32 v18, v13, v12
	s_delay_alu instid0(VALU_DEP_2) | instskip(NEXT) | instid1(VALU_DEP_2)
	v_ashrrev_i32_e32 v9, 31, v8
	v_fma_f32 v19, -v11, v18, v13
	s_delay_alu instid0(VALU_DEP_2) | instskip(NEXT) | instid1(VALU_DEP_2)
	v_lshlrev_b64 v[8:9], 2, v[8:9]
	v_fmac_f32_e32 v18, v19, v12
	s_delay_alu instid0(VALU_DEP_1) | instskip(NEXT) | instid1(VALU_DEP_1)
	v_fma_f32 v11, -v11, v18, v13
	v_div_fmas_f32 v11, v11, v12, v18
	s_delay_alu instid0(VALU_DEP_4) | instskip(SKIP_1) | instid1(VALU_DEP_3)
	v_add_co_u32 v8, vcc_lo, s12, v8
	v_add_co_ci_u32_e32 v9, vcc_lo, s13, v9, vcc_lo
	v_div_fixup_f32 v10, v11, v10, 1.0
	global_store_b32 v[8:9], v10, off
.LBB63_6:
	s_or_b32 exec_lo, exec_lo, s3
	v_or_b32_e32 v18, 1, v17
	s_waitcnt vmcnt(0)
	v_cmp_lt_f32_e32 vcc_lo, v4, v5
	v_or_b32_e32 v19, 2, v17
	v_or_b32_e32 v20, 3, v17
	;; [unrolled: 1-line block ×4, first 2 shown]
	v_dual_cndmask_b32 v8, v17, v18 :: v_dual_cndmask_b32 v9, v4, v5
	v_or_b32_e32 v23, 6, v17
	v_or_b32_e32 v24, 7, v17
	s_delay_alu instid0(VALU_DEP_3) | instskip(NEXT) | instid1(VALU_DEP_4)
	v_cmp_lt_f32_e32 vcc_lo, v9, v6
	v_dual_cndmask_b32 v8, v8, v19 :: v_dual_cndmask_b32 v9, v9, v6
	s_delay_alu instid0(VALU_DEP_1) | instskip(NEXT) | instid1(VALU_DEP_2)
	v_cmp_lt_f32_e32 vcc_lo, v9, v7
	v_dual_cndmask_b32 v8, v8, v20 :: v_dual_cndmask_b32 v9, v9, v7
	s_delay_alu instid0(VALU_DEP_1) | instskip(NEXT) | instid1(VALU_DEP_2)
	;; [unrolled: 3-line block ×6, first 2 shown]
	v_mov_b32_dpp v10, v8 quad_perm:[1,0,3,2] row_mask:0xf bank_mask:0xf
	v_mov_b32_dpp v11, v9 quad_perm:[1,0,3,2] row_mask:0xf bank_mask:0xf
	s_delay_alu instid0(VALU_DEP_2) | instskip(NEXT) | instid1(VALU_DEP_2)
	v_cmp_lt_i32_e32 vcc_lo, v10, v8
	v_cmp_eq_f32_e64 s3, v9, v11
	v_cmp_lt_f32_e64 s4, v9, v11
	s_delay_alu instid0(VALU_DEP_2)
	s_and_b32 s3, s3, vcc_lo
	s_delay_alu instid0(VALU_DEP_1) | instid1(SALU_CYCLE_1)
	s_or_b32 vcc_lo, s4, s3
	v_dual_cndmask_b32 v9, v9, v11 :: v_dual_cndmask_b32 v8, v8, v10
	s_delay_alu instid0(VALU_DEP_1) | instskip(NEXT) | instid1(VALU_DEP_2)
	v_mov_b32_dpp v10, v9 quad_perm:[2,3,0,1] row_mask:0xf bank_mask:0xf
	v_mov_b32_dpp v11, v8 quad_perm:[2,3,0,1] row_mask:0xf bank_mask:0xf
	s_delay_alu instid0(VALU_DEP_2) | instskip(NEXT) | instid1(VALU_DEP_2)
	v_cmp_eq_f32_e32 vcc_lo, v9, v10
	v_cmp_lt_i32_e64 s3, v11, v8
	v_cmp_lt_f32_e64 s4, v9, v10
	s_delay_alu instid0(VALU_DEP_2)
	s_and_b32 s3, vcc_lo, s3
	s_delay_alu instid0(VALU_DEP_1) | instid1(SALU_CYCLE_1)
	s_or_b32 vcc_lo, s4, s3
	s_cmp_gt_i32 s8, 0
	v_cndmask_b32_e32 v10, v9, v10, vcc_lo
	v_cndmask_b32_e32 v8, v8, v11, vcc_lo
	s_cselect_b32 s3, -1, 0
	s_delay_alu instid0(SALU_CYCLE_1) | instskip(NEXT) | instid1(VALU_DEP_2)
	s_and_b32 vcc_lo, exec_lo, s3
	v_mov_b32_dpp v12, v10 row_half_mirror row_mask:0xf bank_mask:0xf
	s_delay_alu instid0(VALU_DEP_2)
	v_mov_b32_dpp v27, v8 row_half_mirror row_mask:0xf bank_mask:0xf
	s_cbranch_vccz .LBB63_18
; %bb.7:
	s_load_b128 s[4:7], s[0:1], 0x20
	s_delay_alu instid0(VALU_DEP_2) | instskip(NEXT) | instid1(VALU_DEP_2)
	v_cmp_eq_f32_e32 vcc_lo, v10, v12
	v_cmp_lt_i32_e64 s0, v27, v8
	v_cmp_lt_f32_e64 s1, v10, v12
	v_mul_lo_u32 v9, v15, s11
	v_mul_lo_u32 v11, v15, s14
	;; [unrolled: 1-line block ×3, first 2 shown]
	s_and_b32 s0, vcc_lo, s0
	v_mov_b32_e32 v14, 0
	s_or_b32 vcc_lo, s1, s0
	v_dual_cndmask_b32 v8, v8, v27 :: v_dual_cndmask_b32 v27, v10, v12
	s_and_saveexec_b32 s1, s2
	s_cbranch_execz .LBB63_9
; %bb.8:
	s_delay_alu instid0(VALU_DEP_1) | instskip(NEXT) | instid1(VALU_DEP_2)
	v_sub_f32_e32 v34, v27, v27
	v_cmp_le_i32_e32 vcc_lo, s9, v8
	v_cmp_gt_i32_e64 s0, s10, v8
	v_subrev_nc_u32_e32 v35, s9, v8
	v_ashrrev_i32_e32 v14, 31, v13
	v_mul_f32_e32 v10, 0x3fb8aa3b, v34
	s_delay_alu instid0(VALU_DEP_4) | instskip(NEXT) | instid1(SALU_CYCLE_1)
	s_and_b32 s0, vcc_lo, s0
	s_and_b32 vcc_lo, s17, s0
	s_delay_alu instid0(VALU_DEP_1) | instskip(SKIP_2) | instid1(VALU_DEP_3)
	v_rndne_f32_e32 v30, v10
	v_fma_f32 v12, 0x3fb8aa3b, v34, -v10
	v_lshlrev_b64 v[32:33], 2, v[13:14]
	v_sub_f32_e32 v10, v10, v30
	s_delay_alu instid0(VALU_DEP_3) | instskip(NEXT) | instid1(VALU_DEP_1)
	v_fmamk_f32 v12, v34, 0x32a5705f, v12
	v_add_f32_e32 v12, v10, v12
	v_ashrrev_i32_e32 v10, 31, v9
	s_delay_alu instid0(VALU_DEP_2) | instskip(NEXT) | instid1(VALU_DEP_1)
	v_exp_f32_e32 v36, v12
	v_lshlrev_b64 v[28:29], 2, v[9:10]
	v_ashrrev_i32_e32 v12, 31, v11
	v_cvt_i32_f32_e32 v10, v30
	s_delay_alu instid0(VALU_DEP_2) | instskip(SKIP_3) | instid1(TRANS32_DEP_1)
	v_lshlrev_b64 v[30:31], 2, v[11:12]
	v_cndmask_b32_e32 v12, 64, v35, vcc_lo
	v_add_co_u32 v28, vcc_lo, s12, v28
	v_add_co_ci_u32_e32 v29, vcc_lo, s13, v29, vcc_lo
	v_ldexp_f32 v10, v36, v10
	v_cmp_ngt_f32_e32 vcc_lo, 0xc2ce8ed0, v34
	s_delay_alu instid0(VALU_DEP_2)
	v_cndmask_b32_e32 v10, 0, v10, vcc_lo
	s_waitcnt lgkmcnt(0)
	v_add_co_u32 v30, vcc_lo, s4, v30
	v_add_co_ci_u32_e32 v31, vcc_lo, s5, v31, vcc_lo
	v_cmp_nlt_f32_e32 vcc_lo, 0x42b17218, v34
	v_cndmask_b32_e32 v14, 0x7f800000, v10, vcc_lo
	v_add_co_u32 v32, vcc_lo, s6, v32
	v_add_co_ci_u32_e32 v33, vcc_lo, s7, v33, vcc_lo
	global_store_b32 v[30:31], v12, off
	global_store_b32 v[28:29], v14, off
	;; [unrolled: 1-line block ×3, first 2 shown]
.LBB63_9:
	s_or_b32 exec_lo, exec_lo, s1
	s_delay_alu instid0(VALU_DEP_1) | instskip(SKIP_1) | instid1(VALU_DEP_1)
	v_ashrrev_i32_e32 v12, 31, v8
	s_mov_b32 s0, exec_lo
	v_lshrrev_b32_e32 v10, 29, v12
	s_delay_alu instid0(VALU_DEP_1) | instskip(NEXT) | instid1(VALU_DEP_1)
	v_add_nc_u32_e32 v10, v8, v10
	v_ashrrev_i32_e32 v10, 3, v10
	s_delay_alu instid0(VALU_DEP_1) | instskip(NEXT) | instid1(VALU_DEP_1)
	v_lshrrev_b32_e32 v28, 29, v10
	v_add_nc_u32_e32 v28, v10, v28
	s_delay_alu instid0(VALU_DEP_1) | instskip(NEXT) | instid1(VALU_DEP_1)
	v_and_b32_e32 v28, -8, v28
	v_sub_nc_u32_e32 v28, v10, v28
	s_delay_alu instid0(VALU_DEP_1)
	v_cmpx_eq_u32_e64 v16, v28
	s_cbranch_execz .LBB63_11
; %bb.10:
	v_lshrrev_b32_e32 v12, 26, v12
	v_lshlrev_b32_e32 v10, 3, v10
	s_delay_alu instid0(VALU_DEP_2) | instskip(NEXT) | instid1(VALU_DEP_2)
	v_add_nc_u32_e32 v12, v8, v12
	v_sub_nc_u32_e32 v8, v8, v10
	s_delay_alu instid0(VALU_DEP_2) | instskip(NEXT) | instid1(VALU_DEP_1)
	v_ashrrev_i32_e32 v10, 6, v12
	v_lshl_add_u32 v8, v10, 3, v8
	s_delay_alu instid0(VALU_DEP_1)
	v_cmp_ne_u32_e32 vcc_lo, 7, v8
	v_cndmask_b32_e32 v3, 0xff800000, v3, vcc_lo
	v_cmp_ne_u32_e32 vcc_lo, 6, v8
	v_cndmask_b32_e32 v2, 0xff800000, v2, vcc_lo
	;; [unrolled: 2-line block ×8, first 2 shown]
.LBB63_11:
	s_or_b32 exec_lo, exec_lo, s0
	s_cmp_eq_u32 s8, 1
	s_cbranch_scc1 .LBB63_18
; %bb.12:
	s_add_i32 s18, s18, s16
	v_add_nc_u32_e32 v8, 1, v13
	v_add3_u32 v25, s18, v26, v25
	v_add_nc_u32_e32 v10, 1, v11
	v_add_nc_u32_e32 v12, 1, v9
	s_add_i32 s14, s8, -1
	s_branch .LBB63_14
.LBB63_13:                              ;   in Loop: Header=BB63_14 Depth=1
	s_or_b32 exec_lo, exec_lo, s0
	v_add_nc_u32_e32 v25, s16, v25
	v_add_nc_u32_e32 v8, 1, v8
	;; [unrolled: 1-line block ×4, first 2 shown]
	s_add_i32 s14, s14, -1
	s_delay_alu instid0(SALU_CYCLE_1)
	s_cmp_eq_u32 s14, 0
	s_cbranch_scc1 .LBB63_18
.LBB63_14:                              ; =>This Inner Loop Header: Depth=1
	v_cmp_gt_f32_e32 vcc_lo, v5, v4
	v_cndmask_b32_e32 v11, v4, v5, vcc_lo
	v_cndmask_b32_e32 v9, v17, v18, vcc_lo
	s_delay_alu instid0(VALU_DEP_2) | instskip(SKIP_1) | instid1(VALU_DEP_3)
	v_cmp_gt_f32_e32 vcc_lo, v6, v11
	v_cndmask_b32_e32 v11, v11, v6, vcc_lo
	v_cndmask_b32_e32 v9, v9, v19, vcc_lo
	s_delay_alu instid0(VALU_DEP_2) | instskip(SKIP_1) | instid1(VALU_DEP_3)
	;; [unrolled: 4-line block ×5, first 2 shown]
	v_cmp_gt_f32_e32 vcc_lo, v2, v11
	v_cndmask_b32_e32 v11, v11, v2, vcc_lo
	v_cndmask_b32_e32 v9, v9, v23, vcc_lo
	s_delay_alu instid0(VALU_DEP_2) | instskip(NEXT) | instid1(VALU_DEP_2)
	v_cmp_gt_f32_e32 vcc_lo, v3, v11
	v_cndmask_b32_e32 v9, v9, v24, vcc_lo
	v_cndmask_b32_e32 v11, v11, v3, vcc_lo
	s_delay_alu instid0(VALU_DEP_2) | instskip(NEXT) | instid1(VALU_DEP_2)
	v_mov_b32_dpp v13, v9 quad_perm:[1,0,3,2] row_mask:0xf bank_mask:0xf
	v_mov_b32_dpp v26, v11 quad_perm:[1,0,3,2] row_mask:0xf bank_mask:0xf
	s_delay_alu instid0(VALU_DEP_2) | instskip(NEXT) | instid1(VALU_DEP_2)
	v_cmp_lt_i32_e32 vcc_lo, v13, v9
	v_cmp_eq_f32_e64 s0, v11, v26
	v_cmp_lt_f32_e64 s1, v11, v26
	s_delay_alu instid0(VALU_DEP_2)
	s_and_b32 s0, s0, vcc_lo
	s_delay_alu instid0(VALU_DEP_1) | instid1(SALU_CYCLE_1)
	s_or_b32 vcc_lo, s1, s0
	v_cndmask_b32_e32 v11, v11, v26, vcc_lo
	v_cndmask_b32_e32 v13, v9, v13, vcc_lo
	s_delay_alu instid0(VALU_DEP_2) | instskip(NEXT) | instid1(VALU_DEP_2)
	v_mov_b32_dpp v9, v11 quad_perm:[2,3,0,1] row_mask:0xf bank_mask:0xf
	v_mov_b32_dpp v26, v13 quad_perm:[2,3,0,1] row_mask:0xf bank_mask:0xf
	s_delay_alu instid0(VALU_DEP_2) | instskip(NEXT) | instid1(VALU_DEP_2)
	v_cmp_eq_f32_e32 vcc_lo, v11, v9
	v_cmp_lt_i32_e64 s0, v26, v13
	v_cmp_lt_f32_e64 s1, v11, v9
	s_delay_alu instid0(VALU_DEP_2)
	s_and_b32 s0, vcc_lo, s0
	s_delay_alu instid0(VALU_DEP_1) | instid1(SALU_CYCLE_1)
	s_or_b32 vcc_lo, s1, s0
	v_cndmask_b32_e32 v9, v11, v9, vcc_lo
	v_cndmask_b32_e32 v13, v13, v26, vcc_lo
	s_delay_alu instid0(VALU_DEP_2) | instskip(NEXT) | instid1(VALU_DEP_2)
	v_mov_b32_dpp v11, v9 row_half_mirror row_mask:0xf bank_mask:0xf
	v_mov_b32_dpp v26, v13 row_half_mirror row_mask:0xf bank_mask:0xf
	s_delay_alu instid0(VALU_DEP_2) | instskip(NEXT) | instid1(VALU_DEP_2)
	v_cmp_eq_f32_e32 vcc_lo, v9, v11
	v_cmp_lt_i32_e64 s0, v26, v13
	v_cmp_lt_f32_e64 s1, v9, v11
	s_delay_alu instid0(VALU_DEP_2)
	s_and_b32 s0, vcc_lo, s0
	s_delay_alu instid0(VALU_DEP_1) | instid1(SALU_CYCLE_1)
	s_or_b32 vcc_lo, s1, s0
	v_cndmask_b32_e32 v26, v13, v26, vcc_lo
	s_and_saveexec_b32 s1, s2
	s_cbranch_execz .LBB63_16
; %bb.15:                               ;   in Loop: Header=BB63_14 Depth=1
	v_cndmask_b32_e32 v9, v9, v11, vcc_lo
	s_delay_alu instid0(VALU_DEP_2) | instskip(SKIP_4) | instid1(VALU_DEP_4)
	v_cmp_le_i32_e32 vcc_lo, s9, v26
	v_cmp_gt_i32_e64 s0, s10, v26
	v_ashrrev_i32_e32 v13, 31, v12
	v_subrev_nc_u32_e32 v35, s9, v26
	v_sub_f32_e32 v34, v9, v27
	s_and_b32 s0, vcc_lo, s0
	s_delay_alu instid0(SALU_CYCLE_1) | instskip(NEXT) | instid1(VALU_DEP_1)
	s_and_b32 vcc_lo, s17, s0
	v_mul_f32_e32 v9, 0x3fb8aa3b, v34
	s_delay_alu instid0(VALU_DEP_1) | instskip(SKIP_1) | instid1(VALU_DEP_2)
	v_fma_f32 v11, 0x3fb8aa3b, v34, -v9
	v_rndne_f32_e32 v28, v9
	v_fmac_f32_e32 v11, 0x32a5705f, v34
	s_delay_alu instid0(VALU_DEP_2) | instskip(SKIP_2) | instid1(VALU_DEP_3)
	v_sub_f32_e32 v9, v9, v28
	v_cvt_i32_f32_e32 v33, v28
	v_lshlrev_b64 v[28:29], 2, v[12:13]
	v_add_f32_e32 v9, v9, v11
	v_ashrrev_i32_e32 v11, 31, v10
	s_delay_alu instid0(VALU_DEP_2) | instskip(SKIP_1) | instid1(VALU_DEP_2)
	v_exp_f32_e32 v32, v9
	v_ashrrev_i32_e32 v9, 31, v8
	v_lshlrev_b64 v[30:31], 2, v[10:11]
	s_waitcnt_depctr 0xfff
	v_ldexp_f32 v11, v32, v33
	v_lshlrev_b64 v[32:33], 2, v[8:9]
	v_cndmask_b32_e32 v9, 64, v35, vcc_lo
	v_cmp_ngt_f32_e32 vcc_lo, 0xc2ce8ed0, v34
	s_delay_alu instid0(VALU_DEP_4) | instskip(SKIP_3) | instid1(VALU_DEP_4)
	v_cndmask_b32_e32 v11, 0, v11, vcc_lo
	v_add_co_u32 v28, vcc_lo, s12, v28
	v_add_co_ci_u32_e32 v29, vcc_lo, s13, v29, vcc_lo
	v_cmp_nlt_f32_e32 vcc_lo, 0x42b17218, v34
	v_cndmask_b32_e32 v11, 0x7f800000, v11, vcc_lo
	s_waitcnt lgkmcnt(0)
	v_add_co_u32 v30, vcc_lo, s4, v30
	v_add_co_ci_u32_e32 v31, vcc_lo, s5, v31, vcc_lo
	s_delay_alu instid0(VALU_DEP_3)
	v_add_f32_e32 v14, v14, v11
	v_add_co_u32 v32, vcc_lo, s6, v32
	v_add_co_ci_u32_e32 v33, vcc_lo, s7, v33, vcc_lo
	global_store_b32 v[28:29], v11, off
	global_store_b32 v[30:31], v9, off
	;; [unrolled: 1-line block ×3, first 2 shown]
.LBB63_16:                              ;   in Loop: Header=BB63_14 Depth=1
	s_or_b32 exec_lo, exec_lo, s1
	s_delay_alu instid0(VALU_DEP_1) | instskip(SKIP_1) | instid1(VALU_DEP_1)
	v_ashrrev_i32_e32 v11, 31, v26
	s_mov_b32 s0, exec_lo
	v_lshrrev_b32_e32 v9, 29, v11
	s_delay_alu instid0(VALU_DEP_1) | instskip(NEXT) | instid1(VALU_DEP_1)
	v_add_nc_u32_e32 v9, v26, v9
	v_ashrrev_i32_e32 v9, 3, v9
	s_delay_alu instid0(VALU_DEP_1) | instskip(NEXT) | instid1(VALU_DEP_1)
	v_lshrrev_b32_e32 v13, 29, v9
	v_add_nc_u32_e32 v13, v9, v13
	s_delay_alu instid0(VALU_DEP_1) | instskip(NEXT) | instid1(VALU_DEP_1)
	v_and_b32_e32 v13, -8, v13
	v_sub_nc_u32_e32 v13, v9, v13
	s_delay_alu instid0(VALU_DEP_1)
	v_cmpx_eq_u32_e64 v16, v13
	s_cbranch_execz .LBB63_13
; %bb.17:                               ;   in Loop: Header=BB63_14 Depth=1
	v_lshrrev_b32_e32 v11, 26, v11
	v_lshlrev_b32_e32 v9, 3, v9
	s_delay_alu instid0(VALU_DEP_2) | instskip(NEXT) | instid1(VALU_DEP_2)
	v_add_nc_u32_e32 v11, v26, v11
	v_sub_nc_u32_e32 v9, v26, v9
	s_delay_alu instid0(VALU_DEP_2) | instskip(NEXT) | instid1(VALU_DEP_1)
	v_ashrrev_i32_e32 v11, 6, v11
	v_lshl_add_u32 v9, v11, 3, v9
	s_delay_alu instid0(VALU_DEP_1)
	v_cmp_ne_u32_e32 vcc_lo, 7, v9
	v_cndmask_b32_e32 v3, 0xff800000, v3, vcc_lo
	v_cmp_ne_u32_e32 vcc_lo, 6, v9
	v_cndmask_b32_e32 v2, 0xff800000, v2, vcc_lo
	;; [unrolled: 2-line block ×8, first 2 shown]
	s_branch .LBB63_13
.LBB63_18:
	v_cmp_neq_f32_e32 vcc_lo, 0, v14
	s_and_b32 s0, s2, vcc_lo
	s_delay_alu instid0(SALU_CYCLE_1)
	s_and_b32 exec_lo, exec_lo, s0
	s_cbranch_execz .LBB63_22
; %bb.19:
	s_and_not1_b32 vcc_lo, exec_lo, s3
	s_cbranch_vccnz .LBB63_22
; %bb.20:
	v_div_scale_f32 v1, null, v14, v14, 1.0
	v_div_scale_f32 v3, vcc_lo, 1.0, v14, 1.0
	s_delay_alu instid0(VALU_DEP_2) | instskip(SKIP_2) | instid1(VALU_DEP_1)
	v_rcp_f32_e32 v2, v1
	s_waitcnt_depctr 0xfff
	v_fma_f32 v0, -v1, v2, 1.0
	v_fmac_f32_e32 v2, v0, v2
	v_mul_lo_u32 v0, v15, s11
	s_delay_alu instid0(VALU_DEP_2) | instskip(NEXT) | instid1(VALU_DEP_1)
	v_mul_f32_e32 v4, v3, v2
	v_fma_f32 v5, -v1, v4, v3
	s_delay_alu instid0(VALU_DEP_1) | instskip(NEXT) | instid1(VALU_DEP_1)
	v_fmac_f32_e32 v4, v5, v2
	v_fma_f32 v3, -v1, v4, v3
	v_ashrrev_i32_e32 v1, 31, v0
	s_delay_alu instid0(VALU_DEP_2) | instskip(NEXT) | instid1(VALU_DEP_2)
	v_div_fmas_f32 v2, v3, v2, v4
	v_lshlrev_b64 v[0:1], 2, v[0:1]
	s_delay_alu instid0(VALU_DEP_2) | instskip(NEXT) | instid1(VALU_DEP_2)
	v_div_fixup_f32 v2, v2, v14, 1.0
	v_add_co_u32 v0, vcc_lo, s12, v0
	s_delay_alu instid0(VALU_DEP_3)
	v_add_co_ci_u32_e32 v1, vcc_lo, s13, v1, vcc_lo
.LBB63_21:                              ; =>This Inner Loop Header: Depth=1
	global_load_b32 v3, v[0:1], off
	s_add_i32 s8, s8, -1
	s_delay_alu instid0(SALU_CYCLE_1)
	s_cmp_lg_u32 s8, 0
	s_waitcnt vmcnt(0)
	v_mul_f32_e32 v3, v2, v3
	global_store_b32 v[0:1], v3, off
	v_add_co_u32 v0, vcc_lo, v0, 4
	v_add_co_ci_u32_e32 v1, vcc_lo, 0, v1, vcc_lo
	s_cbranch_scc1 .LBB63_21
.LBB63_22:
	s_nop 0
	s_sendmsg sendmsg(MSG_DEALLOC_VGPRS)
	s_endpgm
	.section	.rodata,"a",@progbits
	.p2align	6, 0x0
	.amdhsa_kernel _ZN4vllm3moe17topkGatingSoftmaxIfLi8ELi64ELi8ELi32ELb1ELi1ELNS0_23SharedExpertScoringFuncE1EEEvPKT_PKbPfiPiS9_iiiiii
		.amdhsa_group_segment_fixed_size 0
		.amdhsa_private_segment_fixed_size 0
		.amdhsa_kernarg_size 72
		.amdhsa_user_sgpr_count 15
		.amdhsa_user_sgpr_dispatch_ptr 0
		.amdhsa_user_sgpr_queue_ptr 0
		.amdhsa_user_sgpr_kernarg_segment_ptr 1
		.amdhsa_user_sgpr_dispatch_id 0
		.amdhsa_user_sgpr_private_segment_size 0
		.amdhsa_wavefront_size32 1
		.amdhsa_uses_dynamic_stack 0
		.amdhsa_enable_private_segment 0
		.amdhsa_system_sgpr_workgroup_id_x 1
		.amdhsa_system_sgpr_workgroup_id_y 0
		.amdhsa_system_sgpr_workgroup_id_z 0
		.amdhsa_system_sgpr_workgroup_info 0
		.amdhsa_system_vgpr_workitem_id 1
		.amdhsa_next_free_vgpr 37
		.amdhsa_next_free_sgpr 19
		.amdhsa_reserve_vcc 1
		.amdhsa_float_round_mode_32 0
		.amdhsa_float_round_mode_16_64 0
		.amdhsa_float_denorm_mode_32 3
		.amdhsa_float_denorm_mode_16_64 3
		.amdhsa_dx10_clamp 1
		.amdhsa_ieee_mode 1
		.amdhsa_fp16_overflow 0
		.amdhsa_workgroup_processor_mode 1
		.amdhsa_memory_ordered 1
		.amdhsa_forward_progress 0
		.amdhsa_shared_vgpr_count 0
		.amdhsa_exception_fp_ieee_invalid_op 0
		.amdhsa_exception_fp_denorm_src 0
		.amdhsa_exception_fp_ieee_div_zero 0
		.amdhsa_exception_fp_ieee_overflow 0
		.amdhsa_exception_fp_ieee_underflow 0
		.amdhsa_exception_fp_ieee_inexact 0
		.amdhsa_exception_int_div_zero 0
	.end_amdhsa_kernel
	.section	.text._ZN4vllm3moe17topkGatingSoftmaxIfLi8ELi64ELi8ELi32ELb1ELi1ELNS0_23SharedExpertScoringFuncE1EEEvPKT_PKbPfiPiS9_iiiiii,"axG",@progbits,_ZN4vllm3moe17topkGatingSoftmaxIfLi8ELi64ELi8ELi32ELb1ELi1ELNS0_23SharedExpertScoringFuncE1EEEvPKT_PKbPfiPiS9_iiiiii,comdat
.Lfunc_end63:
	.size	_ZN4vllm3moe17topkGatingSoftmaxIfLi8ELi64ELi8ELi32ELb1ELi1ELNS0_23SharedExpertScoringFuncE1EEEvPKT_PKbPfiPiS9_iiiiii, .Lfunc_end63-_ZN4vllm3moe17topkGatingSoftmaxIfLi8ELi64ELi8ELi32ELb1ELi1ELNS0_23SharedExpertScoringFuncE1EEEvPKT_PKbPfiPiS9_iiiiii
                                        ; -- End function
	.section	.AMDGPU.csdata,"",@progbits
; Kernel info:
; codeLenInByte = 2504
; NumSgprs: 21
; NumVgprs: 37
; ScratchSize: 0
; MemoryBound: 0
; FloatMode: 240
; IeeeMode: 1
; LDSByteSize: 0 bytes/workgroup (compile time only)
; SGPRBlocks: 2
; VGPRBlocks: 4
; NumSGPRsForWavesPerEU: 21
; NumVGPRsForWavesPerEU: 37
; Occupancy: 16
; WaveLimiterHint : 0
; COMPUTE_PGM_RSRC2:SCRATCH_EN: 0
; COMPUTE_PGM_RSRC2:USER_SGPR: 15
; COMPUTE_PGM_RSRC2:TRAP_HANDLER: 0
; COMPUTE_PGM_RSRC2:TGID_X_EN: 1
; COMPUTE_PGM_RSRC2:TGID_Y_EN: 0
; COMPUTE_PGM_RSRC2:TGID_Z_EN: 0
; COMPUTE_PGM_RSRC2:TIDIG_COMP_CNT: 1
	.section	.text._ZN4vllm3moe17topkGatingSoftmaxIfLi8ELi64ELi8ELi32ELb0ELi1ELNS0_23SharedExpertScoringFuncE1EEEvPKT_PKbPfiPiS9_iiiiii,"axG",@progbits,_ZN4vllm3moe17topkGatingSoftmaxIfLi8ELi64ELi8ELi32ELb0ELi1ELNS0_23SharedExpertScoringFuncE1EEEvPKT_PKbPfiPiS9_iiiiii,comdat
	.protected	_ZN4vllm3moe17topkGatingSoftmaxIfLi8ELi64ELi8ELi32ELb0ELi1ELNS0_23SharedExpertScoringFuncE1EEEvPKT_PKbPfiPiS9_iiiiii ; -- Begin function _ZN4vllm3moe17topkGatingSoftmaxIfLi8ELi64ELi8ELi32ELb0ELi1ELNS0_23SharedExpertScoringFuncE1EEEvPKT_PKbPfiPiS9_iiiiii
	.globl	_ZN4vllm3moe17topkGatingSoftmaxIfLi8ELi64ELi8ELi32ELb0ELi1ELNS0_23SharedExpertScoringFuncE1EEEvPKT_PKbPfiPiS9_iiiiii
	.p2align	8
	.type	_ZN4vllm3moe17topkGatingSoftmaxIfLi8ELi64ELi8ELi32ELb0ELi1ELNS0_23SharedExpertScoringFuncE1EEEvPKT_PKbPfiPiS9_iiiiii,@function
_ZN4vllm3moe17topkGatingSoftmaxIfLi8ELi64ELi8ELi32ELb0ELi1ELNS0_23SharedExpertScoringFuncE1EEEvPKT_PKbPfiPiS9_iiiiii: ; @_ZN4vllm3moe17topkGatingSoftmaxIfLi8ELi64ELi8ELi32ELb0ELi1ELNS0_23SharedExpertScoringFuncE1EEEvPKT_PKbPfiPiS9_iiiiii
; %bb.0:
	s_load_b32 s16, s[0:1], 0x18
	v_bfe_u32 v1, v0, 10, 10
	v_and_b32_e32 v0, 0x3ff, v0
	s_lshl_b32 s18, s15, 5
	s_mov_b32 s2, exec_lo
	s_delay_alu instid0(VALU_DEP_2) | instskip(NEXT) | instid1(VALU_DEP_2)
	v_lshlrev_b32_e32 v26, 2, v1
	v_lshrrev_b32_e32 v27, 3, v0
	s_delay_alu instid0(VALU_DEP_1) | instskip(SKIP_1) | instid1(VALU_DEP_1)
	v_add3_u32 v15, s18, v26, v27
	s_waitcnt lgkmcnt(0)
	v_cmpx_gt_i32_e64 s16, v15
	s_cbranch_execz .LBB64_23
; %bb.1:
	s_clause 0x1
	s_load_b128 s[4:7], s[0:1], 0x0
	s_load_b64 s[12:13], s[0:1], 0x10
	s_waitcnt lgkmcnt(0)
	s_cmp_eq_u64 s[6:7], 0
	s_cbranch_scc1 .LBB64_3
; %bb.2:
	v_ashrrev_i32_e32 v2, 31, v15
	v_add_co_u32 v1, vcc_lo, s6, v15
	s_delay_alu instid0(VALU_DEP_2) | instskip(SKIP_3) | instid1(VALU_DEP_1)
	v_add_co_ci_u32_e32 v2, vcc_lo, s7, v2, vcc_lo
	global_load_u8 v1, v[1:2], off
	s_waitcnt vmcnt(0)
	v_and_b32_e32 v1, 1, v1
	v_cmp_eq_u32_e32 vcc_lo, 1, v1
	s_xor_b32 s2, vcc_lo, -1
	s_delay_alu instid0(SALU_CYCLE_1)
	s_or_not1_b32 s17, s2, exec_lo
	s_branch .LBB64_4
.LBB64_3:
	s_mov_b32 s17, -1
.LBB64_4:
	s_clause 0x1
	s_load_b64 s[14:15], s[0:1], 0x40
	s_load_b128 s[8:11], s[0:1], 0x30
	v_dual_mov_b32 v14, 0 :: v_dual_and_b32 v17, 7, v0
	s_delay_alu instid0(VALU_DEP_1) | instskip(SKIP_3) | instid1(VALU_DEP_1)
	v_lshlrev_b32_e32 v18, 3, v17
	v_cmp_eq_u32_e64 s2, 0, v17
	s_waitcnt lgkmcnt(0)
	v_mul_lo_u32 v1, v15, s15
	v_ashrrev_i32_e32 v2, 31, v1
	s_delay_alu instid0(VALU_DEP_1) | instskip(SKIP_1) | instid1(VALU_DEP_2)
	v_lshlrev_b64 v[0:1], 2, v[1:2]
	v_lshlrev_b32_e32 v2, 5, v17
	v_add_co_u32 v8, vcc_lo, s4, v0
	s_delay_alu instid0(VALU_DEP_3) | instskip(NEXT) | instid1(VALU_DEP_2)
	v_add_co_ci_u32_e32 v9, vcc_lo, s5, v1, vcc_lo
	v_add_co_u32 v4, vcc_lo, v8, v2
	s_delay_alu instid0(VALU_DEP_2)
	v_add_co_ci_u32_e32 v5, vcc_lo, 0, v9, vcc_lo
	s_clause 0x1
	global_load_b128 v[0:3], v[4:5], off offset:16
	global_load_b128 v[4:7], v[4:5], off
	s_and_saveexec_b32 s3, s2
	s_cbranch_execz .LBB64_6
; %bb.5:
	global_load_b32 v8, v[8:9], off offset:256
	s_waitcnt vmcnt(0)
	v_mul_f32_e32 v9, 0xbfb8aa3b, v8
	v_cmp_nlt_f32_e32 vcc_lo, 0x42ce8ed0, v8
	s_delay_alu instid0(VALU_DEP_2) | instskip(SKIP_1) | instid1(VALU_DEP_2)
	v_rndne_f32_e32 v10, v9
	v_fma_f32 v11, 0xbfb8aa3b, v8, -v9
	v_sub_f32_e32 v9, v9, v10
	s_delay_alu instid0(VALU_DEP_2) | instskip(SKIP_1) | instid1(VALU_DEP_2)
	v_fmamk_f32 v11, v8, 0xb2a5705f, v11
	v_cvt_i32_f32_e32 v10, v10
	v_add_f32_e32 v9, v9, v11
	s_delay_alu instid0(VALU_DEP_1) | instskip(SKIP_2) | instid1(VALU_DEP_1)
	v_exp_f32_e32 v9, v9
	s_waitcnt_depctr 0xfff
	v_ldexp_f32 v9, v9, v10
	v_cndmask_b32_e32 v9, 0, v9, vcc_lo
	v_cmp_ngt_f32_e32 vcc_lo, 0xc2b17218, v8
	s_delay_alu instid0(VALU_DEP_2) | instskip(NEXT) | instid1(VALU_DEP_1)
	v_cndmask_b32_e32 v8, 0x7f800000, v9, vcc_lo
	v_add_f32_e32 v10, 1.0, v8
	s_delay_alu instid0(VALU_DEP_1) | instskip(SKIP_1) | instid1(VALU_DEP_2)
	v_div_scale_f32 v11, null, v10, v10, 1.0
	v_div_scale_f32 v13, vcc_lo, 1.0, v10, 1.0
	v_rcp_f32_e32 v12, v11
	s_waitcnt_depctr 0xfff
	v_fma_f32 v8, -v11, v12, 1.0
	s_delay_alu instid0(VALU_DEP_1) | instskip(SKIP_1) | instid1(VALU_DEP_2)
	v_fmac_f32_e32 v12, v8, v12
	v_mad_u64_u32 v[8:9], null, v15, s11, s[8:9]
	v_mul_f32_e32 v16, v13, v12
	s_delay_alu instid0(VALU_DEP_2) | instskip(NEXT) | instid1(VALU_DEP_2)
	v_ashrrev_i32_e32 v9, 31, v8
	v_fma_f32 v19, -v11, v16, v13
	s_delay_alu instid0(VALU_DEP_2) | instskip(NEXT) | instid1(VALU_DEP_2)
	v_lshlrev_b64 v[8:9], 2, v[8:9]
	v_fmac_f32_e32 v16, v19, v12
	s_delay_alu instid0(VALU_DEP_1) | instskip(NEXT) | instid1(VALU_DEP_1)
	v_fma_f32 v11, -v11, v16, v13
	v_div_fmas_f32 v11, v11, v12, v16
	s_delay_alu instid0(VALU_DEP_4) | instskip(SKIP_1) | instid1(VALU_DEP_3)
	v_add_co_u32 v8, vcc_lo, s12, v8
	v_add_co_ci_u32_e32 v9, vcc_lo, s13, v9, vcc_lo
	v_div_fixup_f32 v10, v11, v10, 1.0
	global_store_b32 v[8:9], v10, off
.LBB64_6:
	s_or_b32 exec_lo, exec_lo, s3
	v_or_b32_e32 v19, 1, v18
	s_waitcnt vmcnt(0)
	v_cmp_lt_f32_e32 vcc_lo, v4, v5
	v_or_b32_e32 v20, 2, v18
	v_or_b32_e32 v21, 3, v18
	;; [unrolled: 1-line block ×4, first 2 shown]
	v_dual_cndmask_b32 v8, v18, v19 :: v_dual_cndmask_b32 v9, v4, v5
	v_or_b32_e32 v24, 6, v18
	v_or_b32_e32 v25, 7, v18
	s_delay_alu instid0(VALU_DEP_3) | instskip(NEXT) | instid1(VALU_DEP_4)
	v_cmp_lt_f32_e32 vcc_lo, v9, v6
	v_dual_cndmask_b32 v8, v8, v20 :: v_dual_cndmask_b32 v9, v9, v6
	s_delay_alu instid0(VALU_DEP_1) | instskip(NEXT) | instid1(VALU_DEP_2)
	v_cmp_lt_f32_e32 vcc_lo, v9, v7
	v_dual_cndmask_b32 v8, v8, v21 :: v_dual_cndmask_b32 v9, v9, v7
	s_delay_alu instid0(VALU_DEP_1) | instskip(NEXT) | instid1(VALU_DEP_2)
	;; [unrolled: 3-line block ×6, first 2 shown]
	v_mov_b32_dpp v11, v8 quad_perm:[1,0,3,2] row_mask:0xf bank_mask:0xf
	v_mov_b32_dpp v10, v9 quad_perm:[1,0,3,2] row_mask:0xf bank_mask:0xf
	s_delay_alu instid0(VALU_DEP_2) | instskip(NEXT) | instid1(VALU_DEP_2)
	v_cmp_lt_i32_e64 s3, v11, v8
	v_cmp_eq_f32_e32 vcc_lo, v9, v10
	v_cmp_lt_f32_e64 s4, v9, v10
	s_delay_alu instid0(VALU_DEP_3)
	s_and_b32 s3, vcc_lo, s3
	s_delay_alu instid0(VALU_DEP_1) | instid1(SALU_CYCLE_1)
	s_or_b32 vcc_lo, s4, s3
	v_dual_cndmask_b32 v9, v9, v10 :: v_dual_cndmask_b32 v8, v8, v11
	s_delay_alu instid0(VALU_DEP_1) | instskip(NEXT) | instid1(VALU_DEP_2)
	v_mov_b32_dpp v10, v9 quad_perm:[2,3,0,1] row_mask:0xf bank_mask:0xf
	v_mov_b32_dpp v11, v8 quad_perm:[2,3,0,1] row_mask:0xf bank_mask:0xf
	s_delay_alu instid0(VALU_DEP_2) | instskip(NEXT) | instid1(VALU_DEP_2)
	v_cmp_eq_f32_e32 vcc_lo, v9, v10
	v_cmp_lt_i32_e64 s3, v11, v8
	v_cmp_lt_f32_e64 s4, v9, v10
	s_delay_alu instid0(VALU_DEP_2)
	s_and_b32 s3, vcc_lo, s3
	s_delay_alu instid0(VALU_DEP_1) | instid1(SALU_CYCLE_1)
	s_or_b32 vcc_lo, s4, s3
	v_dual_cndmask_b32 v9, v9, v10 :: v_dual_cndmask_b32 v8, v8, v11
	s_delay_alu instid0(VALU_DEP_1) | instskip(NEXT) | instid1(VALU_DEP_2)
	v_mov_b32_dpp v11, v9 row_half_mirror row_mask:0xf bank_mask:0xf
	v_mov_b32_dpp v10, v8 row_half_mirror row_mask:0xf bank_mask:0xf
	s_delay_alu instid0(VALU_DEP_2) | instskip(NEXT) | instid1(VALU_DEP_2)
	v_cmp_eq_f32_e32 vcc_lo, v9, v11
	v_cmp_lt_i32_e64 s3, v10, v8
	v_cmp_lt_f32_e64 s4, v9, v11
	s_delay_alu instid0(VALU_DEP_2)
	s_and_b32 s3, vcc_lo, s3
	s_delay_alu instid0(VALU_DEP_1) | instid1(SALU_CYCLE_1)
	s_or_b32 s3, s4, s3
	s_cmp_gt_i32 s8, 0
	v_cndmask_b32_e64 v16, v9, v11, s3
	s_cselect_b32 s15, -1, 0
	s_delay_alu instid0(SALU_CYCLE_1)
	s_and_b32 vcc_lo, exec_lo, s15
	s_cbranch_vccz .LBB64_18
; %bb.7:
	s_load_b128 s[4:7], s[0:1], 0x20
	v_mul_lo_u32 v9, v15, s11
	v_mul_lo_u32 v11, v15, s14
	v_mul_lo_u32 v13, v15, s8
	v_cndmask_b32_e64 v8, v8, v10, s3
	v_mov_b32_e32 v14, 0
	s_and_saveexec_b32 s1, s2
	s_cbranch_execz .LBB64_9
; %bb.8:
	v_sub_f32_e32 v34, v16, v16
	v_cmp_le_i32_e32 vcc_lo, s9, v8
	v_cmp_gt_i32_e64 s0, s10, v8
	v_subrev_nc_u32_e32 v35, s9, v8
	v_ashrrev_i32_e32 v14, 31, v13
	v_mul_f32_e32 v10, 0x3fb8aa3b, v34
	s_delay_alu instid0(VALU_DEP_4) | instskip(NEXT) | instid1(SALU_CYCLE_1)
	s_and_b32 s0, vcc_lo, s0
	s_and_b32 vcc_lo, s17, s0
	s_delay_alu instid0(VALU_DEP_1) | instskip(SKIP_2) | instid1(VALU_DEP_3)
	v_rndne_f32_e32 v30, v10
	v_fma_f32 v12, 0x3fb8aa3b, v34, -v10
	v_lshlrev_b64 v[32:33], 2, v[13:14]
	v_sub_f32_e32 v10, v10, v30
	s_delay_alu instid0(VALU_DEP_3) | instskip(NEXT) | instid1(VALU_DEP_1)
	v_fmamk_f32 v12, v34, 0x32a5705f, v12
	v_add_f32_e32 v12, v10, v12
	v_ashrrev_i32_e32 v10, 31, v9
	s_delay_alu instid0(VALU_DEP_2) | instskip(NEXT) | instid1(VALU_DEP_1)
	v_exp_f32_e32 v36, v12
	v_lshlrev_b64 v[28:29], 2, v[9:10]
	v_ashrrev_i32_e32 v12, 31, v11
	v_cvt_i32_f32_e32 v10, v30
	s_delay_alu instid0(VALU_DEP_2) | instskip(SKIP_3) | instid1(TRANS32_DEP_1)
	v_lshlrev_b64 v[30:31], 2, v[11:12]
	v_cndmask_b32_e32 v12, 64, v35, vcc_lo
	v_add_co_u32 v28, vcc_lo, s12, v28
	v_add_co_ci_u32_e32 v29, vcc_lo, s13, v29, vcc_lo
	v_ldexp_f32 v10, v36, v10
	v_cmp_ngt_f32_e32 vcc_lo, 0xc2ce8ed0, v34
	s_delay_alu instid0(VALU_DEP_2)
	v_cndmask_b32_e32 v10, 0, v10, vcc_lo
	s_waitcnt lgkmcnt(0)
	v_add_co_u32 v30, vcc_lo, s4, v30
	v_add_co_ci_u32_e32 v31, vcc_lo, s5, v31, vcc_lo
	v_cmp_nlt_f32_e32 vcc_lo, 0x42b17218, v34
	v_cndmask_b32_e32 v14, 0x7f800000, v10, vcc_lo
	v_add_co_u32 v32, vcc_lo, s6, v32
	v_add_co_ci_u32_e32 v33, vcc_lo, s7, v33, vcc_lo
	global_store_b32 v[30:31], v12, off
	global_store_b32 v[28:29], v14, off
	;; [unrolled: 1-line block ×3, first 2 shown]
.LBB64_9:
	s_or_b32 exec_lo, exec_lo, s1
	v_ashrrev_i32_e32 v12, 31, v8
	s_mov_b32 s0, exec_lo
	s_delay_alu instid0(VALU_DEP_1) | instskip(NEXT) | instid1(VALU_DEP_1)
	v_lshrrev_b32_e32 v10, 29, v12
	v_add_nc_u32_e32 v10, v8, v10
	s_delay_alu instid0(VALU_DEP_1) | instskip(NEXT) | instid1(VALU_DEP_1)
	v_ashrrev_i32_e32 v10, 3, v10
	v_lshrrev_b32_e32 v28, 29, v10
	s_delay_alu instid0(VALU_DEP_1) | instskip(NEXT) | instid1(VALU_DEP_1)
	v_add_nc_u32_e32 v28, v10, v28
	v_and_b32_e32 v28, -8, v28
	s_delay_alu instid0(VALU_DEP_1) | instskip(NEXT) | instid1(VALU_DEP_1)
	v_sub_nc_u32_e32 v28, v10, v28
	v_cmpx_eq_u32_e64 v17, v28
	s_cbranch_execz .LBB64_11
; %bb.10:
	v_lshrrev_b32_e32 v12, 26, v12
	v_lshlrev_b32_e32 v10, 3, v10
	s_delay_alu instid0(VALU_DEP_2) | instskip(NEXT) | instid1(VALU_DEP_2)
	v_add_nc_u32_e32 v12, v8, v12
	v_sub_nc_u32_e32 v8, v8, v10
	s_delay_alu instid0(VALU_DEP_2) | instskip(NEXT) | instid1(VALU_DEP_1)
	v_ashrrev_i32_e32 v10, 6, v12
	v_lshl_add_u32 v8, v10, 3, v8
	s_delay_alu instid0(VALU_DEP_1)
	v_cmp_ne_u32_e32 vcc_lo, 7, v8
	v_cndmask_b32_e32 v3, 0xff800000, v3, vcc_lo
	v_cmp_ne_u32_e32 vcc_lo, 6, v8
	v_cndmask_b32_e32 v2, 0xff800000, v2, vcc_lo
	;; [unrolled: 2-line block ×8, first 2 shown]
.LBB64_11:
	s_or_b32 exec_lo, exec_lo, s0
	s_cmp_eq_u32 s8, 1
	s_cbranch_scc1 .LBB64_18
; %bb.12:
	s_add_i32 s18, s18, s16
	v_add_nc_u32_e32 v8, 1, v13
	v_add3_u32 v26, s18, v27, v26
	v_add_nc_u32_e32 v10, 1, v11
	v_add_nc_u32_e32 v12, 1, v9
	s_add_i32 s3, s8, -1
	s_branch .LBB64_14
.LBB64_13:                              ;   in Loop: Header=BB64_14 Depth=1
	s_or_b32 exec_lo, exec_lo, s0
	v_add_nc_u32_e32 v26, s16, v26
	v_add_nc_u32_e32 v8, 1, v8
	;; [unrolled: 1-line block ×4, first 2 shown]
	s_add_i32 s3, s3, -1
	s_delay_alu instid0(SALU_CYCLE_1)
	s_cmp_eq_u32 s3, 0
	s_cbranch_scc1 .LBB64_18
.LBB64_14:                              ; =>This Inner Loop Header: Depth=1
	v_cmp_gt_f32_e32 vcc_lo, v5, v4
	v_cndmask_b32_e32 v11, v4, v5, vcc_lo
	v_cndmask_b32_e32 v9, v18, v19, vcc_lo
	s_delay_alu instid0(VALU_DEP_2) | instskip(SKIP_1) | instid1(VALU_DEP_3)
	v_cmp_gt_f32_e32 vcc_lo, v6, v11
	v_cndmask_b32_e32 v11, v11, v6, vcc_lo
	v_cndmask_b32_e32 v9, v9, v20, vcc_lo
	s_delay_alu instid0(VALU_DEP_2) | instskip(SKIP_1) | instid1(VALU_DEP_3)
	;; [unrolled: 4-line block ×5, first 2 shown]
	v_cmp_gt_f32_e32 vcc_lo, v2, v11
	v_cndmask_b32_e32 v11, v11, v2, vcc_lo
	v_cndmask_b32_e32 v9, v9, v24, vcc_lo
	s_delay_alu instid0(VALU_DEP_2) | instskip(NEXT) | instid1(VALU_DEP_2)
	v_cmp_gt_f32_e32 vcc_lo, v3, v11
	v_cndmask_b32_e32 v9, v9, v25, vcc_lo
	v_cndmask_b32_e32 v11, v11, v3, vcc_lo
	s_delay_alu instid0(VALU_DEP_2) | instskip(NEXT) | instid1(VALU_DEP_2)
	v_mov_b32_dpp v13, v9 quad_perm:[1,0,3,2] row_mask:0xf bank_mask:0xf
	v_mov_b32_dpp v27, v11 quad_perm:[1,0,3,2] row_mask:0xf bank_mask:0xf
	s_delay_alu instid0(VALU_DEP_2) | instskip(NEXT) | instid1(VALU_DEP_2)
	v_cmp_lt_i32_e32 vcc_lo, v13, v9
	v_cmp_eq_f32_e64 s0, v11, v27
	v_cmp_lt_f32_e64 s1, v11, v27
	s_delay_alu instid0(VALU_DEP_2)
	s_and_b32 s0, s0, vcc_lo
	s_delay_alu instid0(VALU_DEP_1) | instid1(SALU_CYCLE_1)
	s_or_b32 vcc_lo, s1, s0
	v_cndmask_b32_e32 v11, v11, v27, vcc_lo
	v_cndmask_b32_e32 v13, v9, v13, vcc_lo
	s_delay_alu instid0(VALU_DEP_2) | instskip(NEXT) | instid1(VALU_DEP_2)
	v_mov_b32_dpp v9, v11 quad_perm:[2,3,0,1] row_mask:0xf bank_mask:0xf
	v_mov_b32_dpp v27, v13 quad_perm:[2,3,0,1] row_mask:0xf bank_mask:0xf
	s_delay_alu instid0(VALU_DEP_2) | instskip(NEXT) | instid1(VALU_DEP_2)
	v_cmp_eq_f32_e32 vcc_lo, v11, v9
	v_cmp_lt_i32_e64 s0, v27, v13
	v_cmp_lt_f32_e64 s1, v11, v9
	s_delay_alu instid0(VALU_DEP_2)
	s_and_b32 s0, vcc_lo, s0
	s_delay_alu instid0(VALU_DEP_1) | instid1(SALU_CYCLE_1)
	s_or_b32 vcc_lo, s1, s0
	v_cndmask_b32_e32 v9, v11, v9, vcc_lo
	v_cndmask_b32_e32 v13, v13, v27, vcc_lo
	s_delay_alu instid0(VALU_DEP_2) | instskip(NEXT) | instid1(VALU_DEP_2)
	v_mov_b32_dpp v11, v9 row_half_mirror row_mask:0xf bank_mask:0xf
	v_mov_b32_dpp v27, v13 row_half_mirror row_mask:0xf bank_mask:0xf
	s_delay_alu instid0(VALU_DEP_2) | instskip(NEXT) | instid1(VALU_DEP_2)
	v_cmp_eq_f32_e32 vcc_lo, v9, v11
	v_cmp_lt_i32_e64 s0, v27, v13
	v_cmp_lt_f32_e64 s1, v9, v11
	s_delay_alu instid0(VALU_DEP_2)
	s_and_b32 s0, vcc_lo, s0
	s_delay_alu instid0(VALU_DEP_1) | instid1(SALU_CYCLE_1)
	s_or_b32 vcc_lo, s1, s0
	v_cndmask_b32_e32 v27, v13, v27, vcc_lo
	s_and_saveexec_b32 s1, s2
	s_cbranch_execz .LBB64_16
; %bb.15:                               ;   in Loop: Header=BB64_14 Depth=1
	v_cndmask_b32_e32 v9, v9, v11, vcc_lo
	s_delay_alu instid0(VALU_DEP_2) | instskip(SKIP_3) | instid1(VALU_DEP_3)
	v_cmp_le_i32_e32 vcc_lo, s9, v27
	v_cmp_gt_i32_e64 s0, s10, v27
	v_subrev_nc_u32_e32 v35, s9, v27
	v_ashrrev_i32_e32 v13, 31, v12
	s_and_b32 s0, vcc_lo, s0
	s_delay_alu instid0(SALU_CYCLE_1) | instskip(SKIP_1) | instid1(VALU_DEP_1)
	s_and_b32 vcc_lo, s17, s0
	v_sub_f32_e32 v34, v9, v16
	v_mul_f32_e32 v9, 0x3fb8aa3b, v34
	s_delay_alu instid0(VALU_DEP_1) | instskip(SKIP_1) | instid1(VALU_DEP_2)
	v_fma_f32 v11, 0x3fb8aa3b, v34, -v9
	v_rndne_f32_e32 v28, v9
	v_fmac_f32_e32 v11, 0x32a5705f, v34
	s_delay_alu instid0(VALU_DEP_2) | instskip(SKIP_2) | instid1(VALU_DEP_3)
	v_sub_f32_e32 v9, v9, v28
	v_cvt_i32_f32_e32 v33, v28
	v_lshlrev_b64 v[28:29], 2, v[12:13]
	v_add_f32_e32 v9, v9, v11
	v_ashrrev_i32_e32 v11, 31, v10
	s_delay_alu instid0(VALU_DEP_2) | instskip(SKIP_1) | instid1(VALU_DEP_2)
	v_exp_f32_e32 v32, v9
	v_ashrrev_i32_e32 v9, 31, v8
	v_lshlrev_b64 v[30:31], 2, v[10:11]
	s_waitcnt_depctr 0xfff
	v_ldexp_f32 v11, v32, v33
	v_lshlrev_b64 v[32:33], 2, v[8:9]
	v_cndmask_b32_e32 v9, 64, v35, vcc_lo
	v_cmp_ngt_f32_e32 vcc_lo, 0xc2ce8ed0, v34
	s_delay_alu instid0(VALU_DEP_4) | instskip(SKIP_3) | instid1(VALU_DEP_4)
	v_cndmask_b32_e32 v11, 0, v11, vcc_lo
	v_add_co_u32 v28, vcc_lo, s12, v28
	v_add_co_ci_u32_e32 v29, vcc_lo, s13, v29, vcc_lo
	v_cmp_nlt_f32_e32 vcc_lo, 0x42b17218, v34
	v_cndmask_b32_e32 v11, 0x7f800000, v11, vcc_lo
	s_waitcnt lgkmcnt(0)
	v_add_co_u32 v30, vcc_lo, s4, v30
	v_add_co_ci_u32_e32 v31, vcc_lo, s5, v31, vcc_lo
	s_delay_alu instid0(VALU_DEP_3)
	v_add_f32_e32 v14, v14, v11
	v_add_co_u32 v32, vcc_lo, s6, v32
	v_add_co_ci_u32_e32 v33, vcc_lo, s7, v33, vcc_lo
	global_store_b32 v[28:29], v11, off
	global_store_b32 v[30:31], v9, off
	;; [unrolled: 1-line block ×3, first 2 shown]
.LBB64_16:                              ;   in Loop: Header=BB64_14 Depth=1
	s_or_b32 exec_lo, exec_lo, s1
	s_delay_alu instid0(VALU_DEP_1) | instskip(SKIP_1) | instid1(VALU_DEP_1)
	v_ashrrev_i32_e32 v11, 31, v27
	s_mov_b32 s0, exec_lo
	v_lshrrev_b32_e32 v9, 29, v11
	s_delay_alu instid0(VALU_DEP_1) | instskip(NEXT) | instid1(VALU_DEP_1)
	v_add_nc_u32_e32 v9, v27, v9
	v_ashrrev_i32_e32 v9, 3, v9
	s_delay_alu instid0(VALU_DEP_1) | instskip(NEXT) | instid1(VALU_DEP_1)
	v_lshrrev_b32_e32 v13, 29, v9
	v_add_nc_u32_e32 v13, v9, v13
	s_delay_alu instid0(VALU_DEP_1) | instskip(NEXT) | instid1(VALU_DEP_1)
	v_and_b32_e32 v13, -8, v13
	v_sub_nc_u32_e32 v13, v9, v13
	s_delay_alu instid0(VALU_DEP_1)
	v_cmpx_eq_u32_e64 v17, v13
	s_cbranch_execz .LBB64_13
; %bb.17:                               ;   in Loop: Header=BB64_14 Depth=1
	v_lshrrev_b32_e32 v11, 26, v11
	v_lshlrev_b32_e32 v9, 3, v9
	s_delay_alu instid0(VALU_DEP_2) | instskip(NEXT) | instid1(VALU_DEP_2)
	v_add_nc_u32_e32 v11, v27, v11
	v_sub_nc_u32_e32 v9, v27, v9
	s_delay_alu instid0(VALU_DEP_2) | instskip(NEXT) | instid1(VALU_DEP_1)
	v_ashrrev_i32_e32 v11, 6, v11
	v_lshl_add_u32 v9, v11, 3, v9
	s_delay_alu instid0(VALU_DEP_1)
	v_cmp_ne_u32_e32 vcc_lo, 7, v9
	v_cndmask_b32_e32 v3, 0xff800000, v3, vcc_lo
	v_cmp_ne_u32_e32 vcc_lo, 6, v9
	v_cndmask_b32_e32 v2, 0xff800000, v2, vcc_lo
	;; [unrolled: 2-line block ×8, first 2 shown]
	s_branch .LBB64_13
.LBB64_18:
	s_delay_alu instid0(VALU_DEP_1)
	v_sub_f32_e32 v7, v7, v16
	v_sub_f32_e32 v6, v6, v16
	;; [unrolled: 1-line block ×5, first 2 shown]
	v_mul_f32_e32 v11, 0x3fb8aa3b, v7
	v_dual_sub_f32 v5, v5, v16 :: v_dual_mul_f32 v10, 0x3fb8aa3b, v6
	v_sub_f32_e32 v4, v4, v16
	s_delay_alu instid0(VALU_DEP_3) | instskip(NEXT) | instid1(VALU_DEP_3)
	v_rndne_f32_e32 v22, v11
	v_mul_f32_e32 v9, 0x3fb8aa3b, v5
	s_delay_alu instid0(VALU_DEP_4) | instskip(SKIP_2) | instid1(VALU_DEP_4)
	v_fma_f32 v19, 0x3fb8aa3b, v6, -v10
	v_rndne_f32_e32 v20, v10
	v_cmp_ngt_f32_e32 vcc_lo, 0xc2ce8ed0, v4
	v_rndne_f32_e32 v18, v9
	v_mul_f32_e32 v8, 0x3fb8aa3b, v4
	v_fma_f32 v17, 0x3fb8aa3b, v5, -v9
	v_dual_fmac_f32 v19, 0x32a5705f, v6 :: v_dual_sub_f32 v10, v10, v20
	s_delay_alu instid0(VALU_DEP_4) | instskip(NEXT) | instid1(VALU_DEP_4)
	v_sub_f32_e32 v9, v9, v18
	v_fma_f32 v12, 0x3fb8aa3b, v4, -v8
	v_rndne_f32_e32 v13, v8
	s_delay_alu instid0(VALU_DEP_4) | instskip(NEXT) | instid1(VALU_DEP_3)
	v_dual_fmac_f32 v17, 0x32a5705f, v5 :: v_dual_add_f32 v10, v10, v19
	v_fmac_f32_e32 v12, 0x32a5705f, v4
	s_delay_alu instid0(VALU_DEP_3) | instskip(NEXT) | instid1(VALU_DEP_3)
	v_sub_f32_e32 v8, v8, v13
	v_add_f32_e32 v9, v9, v17
	v_fma_f32 v21, 0x3fb8aa3b, v7, -v11
	v_sub_f32_e32 v11, v11, v22
	v_exp_f32_e32 v10, v10
	v_add_f32_e32 v8, v8, v12
	v_exp_f32_e32 v9, v9
	v_cvt_i32_f32_e32 v12, v13
	v_cvt_i32_f32_e32 v13, v18
	s_delay_alu instid0(VALU_DEP_3)
	v_exp_f32_e32 v8, v8
	s_waitcnt_depctr 0xfff
	v_ldexp_f32 v9, v9, v13
	v_mul_f32_e32 v13, 0x3fb8aa3b, v3
	v_ldexp_f32 v8, v8, v12
	v_fmac_f32_e32 v21, 0x32a5705f, v7
	v_cvt_i32_f32_e32 v12, v20
	s_delay_alu instid0(VALU_DEP_3) | instskip(SKIP_1) | instid1(VALU_DEP_3)
	v_cndmask_b32_e32 v8, 0, v8, vcc_lo
	v_cmp_ngt_f32_e32 vcc_lo, 0xc2ce8ed0, v5
	v_ldexp_f32 v10, v10, v12
	v_cndmask_b32_e32 v9, 0, v9, vcc_lo
	v_cmp_nlt_f32_e32 vcc_lo, 0x42b17218, v4
	v_dual_add_f32 v11, v11, v21 :: v_dual_cndmask_b32 v4, 0x7f800000, v8
	v_cmp_nlt_f32_e32 vcc_lo, 0x42b17218, v5
	s_delay_alu instid0(VALU_DEP_2)
	v_exp_f32_e32 v11, v11
	v_cndmask_b32_e32 v5, 0x7f800000, v9, vcc_lo
	v_cmp_ngt_f32_e32 vcc_lo, 0xc2ce8ed0, v6
	v_cvt_i32_f32_e32 v9, v22
	v_cndmask_b32_e32 v8, 0, v10, vcc_lo
	v_cmp_nlt_f32_e32 vcc_lo, 0x42b17218, v6
	v_add_f32_e32 v4, v4, v5
	v_mul_f32_e32 v6, 0x3fb8aa3b, v0
	s_delay_alu instid0(VALU_DEP_4) | instskip(NEXT) | instid1(TRANS32_DEP_1)
	v_cndmask_b32_e32 v5, 0x7f800000, v8, vcc_lo
	v_ldexp_f32 v8, v11, v9
	s_delay_alu instid0(VALU_DEP_3) | instskip(SKIP_1) | instid1(VALU_DEP_4)
	v_rndne_f32_e32 v9, v6
	v_cmp_ngt_f32_e32 vcc_lo, 0xc2ce8ed0, v7
	v_add_f32_e32 v4, v4, v5
	v_fma_f32 v5, 0x3fb8aa3b, v0, -v6
	s_delay_alu instid0(VALU_DEP_4) | instskip(SKIP_1) | instid1(VALU_DEP_3)
	v_sub_f32_e32 v6, v6, v9
	v_cvt_i32_f32_e32 v9, v9
	v_fmac_f32_e32 v5, 0x32a5705f, v0
	v_cndmask_b32_e32 v8, 0, v8, vcc_lo
	v_cmp_nlt_f32_e32 vcc_lo, 0x42b17218, v7
	s_delay_alu instid0(VALU_DEP_3) | instskip(NEXT) | instid1(VALU_DEP_3)
	v_add_f32_e32 v5, v6, v5
	v_cndmask_b32_e32 v7, 0x7f800000, v8, vcc_lo
	v_cmp_ngt_f32_e32 vcc_lo, 0xc2ce8ed0, v0
	s_delay_alu instid0(VALU_DEP_3)
	v_exp_f32_e32 v5, v5
	s_waitcnt_depctr 0xfff
	v_ldexp_f32 v5, v5, v9
	v_sub_f32_e32 v2, v2, v16
	v_rndne_f32_e32 v16, v13
	v_mul_f32_e32 v8, 0x3fb8aa3b, v1
	s_delay_alu instid0(VALU_DEP_3) | instskip(NEXT) | instid1(VALU_DEP_3)
	v_dual_cndmask_b32 v5, 0, v5 :: v_dual_mul_f32 v10, 0x3fb8aa3b, v2
	v_sub_f32_e32 v9, v13, v16
	s_delay_alu instid0(VALU_DEP_3) | instskip(SKIP_1) | instid1(VALU_DEP_4)
	v_fma_f32 v6, 0x3fb8aa3b, v1, -v8
	v_cmp_nlt_f32_e32 vcc_lo, 0x42b17218, v0
	v_fma_f32 v11, 0x3fb8aa3b, v2, -v10
	v_add_f32_e32 v4, v4, v7
	v_rndne_f32_e32 v7, v8
	v_fmac_f32_e32 v6, 0x32a5705f, v1
	v_rndne_f32_e32 v12, v10
	v_fmac_f32_e32 v11, 0x32a5705f, v2
	v_cndmask_b32_e32 v0, 0x7f800000, v5, vcc_lo
	v_sub_f32_e32 v8, v8, v7
	v_cvt_i32_f32_e32 v7, v7
	v_cmp_ngt_f32_e32 vcc_lo, 0xc2ce8ed0, v1
	v_cvt_i32_f32_e32 v5, v12
	v_add_f32_e32 v0, v4, v0
	v_add_f32_e32 v6, v8, v6
	s_delay_alu instid0(VALU_DEP_1) | instskip(SKIP_2) | instid1(VALU_DEP_1)
	v_exp_f32_e32 v6, v6
	s_waitcnt_depctr 0xfff
	v_ldexp_f32 v6, v6, v7
	v_cndmask_b32_e32 v6, 0, v6, vcc_lo
	v_cmp_nlt_f32_e32 vcc_lo, 0x42b17218, v1
	v_sub_f32_e32 v8, v10, v12
	v_fma_f32 v10, 0x3fb8aa3b, v3, -v13
	s_delay_alu instid0(VALU_DEP_2) | instskip(NEXT) | instid1(VALU_DEP_2)
	v_dual_cndmask_b32 v1, 0x7f800000, v6 :: v_dual_add_f32 v8, v8, v11
	v_fmac_f32_e32 v10, 0x32a5705f, v3
	v_cmp_ngt_f32_e32 vcc_lo, 0xc2ce8ed0, v2
	s_delay_alu instid0(VALU_DEP_3) | instskip(NEXT) | instid1(VALU_DEP_4)
	v_add_f32_e32 v0, v0, v1
	v_exp_f32_e32 v8, v8
	s_delay_alu instid0(VALU_DEP_3) | instskip(NEXT) | instid1(VALU_DEP_1)
	v_add_f32_e32 v9, v9, v10
	v_exp_f32_e32 v7, v9
	s_waitcnt_depctr 0xfff
	v_ldexp_f32 v4, v8, v5
	v_cvt_i32_f32_e32 v5, v16
	s_delay_alu instid0(VALU_DEP_2) | instskip(SKIP_1) | instid1(VALU_DEP_3)
	v_cndmask_b32_e32 v4, 0, v4, vcc_lo
	v_cmp_nlt_f32_e32 vcc_lo, 0x42b17218, v2
	v_ldexp_f32 v5, v7, v5
	s_delay_alu instid0(VALU_DEP_3) | instskip(SKIP_1) | instid1(VALU_DEP_2)
	v_cndmask_b32_e32 v1, 0x7f800000, v4, vcc_lo
	v_cmp_ngt_f32_e32 vcc_lo, 0xc2ce8ed0, v3
	v_add_f32_e32 v0, v0, v1
	s_delay_alu instid0(VALU_DEP_4) | instskip(SKIP_1) | instid1(VALU_DEP_2)
	v_cndmask_b32_e32 v2, 0, v5, vcc_lo
	v_cmp_nlt_f32_e32 vcc_lo, 0x42b17218, v3
	v_cndmask_b32_e32 v1, 0x7f800000, v2, vcc_lo
	s_delay_alu instid0(VALU_DEP_1) | instskip(NEXT) | instid1(VALU_DEP_1)
	v_add_f32_e32 v0, v0, v1
	v_mov_b32_dpp v1, v0 quad_perm:[1,0,3,2] row_mask:0xf bank_mask:0xf
	s_delay_alu instid0(VALU_DEP_1) | instskip(NEXT) | instid1(VALU_DEP_1)
	v_add_f32_e32 v0, v0, v1
	v_mov_b32_dpp v1, v0 quad_perm:[2,3,0,1] row_mask:0xf bank_mask:0xf
	s_delay_alu instid0(VALU_DEP_1) | instskip(NEXT) | instid1(VALU_DEP_1)
	v_add_f32_e32 v0, v0, v1
	v_mov_b32_dpp v1, v0 row_half_mirror row_mask:0xf bank_mask:0xf
	s_and_b32 exec_lo, exec_lo, s2
	s_cbranch_execz .LBB64_23
; %bb.19:
	s_delay_alu instid0(VALU_DEP_1) | instskip(NEXT) | instid1(VALU_DEP_1)
	v_add_f32_e32 v0, v0, v1
	v_add_f32_e32 v0, v14, v0
	s_delay_alu instid0(VALU_DEP_1)
	v_cmp_neq_f32_e32 vcc_lo, 0, v0
	s_and_b32 exec_lo, exec_lo, vcc_lo
	s_cbranch_execz .LBB64_23
; %bb.20:
	s_and_not1_b32 vcc_lo, exec_lo, s15
	s_cbranch_vccnz .LBB64_23
; %bb.21:
	v_div_scale_f32 v2, null, v0, v0, 1.0
	v_div_scale_f32 v4, vcc_lo, 1.0, v0, 1.0
	s_delay_alu instid0(VALU_DEP_2) | instskip(SKIP_2) | instid1(VALU_DEP_1)
	v_rcp_f32_e32 v3, v2
	s_waitcnt_depctr 0xfff
	v_fma_f32 v1, -v2, v3, 1.0
	v_fmac_f32_e32 v3, v1, v3
	v_mul_lo_u32 v1, v15, s11
	s_delay_alu instid0(VALU_DEP_2) | instskip(NEXT) | instid1(VALU_DEP_1)
	v_mul_f32_e32 v5, v4, v3
	v_fma_f32 v6, -v2, v5, v4
	s_delay_alu instid0(VALU_DEP_1) | instskip(NEXT) | instid1(VALU_DEP_1)
	v_fmac_f32_e32 v5, v6, v3
	v_fma_f32 v4, -v2, v5, v4
	v_ashrrev_i32_e32 v2, 31, v1
	s_delay_alu instid0(VALU_DEP_2) | instskip(NEXT) | instid1(VALU_DEP_2)
	v_div_fmas_f32 v5, v4, v3, v5
	v_lshlrev_b64 v[3:4], 2, v[1:2]
	s_delay_alu instid0(VALU_DEP_2) | instskip(NEXT) | instid1(VALU_DEP_2)
	v_div_fixup_f32 v2, v5, v0, 1.0
	v_add_co_u32 v0, vcc_lo, s12, v3
	s_delay_alu instid0(VALU_DEP_3)
	v_add_co_ci_u32_e32 v1, vcc_lo, s13, v4, vcc_lo
.LBB64_22:                              ; =>This Inner Loop Header: Depth=1
	global_load_b32 v3, v[0:1], off
	s_add_i32 s8, s8, -1
	s_delay_alu instid0(SALU_CYCLE_1)
	s_cmp_lg_u32 s8, 0
	s_waitcnt vmcnt(0)
	v_mul_f32_e32 v3, v2, v3
	global_store_b32 v[0:1], v3, off
	v_add_co_u32 v0, vcc_lo, v0, 4
	v_add_co_ci_u32_e32 v1, vcc_lo, 0, v1, vcc_lo
	s_cbranch_scc1 .LBB64_22
.LBB64_23:
	s_nop 0
	s_sendmsg sendmsg(MSG_DEALLOC_VGPRS)
	s_endpgm
	.section	.rodata,"a",@progbits
	.p2align	6, 0x0
	.amdhsa_kernel _ZN4vllm3moe17topkGatingSoftmaxIfLi8ELi64ELi8ELi32ELb0ELi1ELNS0_23SharedExpertScoringFuncE1EEEvPKT_PKbPfiPiS9_iiiiii
		.amdhsa_group_segment_fixed_size 0
		.amdhsa_private_segment_fixed_size 0
		.amdhsa_kernarg_size 72
		.amdhsa_user_sgpr_count 15
		.amdhsa_user_sgpr_dispatch_ptr 0
		.amdhsa_user_sgpr_queue_ptr 0
		.amdhsa_user_sgpr_kernarg_segment_ptr 1
		.amdhsa_user_sgpr_dispatch_id 0
		.amdhsa_user_sgpr_private_segment_size 0
		.amdhsa_wavefront_size32 1
		.amdhsa_uses_dynamic_stack 0
		.amdhsa_enable_private_segment 0
		.amdhsa_system_sgpr_workgroup_id_x 1
		.amdhsa_system_sgpr_workgroup_id_y 0
		.amdhsa_system_sgpr_workgroup_id_z 0
		.amdhsa_system_sgpr_workgroup_info 0
		.amdhsa_system_vgpr_workitem_id 1
		.amdhsa_next_free_vgpr 37
		.amdhsa_next_free_sgpr 19
		.amdhsa_reserve_vcc 1
		.amdhsa_float_round_mode_32 0
		.amdhsa_float_round_mode_16_64 0
		.amdhsa_float_denorm_mode_32 3
		.amdhsa_float_denorm_mode_16_64 3
		.amdhsa_dx10_clamp 1
		.amdhsa_ieee_mode 1
		.amdhsa_fp16_overflow 0
		.amdhsa_workgroup_processor_mode 1
		.amdhsa_memory_ordered 1
		.amdhsa_forward_progress 0
		.amdhsa_shared_vgpr_count 0
		.amdhsa_exception_fp_ieee_invalid_op 0
		.amdhsa_exception_fp_denorm_src 0
		.amdhsa_exception_fp_ieee_div_zero 0
		.amdhsa_exception_fp_ieee_overflow 0
		.amdhsa_exception_fp_ieee_underflow 0
		.amdhsa_exception_fp_ieee_inexact 0
		.amdhsa_exception_int_div_zero 0
	.end_amdhsa_kernel
	.section	.text._ZN4vllm3moe17topkGatingSoftmaxIfLi8ELi64ELi8ELi32ELb0ELi1ELNS0_23SharedExpertScoringFuncE1EEEvPKT_PKbPfiPiS9_iiiiii,"axG",@progbits,_ZN4vllm3moe17topkGatingSoftmaxIfLi8ELi64ELi8ELi32ELb0ELi1ELNS0_23SharedExpertScoringFuncE1EEEvPKT_PKbPfiPiS9_iiiiii,comdat
.Lfunc_end64:
	.size	_ZN4vllm3moe17topkGatingSoftmaxIfLi8ELi64ELi8ELi32ELb0ELi1ELNS0_23SharedExpertScoringFuncE1EEEvPKT_PKbPfiPiS9_iiiiii, .Lfunc_end64-_ZN4vllm3moe17topkGatingSoftmaxIfLi8ELi64ELi8ELi32ELb0ELi1ELNS0_23SharedExpertScoringFuncE1EEEvPKT_PKbPfiPiS9_iiiiii
                                        ; -- End function
	.section	.AMDGPU.csdata,"",@progbits
; Kernel info:
; codeLenInByte = 3412
; NumSgprs: 21
; NumVgprs: 37
; ScratchSize: 0
; MemoryBound: 0
; FloatMode: 240
; IeeeMode: 1
; LDSByteSize: 0 bytes/workgroup (compile time only)
; SGPRBlocks: 2
; VGPRBlocks: 4
; NumSGPRsForWavesPerEU: 21
; NumVGPRsForWavesPerEU: 37
; Occupancy: 16
; WaveLimiterHint : 0
; COMPUTE_PGM_RSRC2:SCRATCH_EN: 0
; COMPUTE_PGM_RSRC2:USER_SGPR: 15
; COMPUTE_PGM_RSRC2:TRAP_HANDLER: 0
; COMPUTE_PGM_RSRC2:TGID_X_EN: 1
; COMPUTE_PGM_RSRC2:TGID_Y_EN: 0
; COMPUTE_PGM_RSRC2:TGID_Z_EN: 0
; COMPUTE_PGM_RSRC2:TIDIG_COMP_CNT: 1
	.section	.text._ZN4vllm3moe17topkGatingSoftmaxIfLi8ELi64ELi8ELi32ELb1ELi2ELNS0_23SharedExpertScoringFuncE1EEEvPKT_PKbPfiPiS9_iiiiii,"axG",@progbits,_ZN4vllm3moe17topkGatingSoftmaxIfLi8ELi64ELi8ELi32ELb1ELi2ELNS0_23SharedExpertScoringFuncE1EEEvPKT_PKbPfiPiS9_iiiiii,comdat
	.protected	_ZN4vllm3moe17topkGatingSoftmaxIfLi8ELi64ELi8ELi32ELb1ELi2ELNS0_23SharedExpertScoringFuncE1EEEvPKT_PKbPfiPiS9_iiiiii ; -- Begin function _ZN4vllm3moe17topkGatingSoftmaxIfLi8ELi64ELi8ELi32ELb1ELi2ELNS0_23SharedExpertScoringFuncE1EEEvPKT_PKbPfiPiS9_iiiiii
	.globl	_ZN4vllm3moe17topkGatingSoftmaxIfLi8ELi64ELi8ELi32ELb1ELi2ELNS0_23SharedExpertScoringFuncE1EEEvPKT_PKbPfiPiS9_iiiiii
	.p2align	8
	.type	_ZN4vllm3moe17topkGatingSoftmaxIfLi8ELi64ELi8ELi32ELb1ELi2ELNS0_23SharedExpertScoringFuncE1EEEvPKT_PKbPfiPiS9_iiiiii,@function
_ZN4vllm3moe17topkGatingSoftmaxIfLi8ELi64ELi8ELi32ELb1ELi2ELNS0_23SharedExpertScoringFuncE1EEEvPKT_PKbPfiPiS9_iiiiii: ; @_ZN4vllm3moe17topkGatingSoftmaxIfLi8ELi64ELi8ELi32ELb1ELi2ELNS0_23SharedExpertScoringFuncE1EEEvPKT_PKbPfiPiS9_iiiiii
; %bb.0:
	s_load_b32 s16, s[0:1], 0x18
	v_bfe_u32 v1, v0, 10, 10
	v_and_b32_e32 v0, 0x3ff, v0
	s_lshl_b32 s18, s15, 5
	s_mov_b32 s2, exec_lo
	s_delay_alu instid0(VALU_DEP_2) | instskip(NEXT) | instid1(VALU_DEP_2)
	v_lshlrev_b32_e32 v25, 2, v1
	v_lshrrev_b32_e32 v26, 3, v0
	s_delay_alu instid0(VALU_DEP_1) | instskip(SKIP_1) | instid1(VALU_DEP_1)
	v_add3_u32 v15, s18, v25, v26
	s_waitcnt lgkmcnt(0)
	v_cmpx_gt_i32_e64 s16, v15
	s_cbranch_execz .LBB65_22
; %bb.1:
	s_clause 0x1
	s_load_b128 s[4:7], s[0:1], 0x0
	s_load_b64 s[12:13], s[0:1], 0x10
	s_waitcnt lgkmcnt(0)
	s_cmp_eq_u64 s[6:7], 0
	s_cbranch_scc1 .LBB65_3
; %bb.2:
	v_ashrrev_i32_e32 v2, 31, v15
	v_add_co_u32 v1, vcc_lo, s6, v15
	s_delay_alu instid0(VALU_DEP_2) | instskip(SKIP_3) | instid1(VALU_DEP_1)
	v_add_co_ci_u32_e32 v2, vcc_lo, s7, v2, vcc_lo
	global_load_u8 v1, v[1:2], off
	s_waitcnt vmcnt(0)
	v_and_b32_e32 v1, 1, v1
	v_cmp_eq_u32_e32 vcc_lo, 1, v1
	s_xor_b32 s2, vcc_lo, -1
	s_delay_alu instid0(SALU_CYCLE_1)
	s_or_not1_b32 s17, s2, exec_lo
	s_branch .LBB65_4
.LBB65_3:
	s_mov_b32 s17, -1
.LBB65_4:
	s_load_b64 s[14:15], s[0:1], 0x40
	v_and_b32_e32 v16, 7, v0
	s_mov_b32 s2, exec_lo
	s_delay_alu instid0(VALU_DEP_1) | instskip(SKIP_2) | instid1(VALU_DEP_1)
	v_dual_mov_b32 v14, 0 :: v_dual_lshlrev_b32 v17, 3, v16
	s_waitcnt lgkmcnt(0)
	v_mul_lo_u32 v1, v15, s15
	v_ashrrev_i32_e32 v2, 31, v1
	s_delay_alu instid0(VALU_DEP_1) | instskip(SKIP_1) | instid1(VALU_DEP_2)
	v_lshlrev_b64 v[0:1], 2, v[1:2]
	v_lshlrev_b32_e32 v2, 5, v16
	v_add_co_u32 v8, vcc_lo, s4, v0
	s_delay_alu instid0(VALU_DEP_3) | instskip(SKIP_1) | instid1(VALU_DEP_2)
	v_add_co_ci_u32_e32 v9, vcc_lo, s5, v1, vcc_lo
	s_load_b128 s[4:7], s[0:1], 0x30
	v_add_co_u32 v4, vcc_lo, v8, v2
	s_delay_alu instid0(VALU_DEP_2)
	v_add_co_ci_u32_e32 v5, vcc_lo, 0, v9, vcc_lo
	s_clause 0x1
	global_load_b128 v[0:3], v[4:5], off offset:16
	global_load_b128 v[4:7], v[4:5], off
	v_cmpx_gt_u32_e32 2, v16
	s_cbranch_execz .LBB65_6
; %bb.5:
	v_lshlrev_b32_e32 v10, 2, v16
	s_delay_alu instid0(VALU_DEP_1)
	v_add_co_u32 v8, vcc_lo, v8, v10
	v_add_co_ci_u32_e32 v9, vcc_lo, 0, v9, vcc_lo
	global_load_b32 v8, v[8:9], off offset:256
	s_waitcnt vmcnt(0)
	v_mul_f32_e32 v9, 0xbfb8aa3b, v8
	v_cmp_nlt_f32_e32 vcc_lo, 0x42ce8ed0, v8
	s_delay_alu instid0(VALU_DEP_2) | instskip(SKIP_1) | instid1(VALU_DEP_1)
	v_fma_f32 v10, 0xbfb8aa3b, v8, -v9
	v_rndne_f32_e32 v11, v9
	v_dual_fmamk_f32 v10, v8, 0xb2a5705f, v10 :: v_dual_sub_f32 v9, v9, v11
	s_delay_alu instid0(VALU_DEP_1) | instskip(SKIP_1) | instid1(VALU_DEP_2)
	v_add_f32_e32 v9, v9, v10
	v_cvt_i32_f32_e32 v10, v11
	v_exp_f32_e32 v9, v9
	s_waitcnt_depctr 0xfff
	v_ldexp_f32 v9, v9, v10
	s_delay_alu instid0(VALU_DEP_1) | instskip(SKIP_1) | instid1(VALU_DEP_2)
	v_cndmask_b32_e32 v9, 0, v9, vcc_lo
	v_cmp_ngt_f32_e32 vcc_lo, 0xc2b17218, v8
	v_cndmask_b32_e32 v8, 0x7f800000, v9, vcc_lo
	s_delay_alu instid0(VALU_DEP_1) | instskip(NEXT) | instid1(VALU_DEP_1)
	v_add_f32_e32 v10, 1.0, v8
	v_div_scale_f32 v9, null, v10, v10, 1.0
	v_div_scale_f32 v12, vcc_lo, 1.0, v10, 1.0
	s_delay_alu instid0(VALU_DEP_2) | instskip(SKIP_2) | instid1(VALU_DEP_1)
	v_rcp_f32_e32 v11, v9
	s_waitcnt_depctr 0xfff
	v_fma_f32 v8, -v9, v11, 1.0
	v_fmac_f32_e32 v11, v8, v11
	s_waitcnt lgkmcnt(0)
	v_mul_lo_u32 v8, v15, s7
	s_delay_alu instid0(VALU_DEP_2) | instskip(NEXT) | instid1(VALU_DEP_2)
	v_mul_f32_e32 v13, v12, v11
	v_add3_u32 v8, v8, s4, v16
	s_delay_alu instid0(VALU_DEP_2) | instskip(NEXT) | instid1(VALU_DEP_1)
	v_fma_f32 v18, -v9, v13, v12
	v_fmac_f32_e32 v13, v18, v11
	s_delay_alu instid0(VALU_DEP_1) | instskip(NEXT) | instid1(VALU_DEP_4)
	v_fma_f32 v12, -v9, v13, v12
	v_ashrrev_i32_e32 v9, 31, v8
	s_delay_alu instid0(VALU_DEP_2) | instskip(NEXT) | instid1(VALU_DEP_2)
	v_div_fmas_f32 v11, v12, v11, v13
	v_lshlrev_b64 v[8:9], 2, v[8:9]
	s_delay_alu instid0(VALU_DEP_2) | instskip(NEXT) | instid1(VALU_DEP_2)
	v_div_fixup_f32 v10, v11, v10, 1.0
	v_add_co_u32 v8, vcc_lo, s12, v8
	s_delay_alu instid0(VALU_DEP_3)
	v_add_co_ci_u32_e32 v9, vcc_lo, s13, v9, vcc_lo
	global_store_b32 v[8:9], v10, off
.LBB65_6:
	s_or_b32 exec_lo, exec_lo, s2
	v_or_b32_e32 v18, 1, v17
	s_waitcnt vmcnt(0)
	v_cmp_lt_f32_e32 vcc_lo, v4, v5
	v_or_b32_e32 v19, 2, v17
	v_or_b32_e32 v20, 3, v17
	;; [unrolled: 1-line block ×4, first 2 shown]
	v_dual_cndmask_b32 v8, v17, v18 :: v_dual_cndmask_b32 v9, v4, v5
	v_or_b32_e32 v23, 6, v17
	v_or_b32_e32 v24, 7, v17
	s_delay_alu instid0(VALU_DEP_3) | instskip(NEXT) | instid1(VALU_DEP_4)
	v_cmp_lt_f32_e32 vcc_lo, v9, v6
	v_dual_cndmask_b32 v8, v8, v19 :: v_dual_cndmask_b32 v9, v9, v6
	s_delay_alu instid0(VALU_DEP_1) | instskip(NEXT) | instid1(VALU_DEP_2)
	v_cmp_lt_f32_e32 vcc_lo, v9, v7
	v_dual_cndmask_b32 v8, v8, v20 :: v_dual_cndmask_b32 v9, v9, v7
	s_delay_alu instid0(VALU_DEP_1) | instskip(NEXT) | instid1(VALU_DEP_2)
	;; [unrolled: 3-line block ×6, first 2 shown]
	v_mov_b32_dpp v10, v8 quad_perm:[1,0,3,2] row_mask:0xf bank_mask:0xf
	v_mov_b32_dpp v11, v9 quad_perm:[1,0,3,2] row_mask:0xf bank_mask:0xf
	s_delay_alu instid0(VALU_DEP_2) | instskip(NEXT) | instid1(VALU_DEP_2)
	v_cmp_lt_i32_e32 vcc_lo, v10, v8
	v_cmp_eq_f32_e64 s2, v9, v11
	v_cmp_lt_f32_e64 s3, v9, v11
	s_delay_alu instid0(VALU_DEP_2)
	s_and_b32 s2, s2, vcc_lo
	s_delay_alu instid0(VALU_DEP_1) | instid1(SALU_CYCLE_1)
	s_or_b32 vcc_lo, s3, s2
	v_dual_cndmask_b32 v9, v9, v11 :: v_dual_cndmask_b32 v8, v8, v10
	s_delay_alu instid0(VALU_DEP_1) | instskip(NEXT) | instid1(VALU_DEP_2)
	v_mov_b32_dpp v10, v9 quad_perm:[2,3,0,1] row_mask:0xf bank_mask:0xf
	v_mov_b32_dpp v11, v8 quad_perm:[2,3,0,1] row_mask:0xf bank_mask:0xf
	s_delay_alu instid0(VALU_DEP_2) | instskip(NEXT) | instid1(VALU_DEP_2)
	v_cmp_eq_f32_e32 vcc_lo, v9, v10
	v_cmp_lt_i32_e64 s2, v11, v8
	v_cmp_lt_f32_e64 s3, v9, v10
	s_delay_alu instid0(VALU_DEP_2)
	s_and_b32 s2, vcc_lo, s2
	s_delay_alu instid0(VALU_DEP_1) | instid1(SALU_CYCLE_1)
	s_or_b32 vcc_lo, s3, s2
	s_waitcnt lgkmcnt(0)
	s_cmp_gt_i32 s4, 0
	v_cndmask_b32_e32 v10, v9, v10, vcc_lo
	v_cndmask_b32_e32 v8, v8, v11, vcc_lo
	v_cmp_eq_u32_e32 vcc_lo, 0, v16
	s_cselect_b32 s3, -1, 0
	s_cmp_lt_i32 s4, 1
	v_mov_b32_dpp v12, v10 row_half_mirror row_mask:0xf bank_mask:0xf
	v_mov_b32_dpp v27, v8 row_half_mirror row_mask:0xf bank_mask:0xf
	s_cbranch_scc1 .LBB65_18
; %bb.7:
	s_load_b128 s[8:11], s[0:1], 0x20
	s_delay_alu instid0(VALU_DEP_2) | instskip(NEXT) | instid1(VALU_DEP_2)
	v_cmp_eq_f32_e64 s0, v10, v12
	v_cmp_lt_i32_e64 s1, v27, v8
	v_cmp_lt_f32_e64 s2, v10, v12
	v_mul_lo_u32 v9, v15, s7
	v_mul_lo_u32 v11, v15, s14
	;; [unrolled: 1-line block ×3, first 2 shown]
	s_and_b32 s0, s0, s1
	v_mov_b32_e32 v14, 0
	s_or_b32 s0, s2, s0
	s_delay_alu instid0(SALU_CYCLE_1)
	v_cndmask_b32_e64 v8, v8, v27, s0
	v_cndmask_b32_e64 v27, v10, v12, s0
	s_and_saveexec_b32 s2, vcc_lo
	s_cbranch_execz .LBB65_9
; %bb.8:
	s_delay_alu instid0(VALU_DEP_1)
	v_sub_f32_e32 v34, v27, v27
	v_cmp_le_i32_e64 s0, s5, v8
	v_cmp_gt_i32_e64 s1, s6, v8
	v_subrev_nc_u32_e32 v35, s5, v8
	v_ashrrev_i32_e32 v14, 31, v13
	v_mul_f32_e32 v10, 0x3fb8aa3b, v34
	s_delay_alu instid0(VALU_DEP_4) | instskip(NEXT) | instid1(SALU_CYCLE_1)
	s_and_b32 s0, s0, s1
	s_and_b32 s0, s17, s0
	s_delay_alu instid0(VALU_DEP_1) | instskip(SKIP_2) | instid1(VALU_DEP_3)
	v_rndne_f32_e32 v30, v10
	v_fma_f32 v12, 0x3fb8aa3b, v34, -v10
	v_lshlrev_b64 v[32:33], 2, v[13:14]
	v_sub_f32_e32 v10, v10, v30
	s_delay_alu instid0(VALU_DEP_3) | instskip(NEXT) | instid1(VALU_DEP_1)
	v_fmamk_f32 v12, v34, 0x32a5705f, v12
	v_add_f32_e32 v12, v10, v12
	v_ashrrev_i32_e32 v10, 31, v9
	s_delay_alu instid0(VALU_DEP_2) | instskip(NEXT) | instid1(VALU_DEP_1)
	v_exp_f32_e32 v36, v12
	v_lshlrev_b64 v[28:29], 2, v[9:10]
	v_ashrrev_i32_e32 v12, 31, v11
	v_cvt_i32_f32_e32 v10, v30
	s_delay_alu instid0(VALU_DEP_2) | instskip(SKIP_2) | instid1(VALU_DEP_1)
	v_lshlrev_b64 v[30:31], 2, v[11:12]
	v_cndmask_b32_e64 v12, 64, v35, s0
	v_add_co_u32 v28, s0, s12, v28
	v_add_co_ci_u32_e64 v29, s0, s13, v29, s0
	s_delay_alu instid0(TRANS32_DEP_1) | instskip(SKIP_1) | instid1(VALU_DEP_1)
	v_ldexp_f32 v10, v36, v10
	v_cmp_ngt_f32_e64 s0, 0xc2ce8ed0, v34
	v_cndmask_b32_e64 v10, 0, v10, s0
	s_waitcnt lgkmcnt(0)
	v_add_co_u32 v30, s0, s8, v30
	s_delay_alu instid0(VALU_DEP_1) | instskip(SKIP_1) | instid1(VALU_DEP_1)
	v_add_co_ci_u32_e64 v31, s0, s9, v31, s0
	v_cmp_nlt_f32_e64 s0, 0x42b17218, v34
	v_cndmask_b32_e64 v14, 0x7f800000, v10, s0
	v_add_co_u32 v32, s0, s10, v32
	s_delay_alu instid0(VALU_DEP_1)
	v_add_co_ci_u32_e64 v33, s0, s11, v33, s0
	global_store_b32 v[30:31], v12, off
	global_store_b32 v[28:29], v14, off
	;; [unrolled: 1-line block ×3, first 2 shown]
.LBB65_9:
	s_or_b32 exec_lo, exec_lo, s2
	v_ashrrev_i32_e32 v12, 31, v8
	s_mov_b32 s1, exec_lo
	s_delay_alu instid0(VALU_DEP_1) | instskip(NEXT) | instid1(VALU_DEP_1)
	v_lshrrev_b32_e32 v10, 29, v12
	v_add_nc_u32_e32 v10, v8, v10
	s_delay_alu instid0(VALU_DEP_1) | instskip(NEXT) | instid1(VALU_DEP_1)
	v_ashrrev_i32_e32 v10, 3, v10
	v_lshrrev_b32_e32 v28, 29, v10
	s_delay_alu instid0(VALU_DEP_1) | instskip(NEXT) | instid1(VALU_DEP_1)
	v_add_nc_u32_e32 v28, v10, v28
	v_and_b32_e32 v28, -8, v28
	s_delay_alu instid0(VALU_DEP_1) | instskip(NEXT) | instid1(VALU_DEP_1)
	v_sub_nc_u32_e32 v28, v10, v28
	v_cmpx_eq_u32_e64 v16, v28
	s_cbranch_execz .LBB65_11
; %bb.10:
	v_lshrrev_b32_e32 v12, 26, v12
	v_lshlrev_b32_e32 v10, 3, v10
	s_delay_alu instid0(VALU_DEP_2) | instskip(NEXT) | instid1(VALU_DEP_2)
	v_add_nc_u32_e32 v12, v8, v12
	v_sub_nc_u32_e32 v8, v8, v10
	s_delay_alu instid0(VALU_DEP_2) | instskip(NEXT) | instid1(VALU_DEP_1)
	v_ashrrev_i32_e32 v10, 6, v12
	v_lshl_add_u32 v8, v10, 3, v8
	s_delay_alu instid0(VALU_DEP_1) | instskip(NEXT) | instid1(VALU_DEP_1)
	v_cmp_ne_u32_e64 s0, 7, v8
	v_cndmask_b32_e64 v3, 0xff800000, v3, s0
	v_cmp_ne_u32_e64 s0, 6, v8
	s_delay_alu instid0(VALU_DEP_1) | instskip(SKIP_1) | instid1(VALU_DEP_1)
	v_cndmask_b32_e64 v2, 0xff800000, v2, s0
	v_cmp_ne_u32_e64 s0, 5, v8
	v_cndmask_b32_e64 v1, 0xff800000, v1, s0
	v_cmp_ne_u32_e64 s0, 4, v8
	s_delay_alu instid0(VALU_DEP_1) | instskip(SKIP_1) | instid1(VALU_DEP_1)
	v_cndmask_b32_e64 v0, 0xff800000, v0, s0
	;; [unrolled: 5-line block ×3, first 2 shown]
	v_cmp_ne_u32_e64 s0, 1, v8
	v_cndmask_b32_e64 v5, 0xff800000, v5, s0
	v_cmp_ne_u32_e64 s0, 0, v8
	s_delay_alu instid0(VALU_DEP_1)
	v_cndmask_b32_e64 v4, 0xff800000, v4, s0
.LBB65_11:
	s_or_b32 exec_lo, exec_lo, s1
	s_cmp_eq_u32 s4, 1
	s_cbranch_scc1 .LBB65_18
; %bb.12:
	s_add_i32 s18, s18, s16
	v_add_nc_u32_e32 v8, 1, v13
	v_add3_u32 v25, s18, v26, v25
	v_add_nc_u32_e32 v10, 1, v11
	v_add_nc_u32_e32 v12, 1, v9
	s_add_i32 s14, s4, -1
	s_branch .LBB65_14
.LBB65_13:                              ;   in Loop: Header=BB65_14 Depth=1
	s_or_b32 exec_lo, exec_lo, s1
	v_add_nc_u32_e32 v25, s16, v25
	v_add_nc_u32_e32 v8, 1, v8
	;; [unrolled: 1-line block ×4, first 2 shown]
	s_add_i32 s14, s14, -1
	s_delay_alu instid0(SALU_CYCLE_1)
	s_cmp_eq_u32 s14, 0
	s_cbranch_scc1 .LBB65_18
.LBB65_14:                              ; =>This Inner Loop Header: Depth=1
	v_cmp_gt_f32_e64 s0, v5, v4
	s_delay_alu instid0(VALU_DEP_1) | instskip(SKIP_1) | instid1(VALU_DEP_2)
	v_cndmask_b32_e64 v11, v4, v5, s0
	v_cndmask_b32_e64 v9, v17, v18, s0
	v_cmp_gt_f32_e64 s0, v6, v11
	s_delay_alu instid0(VALU_DEP_1) | instskip(NEXT) | instid1(VALU_DEP_3)
	v_cndmask_b32_e64 v11, v11, v6, s0
	v_cndmask_b32_e64 v9, v9, v19, s0
	s_delay_alu instid0(VALU_DEP_2) | instskip(NEXT) | instid1(VALU_DEP_1)
	v_cmp_gt_f32_e64 s0, v7, v11
	v_cndmask_b32_e64 v11, v11, v7, s0
	s_delay_alu instid0(VALU_DEP_3) | instskip(NEXT) | instid1(VALU_DEP_2)
	v_cndmask_b32_e64 v9, v9, v20, s0
	v_cmp_gt_f32_e64 s0, v0, v11
	s_delay_alu instid0(VALU_DEP_1) | instskip(NEXT) | instid1(VALU_DEP_3)
	v_cndmask_b32_e64 v11, v11, v0, s0
	v_cndmask_b32_e64 v9, v9, v21, s0
	s_delay_alu instid0(VALU_DEP_2) | instskip(NEXT) | instid1(VALU_DEP_1)
	v_cmp_gt_f32_e64 s0, v1, v11
	v_cndmask_b32_e64 v11, v11, v1, s0
	s_delay_alu instid0(VALU_DEP_3) | instskip(NEXT) | instid1(VALU_DEP_2)
	v_cndmask_b32_e64 v9, v9, v22, s0
	v_cmp_gt_f32_e64 s0, v2, v11
	s_delay_alu instid0(VALU_DEP_1) | instskip(NEXT) | instid1(VALU_DEP_3)
	v_cndmask_b32_e64 v11, v11, v2, s0
	v_cndmask_b32_e64 v9, v9, v23, s0
	s_delay_alu instid0(VALU_DEP_2) | instskip(NEXT) | instid1(VALU_DEP_1)
	v_cmp_gt_f32_e64 s0, v3, v11
	v_cndmask_b32_e64 v9, v9, v24, s0
	v_cndmask_b32_e64 v11, v11, v3, s0
	s_delay_alu instid0(VALU_DEP_2) | instskip(NEXT) | instid1(VALU_DEP_2)
	v_mov_b32_dpp v13, v9 quad_perm:[1,0,3,2] row_mask:0xf bank_mask:0xf
	v_mov_b32_dpp v26, v11 quad_perm:[1,0,3,2] row_mask:0xf bank_mask:0xf
	s_delay_alu instid0(VALU_DEP_2) | instskip(NEXT) | instid1(VALU_DEP_2)
	v_cmp_lt_i32_e64 s0, v13, v9
	v_cmp_eq_f32_e64 s1, v11, v26
	v_cmp_lt_f32_e64 s2, v11, v26
	s_delay_alu instid0(VALU_DEP_2)
	s_and_b32 s0, s1, s0
	s_delay_alu instid0(VALU_DEP_1) | instid1(SALU_CYCLE_1)
	s_or_b32 s0, s2, s0
	s_delay_alu instid0(SALU_CYCLE_1) | instskip(SKIP_1) | instid1(VALU_DEP_2)
	v_cndmask_b32_e64 v11, v11, v26, s0
	v_cndmask_b32_e64 v13, v9, v13, s0
	v_mov_b32_dpp v9, v11 quad_perm:[2,3,0,1] row_mask:0xf bank_mask:0xf
	s_delay_alu instid0(VALU_DEP_2) | instskip(NEXT) | instid1(VALU_DEP_2)
	v_mov_b32_dpp v26, v13 quad_perm:[2,3,0,1] row_mask:0xf bank_mask:0xf
	v_cmp_eq_f32_e64 s0, v11, v9
	s_delay_alu instid0(VALU_DEP_2) | instskip(SKIP_1) | instid1(VALU_DEP_2)
	v_cmp_lt_i32_e64 s1, v26, v13
	v_cmp_lt_f32_e64 s2, v11, v9
	s_and_b32 s0, s0, s1
	s_delay_alu instid0(VALU_DEP_1) | instid1(SALU_CYCLE_1)
	s_or_b32 s0, s2, s0
	s_delay_alu instid0(SALU_CYCLE_1) | instskip(SKIP_1) | instid1(VALU_DEP_2)
	v_cndmask_b32_e64 v9, v11, v9, s0
	v_cndmask_b32_e64 v13, v13, v26, s0
	v_mov_b32_dpp v11, v9 row_half_mirror row_mask:0xf bank_mask:0xf
	s_delay_alu instid0(VALU_DEP_2) | instskip(NEXT) | instid1(VALU_DEP_2)
	v_mov_b32_dpp v26, v13 row_half_mirror row_mask:0xf bank_mask:0xf
	v_cmp_eq_f32_e64 s0, v9, v11
	s_delay_alu instid0(VALU_DEP_2) | instskip(SKIP_1) | instid1(VALU_DEP_2)
	v_cmp_lt_i32_e64 s1, v26, v13
	v_cmp_lt_f32_e64 s2, v9, v11
	s_and_b32 s0, s0, s1
	s_delay_alu instid0(VALU_DEP_1) | instid1(SALU_CYCLE_1)
	s_or_b32 s0, s2, s0
	s_delay_alu instid0(SALU_CYCLE_1)
	v_cndmask_b32_e64 v26, v13, v26, s0
	s_and_saveexec_b32 s2, vcc_lo
	s_cbranch_execz .LBB65_16
; %bb.15:                               ;   in Loop: Header=BB65_14 Depth=1
	v_cndmask_b32_e64 v9, v9, v11, s0
	s_delay_alu instid0(VALU_DEP_2) | instskip(SKIP_4) | instid1(VALU_DEP_4)
	v_cmp_le_i32_e64 s0, s5, v26
	v_cmp_gt_i32_e64 s1, s6, v26
	v_ashrrev_i32_e32 v13, 31, v12
	v_subrev_nc_u32_e32 v35, s5, v26
	v_sub_f32_e32 v34, v9, v27
	s_and_b32 s0, s0, s1
	s_delay_alu instid0(SALU_CYCLE_1) | instskip(NEXT) | instid1(VALU_DEP_1)
	s_and_b32 s0, s17, s0
	v_mul_f32_e32 v9, 0x3fb8aa3b, v34
	s_delay_alu instid0(VALU_DEP_1) | instskip(SKIP_1) | instid1(VALU_DEP_2)
	v_fma_f32 v11, 0x3fb8aa3b, v34, -v9
	v_rndne_f32_e32 v28, v9
	v_fmac_f32_e32 v11, 0x32a5705f, v34
	s_delay_alu instid0(VALU_DEP_2) | instskip(SKIP_2) | instid1(VALU_DEP_3)
	v_sub_f32_e32 v9, v9, v28
	v_cvt_i32_f32_e32 v33, v28
	v_lshlrev_b64 v[28:29], 2, v[12:13]
	v_add_f32_e32 v9, v9, v11
	v_ashrrev_i32_e32 v11, 31, v10
	s_delay_alu instid0(VALU_DEP_2) | instskip(SKIP_1) | instid1(VALU_DEP_2)
	v_exp_f32_e32 v32, v9
	v_ashrrev_i32_e32 v9, 31, v8
	v_lshlrev_b64 v[30:31], 2, v[10:11]
	s_waitcnt_depctr 0xfff
	v_ldexp_f32 v11, v32, v33
	v_lshlrev_b64 v[32:33], 2, v[8:9]
	v_cndmask_b32_e64 v9, 64, v35, s0
	v_cmp_ngt_f32_e64 s0, 0xc2ce8ed0, v34
	s_delay_alu instid0(VALU_DEP_1) | instskip(SKIP_1) | instid1(VALU_DEP_1)
	v_cndmask_b32_e64 v11, 0, v11, s0
	v_add_co_u32 v28, s0, s12, v28
	v_add_co_ci_u32_e64 v29, s0, s13, v29, s0
	v_cmp_nlt_f32_e64 s0, 0x42b17218, v34
	s_delay_alu instid0(VALU_DEP_1) | instskip(SKIP_2) | instid1(VALU_DEP_1)
	v_cndmask_b32_e64 v11, 0x7f800000, v11, s0
	s_waitcnt lgkmcnt(0)
	v_add_co_u32 v30, s0, s8, v30
	v_add_co_ci_u32_e64 v31, s0, s9, v31, s0
	s_delay_alu instid0(VALU_DEP_3) | instskip(SKIP_1) | instid1(VALU_DEP_1)
	v_add_f32_e32 v14, v14, v11
	v_add_co_u32 v32, s0, s10, v32
	v_add_co_ci_u32_e64 v33, s0, s11, v33, s0
	global_store_b32 v[28:29], v11, off
	global_store_b32 v[30:31], v9, off
	;; [unrolled: 1-line block ×3, first 2 shown]
.LBB65_16:                              ;   in Loop: Header=BB65_14 Depth=1
	s_or_b32 exec_lo, exec_lo, s2
	s_delay_alu instid0(VALU_DEP_1) | instskip(SKIP_1) | instid1(VALU_DEP_1)
	v_ashrrev_i32_e32 v11, 31, v26
	s_mov_b32 s1, exec_lo
	v_lshrrev_b32_e32 v9, 29, v11
	s_delay_alu instid0(VALU_DEP_1) | instskip(NEXT) | instid1(VALU_DEP_1)
	v_add_nc_u32_e32 v9, v26, v9
	v_ashrrev_i32_e32 v9, 3, v9
	s_delay_alu instid0(VALU_DEP_1) | instskip(NEXT) | instid1(VALU_DEP_1)
	v_lshrrev_b32_e32 v13, 29, v9
	v_add_nc_u32_e32 v13, v9, v13
	s_delay_alu instid0(VALU_DEP_1) | instskip(NEXT) | instid1(VALU_DEP_1)
	v_and_b32_e32 v13, -8, v13
	v_sub_nc_u32_e32 v13, v9, v13
	s_delay_alu instid0(VALU_DEP_1)
	v_cmpx_eq_u32_e64 v16, v13
	s_cbranch_execz .LBB65_13
; %bb.17:                               ;   in Loop: Header=BB65_14 Depth=1
	v_lshrrev_b32_e32 v11, 26, v11
	v_lshlrev_b32_e32 v9, 3, v9
	s_delay_alu instid0(VALU_DEP_2) | instskip(NEXT) | instid1(VALU_DEP_2)
	v_add_nc_u32_e32 v11, v26, v11
	v_sub_nc_u32_e32 v9, v26, v9
	s_delay_alu instid0(VALU_DEP_2) | instskip(NEXT) | instid1(VALU_DEP_1)
	v_ashrrev_i32_e32 v11, 6, v11
	v_lshl_add_u32 v9, v11, 3, v9
	s_delay_alu instid0(VALU_DEP_1) | instskip(NEXT) | instid1(VALU_DEP_1)
	v_cmp_ne_u32_e64 s0, 7, v9
	v_cndmask_b32_e64 v3, 0xff800000, v3, s0
	v_cmp_ne_u32_e64 s0, 6, v9
	s_delay_alu instid0(VALU_DEP_1) | instskip(SKIP_1) | instid1(VALU_DEP_1)
	v_cndmask_b32_e64 v2, 0xff800000, v2, s0
	v_cmp_ne_u32_e64 s0, 5, v9
	v_cndmask_b32_e64 v1, 0xff800000, v1, s0
	v_cmp_ne_u32_e64 s0, 4, v9
	s_delay_alu instid0(VALU_DEP_1) | instskip(SKIP_1) | instid1(VALU_DEP_1)
	v_cndmask_b32_e64 v0, 0xff800000, v0, s0
	;; [unrolled: 5-line block ×3, first 2 shown]
	v_cmp_ne_u32_e64 s0, 1, v9
	v_cndmask_b32_e64 v5, 0xff800000, v5, s0
	v_cmp_ne_u32_e64 s0, 0, v9
	s_delay_alu instid0(VALU_DEP_1)
	v_cndmask_b32_e64 v4, 0xff800000, v4, s0
	s_branch .LBB65_13
.LBB65_18:
	v_cmp_eq_u32_e32 vcc_lo, 0, v16
	v_cmp_neq_f32_e64 s0, 0, v14
	s_delay_alu instid0(VALU_DEP_1) | instskip(NEXT) | instid1(SALU_CYCLE_1)
	s_and_b32 s0, vcc_lo, s0
	s_and_b32 exec_lo, exec_lo, s0
	s_cbranch_execz .LBB65_22
; %bb.19:
	s_and_not1_b32 vcc_lo, exec_lo, s3
	s_cbranch_vccnz .LBB65_22
; %bb.20:
	v_div_scale_f32 v1, null, v14, v14, 1.0
	v_div_scale_f32 v3, vcc_lo, 1.0, v14, 1.0
	s_delay_alu instid0(VALU_DEP_2) | instskip(SKIP_2) | instid1(VALU_DEP_1)
	v_rcp_f32_e32 v2, v1
	s_waitcnt_depctr 0xfff
	v_fma_f32 v0, -v1, v2, 1.0
	v_fmac_f32_e32 v2, v0, v2
	v_mul_lo_u32 v0, v15, s7
	s_delay_alu instid0(VALU_DEP_2) | instskip(NEXT) | instid1(VALU_DEP_1)
	v_mul_f32_e32 v4, v3, v2
	v_fma_f32 v5, -v1, v4, v3
	s_delay_alu instid0(VALU_DEP_1) | instskip(NEXT) | instid1(VALU_DEP_1)
	v_fmac_f32_e32 v4, v5, v2
	v_fma_f32 v3, -v1, v4, v3
	v_ashrrev_i32_e32 v1, 31, v0
	s_delay_alu instid0(VALU_DEP_2) | instskip(NEXT) | instid1(VALU_DEP_2)
	v_div_fmas_f32 v2, v3, v2, v4
	v_lshlrev_b64 v[0:1], 2, v[0:1]
	s_delay_alu instid0(VALU_DEP_2) | instskip(NEXT) | instid1(VALU_DEP_2)
	v_div_fixup_f32 v2, v2, v14, 1.0
	v_add_co_u32 v0, vcc_lo, s12, v0
	s_delay_alu instid0(VALU_DEP_3)
	v_add_co_ci_u32_e32 v1, vcc_lo, s13, v1, vcc_lo
.LBB65_21:                              ; =>This Inner Loop Header: Depth=1
	global_load_b32 v3, v[0:1], off
	s_add_i32 s4, s4, -1
	s_delay_alu instid0(SALU_CYCLE_1)
	s_cmp_lg_u32 s4, 0
	s_waitcnt vmcnt(0)
	v_mul_f32_e32 v3, v2, v3
	global_store_b32 v[0:1], v3, off
	v_add_co_u32 v0, vcc_lo, v0, 4
	v_add_co_ci_u32_e32 v1, vcc_lo, 0, v1, vcc_lo
	s_cbranch_scc1 .LBB65_21
.LBB65_22:
	s_nop 0
	s_sendmsg sendmsg(MSG_DEALLOC_VGPRS)
	s_endpgm
	.section	.rodata,"a",@progbits
	.p2align	6, 0x0
	.amdhsa_kernel _ZN4vllm3moe17topkGatingSoftmaxIfLi8ELi64ELi8ELi32ELb1ELi2ELNS0_23SharedExpertScoringFuncE1EEEvPKT_PKbPfiPiS9_iiiiii
		.amdhsa_group_segment_fixed_size 0
		.amdhsa_private_segment_fixed_size 0
		.amdhsa_kernarg_size 72
		.amdhsa_user_sgpr_count 15
		.amdhsa_user_sgpr_dispatch_ptr 0
		.amdhsa_user_sgpr_queue_ptr 0
		.amdhsa_user_sgpr_kernarg_segment_ptr 1
		.amdhsa_user_sgpr_dispatch_id 0
		.amdhsa_user_sgpr_private_segment_size 0
		.amdhsa_wavefront_size32 1
		.amdhsa_uses_dynamic_stack 0
		.amdhsa_enable_private_segment 0
		.amdhsa_system_sgpr_workgroup_id_x 1
		.amdhsa_system_sgpr_workgroup_id_y 0
		.amdhsa_system_sgpr_workgroup_id_z 0
		.amdhsa_system_sgpr_workgroup_info 0
		.amdhsa_system_vgpr_workitem_id 1
		.amdhsa_next_free_vgpr 37
		.amdhsa_next_free_sgpr 19
		.amdhsa_reserve_vcc 1
		.amdhsa_float_round_mode_32 0
		.amdhsa_float_round_mode_16_64 0
		.amdhsa_float_denorm_mode_32 3
		.amdhsa_float_denorm_mode_16_64 3
		.amdhsa_dx10_clamp 1
		.amdhsa_ieee_mode 1
		.amdhsa_fp16_overflow 0
		.amdhsa_workgroup_processor_mode 1
		.amdhsa_memory_ordered 1
		.amdhsa_forward_progress 0
		.amdhsa_shared_vgpr_count 0
		.amdhsa_exception_fp_ieee_invalid_op 0
		.amdhsa_exception_fp_denorm_src 0
		.amdhsa_exception_fp_ieee_div_zero 0
		.amdhsa_exception_fp_ieee_overflow 0
		.amdhsa_exception_fp_ieee_underflow 0
		.amdhsa_exception_fp_ieee_inexact 0
		.amdhsa_exception_int_div_zero 0
	.end_amdhsa_kernel
	.section	.text._ZN4vllm3moe17topkGatingSoftmaxIfLi8ELi64ELi8ELi32ELb1ELi2ELNS0_23SharedExpertScoringFuncE1EEEvPKT_PKbPfiPiS9_iiiiii,"axG",@progbits,_ZN4vllm3moe17topkGatingSoftmaxIfLi8ELi64ELi8ELi32ELb1ELi2ELNS0_23SharedExpertScoringFuncE1EEEvPKT_PKbPfiPiS9_iiiiii,comdat
.Lfunc_end65:
	.size	_ZN4vllm3moe17topkGatingSoftmaxIfLi8ELi64ELi8ELi32ELb1ELi2ELNS0_23SharedExpertScoringFuncE1EEEvPKT_PKbPfiPiS9_iiiiii, .Lfunc_end65-_ZN4vllm3moe17topkGatingSoftmaxIfLi8ELi64ELi8ELi32ELb1ELi2ELNS0_23SharedExpertScoringFuncE1EEEvPKT_PKbPfiPiS9_iiiiii
                                        ; -- End function
	.section	.AMDGPU.csdata,"",@progbits
; Kernel info:
; codeLenInByte = 2932
; NumSgprs: 21
; NumVgprs: 37
; ScratchSize: 0
; MemoryBound: 0
; FloatMode: 240
; IeeeMode: 1
; LDSByteSize: 0 bytes/workgroup (compile time only)
; SGPRBlocks: 2
; VGPRBlocks: 4
; NumSGPRsForWavesPerEU: 21
; NumVGPRsForWavesPerEU: 37
; Occupancy: 16
; WaveLimiterHint : 0
; COMPUTE_PGM_RSRC2:SCRATCH_EN: 0
; COMPUTE_PGM_RSRC2:USER_SGPR: 15
; COMPUTE_PGM_RSRC2:TRAP_HANDLER: 0
; COMPUTE_PGM_RSRC2:TGID_X_EN: 1
; COMPUTE_PGM_RSRC2:TGID_Y_EN: 0
; COMPUTE_PGM_RSRC2:TGID_Z_EN: 0
; COMPUTE_PGM_RSRC2:TIDIG_COMP_CNT: 1
	.section	.text._ZN4vllm3moe17topkGatingSoftmaxIfLi8ELi64ELi8ELi32ELb0ELi2ELNS0_23SharedExpertScoringFuncE1EEEvPKT_PKbPfiPiS9_iiiiii,"axG",@progbits,_ZN4vllm3moe17topkGatingSoftmaxIfLi8ELi64ELi8ELi32ELb0ELi2ELNS0_23SharedExpertScoringFuncE1EEEvPKT_PKbPfiPiS9_iiiiii,comdat
	.protected	_ZN4vllm3moe17topkGatingSoftmaxIfLi8ELi64ELi8ELi32ELb0ELi2ELNS0_23SharedExpertScoringFuncE1EEEvPKT_PKbPfiPiS9_iiiiii ; -- Begin function _ZN4vllm3moe17topkGatingSoftmaxIfLi8ELi64ELi8ELi32ELb0ELi2ELNS0_23SharedExpertScoringFuncE1EEEvPKT_PKbPfiPiS9_iiiiii
	.globl	_ZN4vllm3moe17topkGatingSoftmaxIfLi8ELi64ELi8ELi32ELb0ELi2ELNS0_23SharedExpertScoringFuncE1EEEvPKT_PKbPfiPiS9_iiiiii
	.p2align	8
	.type	_ZN4vllm3moe17topkGatingSoftmaxIfLi8ELi64ELi8ELi32ELb0ELi2ELNS0_23SharedExpertScoringFuncE1EEEvPKT_PKbPfiPiS9_iiiiii,@function
_ZN4vllm3moe17topkGatingSoftmaxIfLi8ELi64ELi8ELi32ELb0ELi2ELNS0_23SharedExpertScoringFuncE1EEEvPKT_PKbPfiPiS9_iiiiii: ; @_ZN4vllm3moe17topkGatingSoftmaxIfLi8ELi64ELi8ELi32ELb0ELi2ELNS0_23SharedExpertScoringFuncE1EEEvPKT_PKbPfiPiS9_iiiiii
; %bb.0:
	s_load_b32 s16, s[0:1], 0x18
	v_bfe_u32 v1, v0, 10, 10
	v_and_b32_e32 v0, 0x3ff, v0
	s_lshl_b32 s18, s15, 5
	s_mov_b32 s2, exec_lo
	s_delay_alu instid0(VALU_DEP_2) | instskip(NEXT) | instid1(VALU_DEP_2)
	v_lshlrev_b32_e32 v26, 2, v1
	v_lshrrev_b32_e32 v27, 3, v0
	s_delay_alu instid0(VALU_DEP_1) | instskip(SKIP_1) | instid1(VALU_DEP_1)
	v_add3_u32 v15, s18, v26, v27
	s_waitcnt lgkmcnt(0)
	v_cmpx_gt_i32_e64 s16, v15
	s_cbranch_execz .LBB66_23
; %bb.1:
	s_clause 0x1
	s_load_b128 s[4:7], s[0:1], 0x0
	s_load_b64 s[12:13], s[0:1], 0x10
	s_waitcnt lgkmcnt(0)
	s_cmp_eq_u64 s[6:7], 0
	s_cbranch_scc1 .LBB66_3
; %bb.2:
	v_ashrrev_i32_e32 v2, 31, v15
	v_add_co_u32 v1, vcc_lo, s6, v15
	s_delay_alu instid0(VALU_DEP_2) | instskip(SKIP_3) | instid1(VALU_DEP_1)
	v_add_co_ci_u32_e32 v2, vcc_lo, s7, v2, vcc_lo
	global_load_u8 v1, v[1:2], off
	s_waitcnt vmcnt(0)
	v_and_b32_e32 v1, 1, v1
	v_cmp_eq_u32_e32 vcc_lo, 1, v1
	s_xor_b32 s2, vcc_lo, -1
	s_delay_alu instid0(SALU_CYCLE_1)
	s_or_not1_b32 s17, s2, exec_lo
	s_branch .LBB66_4
.LBB66_3:
	s_mov_b32 s17, -1
.LBB66_4:
	s_load_b64 s[14:15], s[0:1], 0x40
	v_and_b32_e32 v16, 7, v0
	v_mov_b32_e32 v14, 0
	s_mov_b32 s2, exec_lo
	s_delay_alu instid0(VALU_DEP_2) | instskip(SKIP_2) | instid1(VALU_DEP_1)
	v_lshlrev_b32_e32 v18, 3, v16
	s_waitcnt lgkmcnt(0)
	v_mul_lo_u32 v1, v15, s15
	v_ashrrev_i32_e32 v2, 31, v1
	s_delay_alu instid0(VALU_DEP_1) | instskip(SKIP_1) | instid1(VALU_DEP_2)
	v_lshlrev_b64 v[0:1], 2, v[1:2]
	v_lshlrev_b32_e32 v2, 5, v16
	v_add_co_u32 v8, vcc_lo, s4, v0
	s_delay_alu instid0(VALU_DEP_3) | instskip(SKIP_1) | instid1(VALU_DEP_2)
	v_add_co_ci_u32_e32 v9, vcc_lo, s5, v1, vcc_lo
	s_load_b128 s[4:7], s[0:1], 0x30
	v_add_co_u32 v4, vcc_lo, v8, v2
	s_delay_alu instid0(VALU_DEP_2)
	v_add_co_ci_u32_e32 v5, vcc_lo, 0, v9, vcc_lo
	s_clause 0x1
	global_load_b128 v[0:3], v[4:5], off offset:16
	global_load_b128 v[4:7], v[4:5], off
	v_cmpx_gt_u32_e32 2, v16
	s_cbranch_execz .LBB66_6
; %bb.5:
	v_lshlrev_b32_e32 v10, 2, v16
	s_delay_alu instid0(VALU_DEP_1)
	v_add_co_u32 v8, vcc_lo, v8, v10
	v_add_co_ci_u32_e32 v9, vcc_lo, 0, v9, vcc_lo
	global_load_b32 v8, v[8:9], off offset:256
	s_waitcnt vmcnt(0)
	v_mul_f32_e32 v9, 0xbfb8aa3b, v8
	v_cmp_nlt_f32_e32 vcc_lo, 0x42ce8ed0, v8
	s_delay_alu instid0(VALU_DEP_2) | instskip(SKIP_1) | instid1(VALU_DEP_1)
	v_fma_f32 v10, 0xbfb8aa3b, v8, -v9
	v_rndne_f32_e32 v11, v9
	v_dual_fmamk_f32 v10, v8, 0xb2a5705f, v10 :: v_dual_sub_f32 v9, v9, v11
	s_delay_alu instid0(VALU_DEP_1) | instskip(SKIP_1) | instid1(VALU_DEP_2)
	v_add_f32_e32 v9, v9, v10
	v_cvt_i32_f32_e32 v10, v11
	v_exp_f32_e32 v9, v9
	s_waitcnt_depctr 0xfff
	v_ldexp_f32 v9, v9, v10
	s_delay_alu instid0(VALU_DEP_1) | instskip(SKIP_1) | instid1(VALU_DEP_2)
	v_cndmask_b32_e32 v9, 0, v9, vcc_lo
	v_cmp_ngt_f32_e32 vcc_lo, 0xc2b17218, v8
	v_cndmask_b32_e32 v8, 0x7f800000, v9, vcc_lo
	s_delay_alu instid0(VALU_DEP_1) | instskip(NEXT) | instid1(VALU_DEP_1)
	v_add_f32_e32 v10, 1.0, v8
	v_div_scale_f32 v9, null, v10, v10, 1.0
	v_div_scale_f32 v12, vcc_lo, 1.0, v10, 1.0
	s_delay_alu instid0(VALU_DEP_2) | instskip(SKIP_2) | instid1(VALU_DEP_1)
	v_rcp_f32_e32 v11, v9
	s_waitcnt_depctr 0xfff
	v_fma_f32 v8, -v9, v11, 1.0
	v_fmac_f32_e32 v11, v8, v11
	s_waitcnt lgkmcnt(0)
	v_mul_lo_u32 v8, v15, s7
	s_delay_alu instid0(VALU_DEP_2) | instskip(NEXT) | instid1(VALU_DEP_2)
	v_mul_f32_e32 v13, v12, v11
	v_add3_u32 v8, v8, s4, v16
	s_delay_alu instid0(VALU_DEP_2) | instskip(NEXT) | instid1(VALU_DEP_1)
	v_fma_f32 v17, -v9, v13, v12
	v_fmac_f32_e32 v13, v17, v11
	s_delay_alu instid0(VALU_DEP_1) | instskip(NEXT) | instid1(VALU_DEP_4)
	v_fma_f32 v12, -v9, v13, v12
	v_ashrrev_i32_e32 v9, 31, v8
	s_delay_alu instid0(VALU_DEP_2) | instskip(NEXT) | instid1(VALU_DEP_2)
	v_div_fmas_f32 v11, v12, v11, v13
	v_lshlrev_b64 v[8:9], 2, v[8:9]
	s_delay_alu instid0(VALU_DEP_2) | instskip(NEXT) | instid1(VALU_DEP_2)
	v_div_fixup_f32 v10, v11, v10, 1.0
	v_add_co_u32 v8, vcc_lo, s12, v8
	s_delay_alu instid0(VALU_DEP_3)
	v_add_co_ci_u32_e32 v9, vcc_lo, s13, v9, vcc_lo
	global_store_b32 v[8:9], v10, off
.LBB66_6:
	s_or_b32 exec_lo, exec_lo, s2
	v_or_b32_e32 v19, 1, v18
	s_waitcnt vmcnt(0)
	v_cmp_lt_f32_e32 vcc_lo, v4, v5
	v_or_b32_e32 v20, 2, v18
	v_or_b32_e32 v21, 3, v18
	;; [unrolled: 1-line block ×4, first 2 shown]
	v_dual_cndmask_b32 v8, v18, v19 :: v_dual_cndmask_b32 v9, v4, v5
	v_or_b32_e32 v24, 6, v18
	v_or_b32_e32 v25, 7, v18
	s_delay_alu instid0(VALU_DEP_3) | instskip(NEXT) | instid1(VALU_DEP_4)
	v_cmp_lt_f32_e32 vcc_lo, v9, v6
	v_dual_cndmask_b32 v8, v8, v20 :: v_dual_cndmask_b32 v9, v9, v6
	s_delay_alu instid0(VALU_DEP_1) | instskip(NEXT) | instid1(VALU_DEP_2)
	v_cmp_lt_f32_e32 vcc_lo, v9, v7
	v_dual_cndmask_b32 v8, v8, v21 :: v_dual_cndmask_b32 v9, v9, v7
	s_delay_alu instid0(VALU_DEP_1) | instskip(NEXT) | instid1(VALU_DEP_2)
	;; [unrolled: 3-line block ×6, first 2 shown]
	v_mov_b32_dpp v10, v8 quad_perm:[1,0,3,2] row_mask:0xf bank_mask:0xf
	v_mov_b32_dpp v11, v9 quad_perm:[1,0,3,2] row_mask:0xf bank_mask:0xf
	s_delay_alu instid0(VALU_DEP_2) | instskip(NEXT) | instid1(VALU_DEP_2)
	v_cmp_lt_i32_e32 vcc_lo, v10, v8
	v_cmp_eq_f32_e64 s2, v9, v11
	v_cmp_lt_f32_e64 s3, v9, v11
	s_delay_alu instid0(VALU_DEP_2)
	s_and_b32 s2, s2, vcc_lo
	s_delay_alu instid0(VALU_DEP_1) | instid1(SALU_CYCLE_1)
	s_or_b32 vcc_lo, s3, s2
	v_dual_cndmask_b32 v9, v9, v11 :: v_dual_cndmask_b32 v8, v8, v10
	s_delay_alu instid0(VALU_DEP_1) | instskip(NEXT) | instid1(VALU_DEP_2)
	v_mov_b32_dpp v10, v9 quad_perm:[2,3,0,1] row_mask:0xf bank_mask:0xf
	v_mov_b32_dpp v11, v8 quad_perm:[2,3,0,1] row_mask:0xf bank_mask:0xf
	s_delay_alu instid0(VALU_DEP_2) | instskip(NEXT) | instid1(VALU_DEP_2)
	v_cmp_eq_f32_e32 vcc_lo, v9, v10
	v_cmp_lt_i32_e64 s2, v11, v8
	v_cmp_lt_f32_e64 s3, v9, v10
	s_delay_alu instid0(VALU_DEP_2)
	s_and_b32 s2, vcc_lo, s2
	s_delay_alu instid0(VALU_DEP_1) | instid1(SALU_CYCLE_1)
	s_or_b32 vcc_lo, s3, s2
	v_dual_cndmask_b32 v9, v9, v10 :: v_dual_cndmask_b32 v8, v8, v11
	s_delay_alu instid0(VALU_DEP_1) | instskip(NEXT) | instid1(VALU_DEP_2)
	v_mov_b32_dpp v11, v9 row_half_mirror row_mask:0xf bank_mask:0xf
	v_mov_b32_dpp v10, v8 row_half_mirror row_mask:0xf bank_mask:0xf
	s_delay_alu instid0(VALU_DEP_2) | instskip(NEXT) | instid1(VALU_DEP_2)
	v_cmp_eq_f32_e32 vcc_lo, v9, v11
	v_cmp_lt_i32_e64 s2, v10, v8
	v_cmp_lt_f32_e64 s3, v9, v11
	s_delay_alu instid0(VALU_DEP_2) | instskip(SKIP_1) | instid1(VALU_DEP_2)
	s_and_b32 s2, vcc_lo, s2
	v_cmp_eq_u32_e32 vcc_lo, 0, v16
	s_or_b32 s2, s3, s2
	s_waitcnt lgkmcnt(0)
	s_cmp_gt_i32 s4, 0
	v_cndmask_b32_e64 v17, v9, v11, s2
	s_cselect_b32 s3, -1, 0
	s_cmp_lt_i32 s4, 1
	s_cbranch_scc1 .LBB66_18
; %bb.7:
	s_load_b128 s[8:11], s[0:1], 0x20
	v_mul_lo_u32 v9, v15, s7
	v_mul_lo_u32 v11, v15, s14
	v_mul_lo_u32 v13, v15, s4
	v_cndmask_b32_e64 v8, v8, v10, s2
	v_mov_b32_e32 v14, 0
	s_and_saveexec_b32 s2, vcc_lo
	s_cbranch_execz .LBB66_9
; %bb.8:
	v_sub_f32_e32 v34, v17, v17
	v_cmp_le_i32_e64 s0, s5, v8
	v_cmp_gt_i32_e64 s1, s6, v8
	v_subrev_nc_u32_e32 v35, s5, v8
	v_ashrrev_i32_e32 v14, 31, v13
	v_mul_f32_e32 v10, 0x3fb8aa3b, v34
	s_delay_alu instid0(VALU_DEP_4) | instskip(NEXT) | instid1(SALU_CYCLE_1)
	s_and_b32 s0, s0, s1
	s_and_b32 s0, s17, s0
	s_delay_alu instid0(VALU_DEP_1) | instskip(SKIP_2) | instid1(VALU_DEP_3)
	v_rndne_f32_e32 v30, v10
	v_fma_f32 v12, 0x3fb8aa3b, v34, -v10
	v_lshlrev_b64 v[32:33], 2, v[13:14]
	v_sub_f32_e32 v10, v10, v30
	s_delay_alu instid0(VALU_DEP_3) | instskip(NEXT) | instid1(VALU_DEP_1)
	v_fmamk_f32 v12, v34, 0x32a5705f, v12
	v_add_f32_e32 v12, v10, v12
	v_ashrrev_i32_e32 v10, 31, v9
	s_delay_alu instid0(VALU_DEP_2) | instskip(NEXT) | instid1(VALU_DEP_1)
	v_exp_f32_e32 v36, v12
	v_lshlrev_b64 v[28:29], 2, v[9:10]
	v_ashrrev_i32_e32 v12, 31, v11
	v_cvt_i32_f32_e32 v10, v30
	s_delay_alu instid0(VALU_DEP_2) | instskip(SKIP_2) | instid1(VALU_DEP_1)
	v_lshlrev_b64 v[30:31], 2, v[11:12]
	v_cndmask_b32_e64 v12, 64, v35, s0
	v_add_co_u32 v28, s0, s12, v28
	v_add_co_ci_u32_e64 v29, s0, s13, v29, s0
	s_delay_alu instid0(TRANS32_DEP_1) | instskip(SKIP_1) | instid1(VALU_DEP_1)
	v_ldexp_f32 v10, v36, v10
	v_cmp_ngt_f32_e64 s0, 0xc2ce8ed0, v34
	v_cndmask_b32_e64 v10, 0, v10, s0
	s_waitcnt lgkmcnt(0)
	v_add_co_u32 v30, s0, s8, v30
	s_delay_alu instid0(VALU_DEP_1) | instskip(SKIP_1) | instid1(VALU_DEP_1)
	v_add_co_ci_u32_e64 v31, s0, s9, v31, s0
	v_cmp_nlt_f32_e64 s0, 0x42b17218, v34
	v_cndmask_b32_e64 v14, 0x7f800000, v10, s0
	v_add_co_u32 v32, s0, s10, v32
	s_delay_alu instid0(VALU_DEP_1)
	v_add_co_ci_u32_e64 v33, s0, s11, v33, s0
	global_store_b32 v[30:31], v12, off
	global_store_b32 v[28:29], v14, off
	;; [unrolled: 1-line block ×3, first 2 shown]
.LBB66_9:
	s_or_b32 exec_lo, exec_lo, s2
	v_ashrrev_i32_e32 v12, 31, v8
	s_mov_b32 s1, exec_lo
	s_delay_alu instid0(VALU_DEP_1) | instskip(NEXT) | instid1(VALU_DEP_1)
	v_lshrrev_b32_e32 v10, 29, v12
	v_add_nc_u32_e32 v10, v8, v10
	s_delay_alu instid0(VALU_DEP_1) | instskip(NEXT) | instid1(VALU_DEP_1)
	v_ashrrev_i32_e32 v10, 3, v10
	v_lshrrev_b32_e32 v28, 29, v10
	s_delay_alu instid0(VALU_DEP_1) | instskip(NEXT) | instid1(VALU_DEP_1)
	v_add_nc_u32_e32 v28, v10, v28
	v_and_b32_e32 v28, -8, v28
	s_delay_alu instid0(VALU_DEP_1) | instskip(NEXT) | instid1(VALU_DEP_1)
	v_sub_nc_u32_e32 v28, v10, v28
	v_cmpx_eq_u32_e64 v16, v28
	s_cbranch_execz .LBB66_11
; %bb.10:
	v_lshrrev_b32_e32 v12, 26, v12
	v_lshlrev_b32_e32 v10, 3, v10
	s_delay_alu instid0(VALU_DEP_2) | instskip(NEXT) | instid1(VALU_DEP_2)
	v_add_nc_u32_e32 v12, v8, v12
	v_sub_nc_u32_e32 v8, v8, v10
	s_delay_alu instid0(VALU_DEP_2) | instskip(NEXT) | instid1(VALU_DEP_1)
	v_ashrrev_i32_e32 v10, 6, v12
	v_lshl_add_u32 v8, v10, 3, v8
	s_delay_alu instid0(VALU_DEP_1) | instskip(NEXT) | instid1(VALU_DEP_1)
	v_cmp_ne_u32_e64 s0, 7, v8
	v_cndmask_b32_e64 v3, 0xff800000, v3, s0
	v_cmp_ne_u32_e64 s0, 6, v8
	s_delay_alu instid0(VALU_DEP_1) | instskip(SKIP_1) | instid1(VALU_DEP_1)
	v_cndmask_b32_e64 v2, 0xff800000, v2, s0
	v_cmp_ne_u32_e64 s0, 5, v8
	v_cndmask_b32_e64 v1, 0xff800000, v1, s0
	v_cmp_ne_u32_e64 s0, 4, v8
	s_delay_alu instid0(VALU_DEP_1) | instskip(SKIP_1) | instid1(VALU_DEP_1)
	v_cndmask_b32_e64 v0, 0xff800000, v0, s0
	;; [unrolled: 5-line block ×3, first 2 shown]
	v_cmp_ne_u32_e64 s0, 1, v8
	v_cndmask_b32_e64 v5, 0xff800000, v5, s0
	v_cmp_ne_u32_e64 s0, 0, v8
	s_delay_alu instid0(VALU_DEP_1)
	v_cndmask_b32_e64 v4, 0xff800000, v4, s0
.LBB66_11:
	s_or_b32 exec_lo, exec_lo, s1
	s_cmp_eq_u32 s4, 1
	s_cbranch_scc1 .LBB66_18
; %bb.12:
	s_add_i32 s18, s18, s16
	v_add_nc_u32_e32 v8, 1, v13
	v_add3_u32 v26, s18, v27, v26
	v_add_nc_u32_e32 v10, 1, v11
	v_add_nc_u32_e32 v12, 1, v9
	s_add_i32 s14, s4, -1
	s_branch .LBB66_14
.LBB66_13:                              ;   in Loop: Header=BB66_14 Depth=1
	s_or_b32 exec_lo, exec_lo, s1
	v_add_nc_u32_e32 v26, s16, v26
	v_add_nc_u32_e32 v8, 1, v8
	;; [unrolled: 1-line block ×4, first 2 shown]
	s_add_i32 s14, s14, -1
	s_delay_alu instid0(SALU_CYCLE_1)
	s_cmp_eq_u32 s14, 0
	s_cbranch_scc1 .LBB66_18
.LBB66_14:                              ; =>This Inner Loop Header: Depth=1
	v_cmp_gt_f32_e64 s0, v5, v4
	s_delay_alu instid0(VALU_DEP_1) | instskip(SKIP_1) | instid1(VALU_DEP_2)
	v_cndmask_b32_e64 v11, v4, v5, s0
	v_cndmask_b32_e64 v9, v18, v19, s0
	v_cmp_gt_f32_e64 s0, v6, v11
	s_delay_alu instid0(VALU_DEP_1) | instskip(NEXT) | instid1(VALU_DEP_3)
	v_cndmask_b32_e64 v11, v11, v6, s0
	v_cndmask_b32_e64 v9, v9, v20, s0
	s_delay_alu instid0(VALU_DEP_2) | instskip(NEXT) | instid1(VALU_DEP_1)
	v_cmp_gt_f32_e64 s0, v7, v11
	v_cndmask_b32_e64 v11, v11, v7, s0
	s_delay_alu instid0(VALU_DEP_3) | instskip(NEXT) | instid1(VALU_DEP_2)
	v_cndmask_b32_e64 v9, v9, v21, s0
	v_cmp_gt_f32_e64 s0, v0, v11
	s_delay_alu instid0(VALU_DEP_1) | instskip(NEXT) | instid1(VALU_DEP_3)
	v_cndmask_b32_e64 v11, v11, v0, s0
	v_cndmask_b32_e64 v9, v9, v22, s0
	s_delay_alu instid0(VALU_DEP_2) | instskip(NEXT) | instid1(VALU_DEP_1)
	v_cmp_gt_f32_e64 s0, v1, v11
	v_cndmask_b32_e64 v11, v11, v1, s0
	s_delay_alu instid0(VALU_DEP_3) | instskip(NEXT) | instid1(VALU_DEP_2)
	v_cndmask_b32_e64 v9, v9, v23, s0
	v_cmp_gt_f32_e64 s0, v2, v11
	s_delay_alu instid0(VALU_DEP_1) | instskip(NEXT) | instid1(VALU_DEP_3)
	v_cndmask_b32_e64 v11, v11, v2, s0
	v_cndmask_b32_e64 v9, v9, v24, s0
	s_delay_alu instid0(VALU_DEP_2) | instskip(NEXT) | instid1(VALU_DEP_1)
	v_cmp_gt_f32_e64 s0, v3, v11
	v_cndmask_b32_e64 v9, v9, v25, s0
	v_cndmask_b32_e64 v11, v11, v3, s0
	s_delay_alu instid0(VALU_DEP_2) | instskip(NEXT) | instid1(VALU_DEP_2)
	v_mov_b32_dpp v13, v9 quad_perm:[1,0,3,2] row_mask:0xf bank_mask:0xf
	v_mov_b32_dpp v27, v11 quad_perm:[1,0,3,2] row_mask:0xf bank_mask:0xf
	s_delay_alu instid0(VALU_DEP_2) | instskip(NEXT) | instid1(VALU_DEP_2)
	v_cmp_lt_i32_e64 s0, v13, v9
	v_cmp_eq_f32_e64 s1, v11, v27
	v_cmp_lt_f32_e64 s2, v11, v27
	s_delay_alu instid0(VALU_DEP_2)
	s_and_b32 s0, s1, s0
	s_delay_alu instid0(VALU_DEP_1) | instid1(SALU_CYCLE_1)
	s_or_b32 s0, s2, s0
	s_delay_alu instid0(SALU_CYCLE_1) | instskip(SKIP_1) | instid1(VALU_DEP_2)
	v_cndmask_b32_e64 v11, v11, v27, s0
	v_cndmask_b32_e64 v13, v9, v13, s0
	v_mov_b32_dpp v9, v11 quad_perm:[2,3,0,1] row_mask:0xf bank_mask:0xf
	s_delay_alu instid0(VALU_DEP_2) | instskip(NEXT) | instid1(VALU_DEP_2)
	v_mov_b32_dpp v27, v13 quad_perm:[2,3,0,1] row_mask:0xf bank_mask:0xf
	v_cmp_eq_f32_e64 s0, v11, v9
	s_delay_alu instid0(VALU_DEP_2) | instskip(SKIP_1) | instid1(VALU_DEP_2)
	v_cmp_lt_i32_e64 s1, v27, v13
	v_cmp_lt_f32_e64 s2, v11, v9
	s_and_b32 s0, s0, s1
	s_delay_alu instid0(VALU_DEP_1) | instid1(SALU_CYCLE_1)
	s_or_b32 s0, s2, s0
	s_delay_alu instid0(SALU_CYCLE_1) | instskip(SKIP_1) | instid1(VALU_DEP_2)
	v_cndmask_b32_e64 v9, v11, v9, s0
	v_cndmask_b32_e64 v13, v13, v27, s0
	v_mov_b32_dpp v11, v9 row_half_mirror row_mask:0xf bank_mask:0xf
	s_delay_alu instid0(VALU_DEP_2) | instskip(NEXT) | instid1(VALU_DEP_2)
	v_mov_b32_dpp v27, v13 row_half_mirror row_mask:0xf bank_mask:0xf
	v_cmp_eq_f32_e64 s0, v9, v11
	s_delay_alu instid0(VALU_DEP_2) | instskip(SKIP_1) | instid1(VALU_DEP_2)
	v_cmp_lt_i32_e64 s1, v27, v13
	v_cmp_lt_f32_e64 s2, v9, v11
	s_and_b32 s0, s0, s1
	s_delay_alu instid0(VALU_DEP_1) | instid1(SALU_CYCLE_1)
	s_or_b32 s0, s2, s0
	s_delay_alu instid0(SALU_CYCLE_1)
	v_cndmask_b32_e64 v27, v13, v27, s0
	s_and_saveexec_b32 s2, vcc_lo
	s_cbranch_execz .LBB66_16
; %bb.15:                               ;   in Loop: Header=BB66_14 Depth=1
	v_cndmask_b32_e64 v9, v9, v11, s0
	s_delay_alu instid0(VALU_DEP_2) | instskip(SKIP_4) | instid1(VALU_DEP_4)
	v_cmp_le_i32_e64 s0, s5, v27
	v_cmp_gt_i32_e64 s1, s6, v27
	v_ashrrev_i32_e32 v13, 31, v12
	v_subrev_nc_u32_e32 v35, s5, v27
	v_sub_f32_e32 v34, v9, v17
	s_and_b32 s0, s0, s1
	s_delay_alu instid0(SALU_CYCLE_1) | instskip(NEXT) | instid1(VALU_DEP_1)
	s_and_b32 s0, s17, s0
	v_mul_f32_e32 v9, 0x3fb8aa3b, v34
	s_delay_alu instid0(VALU_DEP_1) | instskip(SKIP_1) | instid1(VALU_DEP_2)
	v_fma_f32 v11, 0x3fb8aa3b, v34, -v9
	v_rndne_f32_e32 v28, v9
	v_fmac_f32_e32 v11, 0x32a5705f, v34
	s_delay_alu instid0(VALU_DEP_2) | instskip(SKIP_2) | instid1(VALU_DEP_3)
	v_sub_f32_e32 v9, v9, v28
	v_cvt_i32_f32_e32 v33, v28
	v_lshlrev_b64 v[28:29], 2, v[12:13]
	v_add_f32_e32 v9, v9, v11
	v_ashrrev_i32_e32 v11, 31, v10
	s_delay_alu instid0(VALU_DEP_2) | instskip(SKIP_1) | instid1(VALU_DEP_2)
	v_exp_f32_e32 v32, v9
	v_ashrrev_i32_e32 v9, 31, v8
	v_lshlrev_b64 v[30:31], 2, v[10:11]
	s_waitcnt_depctr 0xfff
	v_ldexp_f32 v11, v32, v33
	v_lshlrev_b64 v[32:33], 2, v[8:9]
	v_cndmask_b32_e64 v9, 64, v35, s0
	v_cmp_ngt_f32_e64 s0, 0xc2ce8ed0, v34
	s_delay_alu instid0(VALU_DEP_1) | instskip(SKIP_1) | instid1(VALU_DEP_1)
	v_cndmask_b32_e64 v11, 0, v11, s0
	v_add_co_u32 v28, s0, s12, v28
	v_add_co_ci_u32_e64 v29, s0, s13, v29, s0
	v_cmp_nlt_f32_e64 s0, 0x42b17218, v34
	s_delay_alu instid0(VALU_DEP_1) | instskip(SKIP_2) | instid1(VALU_DEP_1)
	v_cndmask_b32_e64 v11, 0x7f800000, v11, s0
	s_waitcnt lgkmcnt(0)
	v_add_co_u32 v30, s0, s8, v30
	v_add_co_ci_u32_e64 v31, s0, s9, v31, s0
	s_delay_alu instid0(VALU_DEP_3) | instskip(SKIP_1) | instid1(VALU_DEP_1)
	v_add_f32_e32 v14, v14, v11
	v_add_co_u32 v32, s0, s10, v32
	v_add_co_ci_u32_e64 v33, s0, s11, v33, s0
	global_store_b32 v[28:29], v11, off
	global_store_b32 v[30:31], v9, off
	;; [unrolled: 1-line block ×3, first 2 shown]
.LBB66_16:                              ;   in Loop: Header=BB66_14 Depth=1
	s_or_b32 exec_lo, exec_lo, s2
	s_delay_alu instid0(VALU_DEP_1) | instskip(SKIP_1) | instid1(VALU_DEP_1)
	v_ashrrev_i32_e32 v11, 31, v27
	s_mov_b32 s1, exec_lo
	v_lshrrev_b32_e32 v9, 29, v11
	s_delay_alu instid0(VALU_DEP_1) | instskip(NEXT) | instid1(VALU_DEP_1)
	v_add_nc_u32_e32 v9, v27, v9
	v_ashrrev_i32_e32 v9, 3, v9
	s_delay_alu instid0(VALU_DEP_1) | instskip(NEXT) | instid1(VALU_DEP_1)
	v_lshrrev_b32_e32 v13, 29, v9
	v_add_nc_u32_e32 v13, v9, v13
	s_delay_alu instid0(VALU_DEP_1) | instskip(NEXT) | instid1(VALU_DEP_1)
	v_and_b32_e32 v13, -8, v13
	v_sub_nc_u32_e32 v13, v9, v13
	s_delay_alu instid0(VALU_DEP_1)
	v_cmpx_eq_u32_e64 v16, v13
	s_cbranch_execz .LBB66_13
; %bb.17:                               ;   in Loop: Header=BB66_14 Depth=1
	v_lshrrev_b32_e32 v11, 26, v11
	v_lshlrev_b32_e32 v9, 3, v9
	s_delay_alu instid0(VALU_DEP_2) | instskip(NEXT) | instid1(VALU_DEP_2)
	v_add_nc_u32_e32 v11, v27, v11
	v_sub_nc_u32_e32 v9, v27, v9
	s_delay_alu instid0(VALU_DEP_2) | instskip(NEXT) | instid1(VALU_DEP_1)
	v_ashrrev_i32_e32 v11, 6, v11
	v_lshl_add_u32 v9, v11, 3, v9
	s_delay_alu instid0(VALU_DEP_1) | instskip(NEXT) | instid1(VALU_DEP_1)
	v_cmp_ne_u32_e64 s0, 7, v9
	v_cndmask_b32_e64 v3, 0xff800000, v3, s0
	v_cmp_ne_u32_e64 s0, 6, v9
	s_delay_alu instid0(VALU_DEP_1) | instskip(SKIP_1) | instid1(VALU_DEP_1)
	v_cndmask_b32_e64 v2, 0xff800000, v2, s0
	v_cmp_ne_u32_e64 s0, 5, v9
	v_cndmask_b32_e64 v1, 0xff800000, v1, s0
	v_cmp_ne_u32_e64 s0, 4, v9
	s_delay_alu instid0(VALU_DEP_1) | instskip(SKIP_1) | instid1(VALU_DEP_1)
	v_cndmask_b32_e64 v0, 0xff800000, v0, s0
	;; [unrolled: 5-line block ×3, first 2 shown]
	v_cmp_ne_u32_e64 s0, 1, v9
	v_cndmask_b32_e64 v5, 0xff800000, v5, s0
	v_cmp_ne_u32_e64 s0, 0, v9
	s_delay_alu instid0(VALU_DEP_1)
	v_cndmask_b32_e64 v4, 0xff800000, v4, s0
	s_branch .LBB66_13
.LBB66_18:
	s_delay_alu instid0(VALU_DEP_1)
	v_sub_f32_e32 v7, v7, v17
	v_sub_f32_e32 v4, v4, v17
	;; [unrolled: 1-line block ×5, first 2 shown]
	v_mul_f32_e32 v11, 0x3fb8aa3b, v7
	v_dual_sub_f32 v5, v5, v17 :: v_dual_mul_f32 v8, 0x3fb8aa3b, v4
	v_cmp_ngt_f32_e32 vcc_lo, 0xc2ce8ed0, v4
	v_sub_f32_e32 v3, v3, v17
	s_delay_alu instid0(VALU_DEP_4) | instskip(NEXT) | instid1(VALU_DEP_4)
	v_rndne_f32_e32 v23, v11
	v_fma_f32 v12, 0x3fb8aa3b, v4, -v8
	v_rndne_f32_e32 v13, v8
	s_delay_alu instid0(VALU_DEP_2) | instskip(NEXT) | instid1(VALU_DEP_2)
	v_fmac_f32_e32 v12, 0x32a5705f, v4
	v_sub_f32_e32 v8, v8, v13
	s_delay_alu instid0(VALU_DEP_1) | instskip(NEXT) | instid1(VALU_DEP_1)
	v_dual_mul_f32 v9, 0x3fb8aa3b, v5 :: v_dual_add_f32 v8, v8, v12
	v_rndne_f32_e32 v19, v9
	v_sub_f32_e32 v6, v6, v17
	v_fma_f32 v18, 0x3fb8aa3b, v5, -v9
	v_cvt_i32_f32_e32 v12, v13
	v_exp_f32_e32 v8, v8
	s_delay_alu instid0(VALU_DEP_3) | instskip(SKIP_3) | instid1(VALU_DEP_4)
	v_dual_sub_f32 v9, v9, v19 :: v_dual_mul_f32 v10, 0x3fb8aa3b, v6
	v_fma_f32 v22, 0x3fb8aa3b, v7, -v11
	v_sub_f32_e32 v11, v11, v23
	v_cvt_i32_f32_e32 v13, v19
	v_fma_f32 v20, 0x3fb8aa3b, v6, -v10
	s_delay_alu instid0(VALU_DEP_4) | instskip(SKIP_1) | instid1(TRANS32_DEP_1)
	v_fmac_f32_e32 v22, 0x32a5705f, v7
	v_fmac_f32_e32 v18, 0x32a5705f, v5
	v_ldexp_f32 v8, v8, v12
	v_rndne_f32_e32 v21, v10
	s_delay_alu instid0(VALU_DEP_4) | instskip(NEXT) | instid1(VALU_DEP_3)
	v_add_f32_e32 v11, v11, v22
	v_dual_add_f32 v9, v9, v18 :: v_dual_cndmask_b32 v8, 0, v8
	v_cmp_ngt_f32_e32 vcc_lo, 0xc2ce8ed0, v5
	s_delay_alu instid0(VALU_DEP_4) | instskip(SKIP_1) | instid1(VALU_DEP_4)
	v_sub_f32_e32 v10, v10, v21
	v_cvt_i32_f32_e32 v12, v21
	v_exp_f32_e32 v9, v9
	v_exp_f32_e32 v11, v11
	s_waitcnt_depctr 0xfff
	v_ldexp_f32 v9, v9, v13
	v_fmac_f32_e32 v20, 0x32a5705f, v6
	v_mul_f32_e32 v13, 0x3fb8aa3b, v3
	s_delay_alu instid0(VALU_DEP_3) | instskip(SKIP_1) | instid1(VALU_DEP_3)
	v_cndmask_b32_e32 v9, 0, v9, vcc_lo
	v_cmp_nlt_f32_e32 vcc_lo, 0x42b17218, v4
	v_rndne_f32_e32 v17, v13
	v_cndmask_b32_e32 v4, 0x7f800000, v8, vcc_lo
	v_cmp_nlt_f32_e32 vcc_lo, 0x42b17218, v5
	v_dual_add_f32 v10, v10, v20 :: v_dual_cndmask_b32 v5, 0x7f800000, v9
	s_delay_alu instid0(VALU_DEP_1) | instskip(SKIP_2) | instid1(VALU_DEP_3)
	v_exp_f32_e32 v10, v10
	v_cmp_ngt_f32_e32 vcc_lo, 0xc2ce8ed0, v6
	v_cvt_i32_f32_e32 v9, v23
	v_add_f32_e32 v4, v4, v5
	s_waitcnt_depctr 0xfff
	v_ldexp_f32 v10, v10, v12
	s_delay_alu instid0(VALU_DEP_1) | instskip(SKIP_2) | instid1(VALU_DEP_3)
	v_cndmask_b32_e32 v8, 0, v10, vcc_lo
	v_cmp_nlt_f32_e32 vcc_lo, 0x42b17218, v6
	v_mul_f32_e32 v10, 0x3fb8aa3b, v2
	v_cndmask_b32_e32 v5, 0x7f800000, v8, vcc_lo
	v_ldexp_f32 v8, v11, v9
	v_cmp_ngt_f32_e32 vcc_lo, 0xc2ce8ed0, v7
	s_delay_alu instid0(VALU_DEP_4)
	v_fma_f32 v11, 0x3fb8aa3b, v2, -v10
	v_rndne_f32_e32 v12, v10
	v_add_f32_e32 v4, v4, v5
	v_cndmask_b32_e32 v8, 0, v8, vcc_lo
	v_cmp_nlt_f32_e32 vcc_lo, 0x42b17218, v7
	v_fmac_f32_e32 v11, 0x32a5705f, v2
	s_delay_alu instid0(VALU_DEP_3) | instskip(SKIP_3) | instid1(VALU_DEP_4)
	v_cndmask_b32_e32 v7, 0x7f800000, v8, vcc_lo
	v_mul_f32_e32 v6, 0x3fb8aa3b, v0
	v_mul_f32_e32 v8, 0x3fb8aa3b, v1
	v_cmp_ngt_f32_e32 vcc_lo, 0xc2ce8ed0, v0
	v_add_f32_e32 v4, v4, v7
	s_delay_alu instid0(VALU_DEP_4) | instskip(SKIP_2) | instid1(VALU_DEP_2)
	v_fma_f32 v5, 0x3fb8aa3b, v0, -v6
	v_rndne_f32_e32 v9, v6
	v_rndne_f32_e32 v7, v8
	v_dual_fmac_f32 v5, 0x32a5705f, v0 :: v_dual_sub_f32 v6, v6, v9
	v_cvt_i32_f32_e32 v9, v9
	s_delay_alu instid0(VALU_DEP_2) | instskip(SKIP_3) | instid1(VALU_DEP_4)
	v_add_f32_e32 v5, v6, v5
	v_fma_f32 v6, 0x3fb8aa3b, v1, -v8
	v_sub_f32_e32 v8, v8, v7
	v_cvt_i32_f32_e32 v7, v7
	v_exp_f32_e32 v5, v5
	s_delay_alu instid0(VALU_DEP_3) | instskip(NEXT) | instid1(VALU_DEP_1)
	v_fmac_f32_e32 v6, 0x32a5705f, v1
	v_add_f32_e32 v6, v8, v6
	v_sub_f32_e32 v8, v10, v12
	v_fma_f32 v10, 0x3fb8aa3b, v3, -v13
	s_waitcnt_depctr 0xfff
	v_ldexp_f32 v5, v5, v9
	v_exp_f32_e32 v6, v6
	v_add_f32_e32 v8, v8, v11
	v_dual_fmac_f32 v10, 0x32a5705f, v3 :: v_dual_sub_f32 v9, v13, v17
	s_delay_alu instid0(VALU_DEP_3) | instskip(SKIP_1) | instid1(VALU_DEP_4)
	v_cndmask_b32_e32 v5, 0, v5, vcc_lo
	v_cmp_nlt_f32_e32 vcc_lo, 0x42b17218, v0
	v_exp_f32_e32 v8, v8
	s_delay_alu instid0(VALU_DEP_3) | instskip(NEXT) | instid1(TRANS32_DEP_2)
	v_add_f32_e32 v9, v9, v10
	v_ldexp_f32 v6, v6, v7
	v_cndmask_b32_e32 v0, 0x7f800000, v5, vcc_lo
	v_cmp_ngt_f32_e32 vcc_lo, 0xc2ce8ed0, v1
	v_cvt_i32_f32_e32 v5, v12
	v_exp_f32_e32 v7, v9
	s_delay_alu instid0(VALU_DEP_3) | instskip(SKIP_4) | instid1(VALU_DEP_4)
	v_add_f32_e32 v0, v4, v0
	v_cndmask_b32_e32 v6, 0, v6, vcc_lo
	v_cmp_nlt_f32_e32 vcc_lo, 0x42b17218, v1
	v_ldexp_f32 v4, v8, v5
	v_cvt_i32_f32_e32 v5, v17
	v_cndmask_b32_e32 v1, 0x7f800000, v6, vcc_lo
	v_cmp_ngt_f32_e32 vcc_lo, 0xc2ce8ed0, v2
	s_delay_alu instid0(TRANS32_DEP_1) | instid1(VALU_DEP_3)
	v_ldexp_f32 v5, v7, v5
	s_delay_alu instid0(VALU_DEP_3) | instskip(SKIP_2) | instid1(VALU_DEP_2)
	v_add_f32_e32 v0, v0, v1
	v_cndmask_b32_e32 v4, 0, v4, vcc_lo
	v_cmp_nlt_f32_e32 vcc_lo, 0x42b17218, v2
	v_cndmask_b32_e32 v1, 0x7f800000, v4, vcc_lo
	v_cmp_ngt_f32_e32 vcc_lo, 0xc2ce8ed0, v3
	s_delay_alu instid0(VALU_DEP_2) | instskip(SKIP_2) | instid1(VALU_DEP_2)
	v_add_f32_e32 v0, v0, v1
	v_cndmask_b32_e32 v2, 0, v5, vcc_lo
	v_cmp_nlt_f32_e32 vcc_lo, 0x42b17218, v3
	v_cndmask_b32_e32 v1, 0x7f800000, v2, vcc_lo
	v_cmp_eq_u32_e32 vcc_lo, 0, v16
	s_delay_alu instid0(VALU_DEP_2) | instskip(NEXT) | instid1(VALU_DEP_1)
	v_add_f32_e32 v0, v0, v1
	v_mov_b32_dpp v1, v0 quad_perm:[1,0,3,2] row_mask:0xf bank_mask:0xf
	s_delay_alu instid0(VALU_DEP_1) | instskip(NEXT) | instid1(VALU_DEP_1)
	v_add_f32_e32 v0, v0, v1
	v_mov_b32_dpp v1, v0 quad_perm:[2,3,0,1] row_mask:0xf bank_mask:0xf
	s_delay_alu instid0(VALU_DEP_1) | instskip(NEXT) | instid1(VALU_DEP_1)
	v_add_f32_e32 v0, v0, v1
	v_mov_b32_dpp v1, v0 row_half_mirror row_mask:0xf bank_mask:0xf
	s_and_b32 exec_lo, exec_lo, vcc_lo
	s_cbranch_execz .LBB66_23
; %bb.19:
	s_delay_alu instid0(VALU_DEP_1) | instskip(NEXT) | instid1(VALU_DEP_1)
	v_add_f32_e32 v0, v0, v1
	v_add_f32_e32 v0, v14, v0
	s_delay_alu instid0(VALU_DEP_1)
	v_cmp_neq_f32_e32 vcc_lo, 0, v0
	s_and_b32 exec_lo, exec_lo, vcc_lo
	s_cbranch_execz .LBB66_23
; %bb.20:
	s_and_not1_b32 vcc_lo, exec_lo, s3
	s_cbranch_vccnz .LBB66_23
; %bb.21:
	v_div_scale_f32 v2, null, v0, v0, 1.0
	v_div_scale_f32 v4, vcc_lo, 1.0, v0, 1.0
	s_delay_alu instid0(VALU_DEP_2) | instskip(SKIP_2) | instid1(VALU_DEP_1)
	v_rcp_f32_e32 v3, v2
	s_waitcnt_depctr 0xfff
	v_fma_f32 v1, -v2, v3, 1.0
	v_fmac_f32_e32 v3, v1, v3
	v_mul_lo_u32 v1, v15, s7
	s_delay_alu instid0(VALU_DEP_2) | instskip(NEXT) | instid1(VALU_DEP_1)
	v_mul_f32_e32 v5, v4, v3
	v_fma_f32 v6, -v2, v5, v4
	s_delay_alu instid0(VALU_DEP_1) | instskip(NEXT) | instid1(VALU_DEP_1)
	v_fmac_f32_e32 v5, v6, v3
	v_fma_f32 v4, -v2, v5, v4
	v_ashrrev_i32_e32 v2, 31, v1
	s_delay_alu instid0(VALU_DEP_2) | instskip(NEXT) | instid1(VALU_DEP_2)
	v_div_fmas_f32 v5, v4, v3, v5
	v_lshlrev_b64 v[3:4], 2, v[1:2]
	s_delay_alu instid0(VALU_DEP_2) | instskip(NEXT) | instid1(VALU_DEP_2)
	v_div_fixup_f32 v2, v5, v0, 1.0
	v_add_co_u32 v0, vcc_lo, s12, v3
	s_delay_alu instid0(VALU_DEP_3)
	v_add_co_ci_u32_e32 v1, vcc_lo, s13, v4, vcc_lo
.LBB66_22:                              ; =>This Inner Loop Header: Depth=1
	global_load_b32 v3, v[0:1], off
	s_add_i32 s4, s4, -1
	s_delay_alu instid0(SALU_CYCLE_1)
	s_cmp_lg_u32 s4, 0
	s_waitcnt vmcnt(0)
	v_mul_f32_e32 v3, v2, v3
	global_store_b32 v[0:1], v3, off
	v_add_co_u32 v0, vcc_lo, v0, 4
	v_add_co_ci_u32_e32 v1, vcc_lo, 0, v1, vcc_lo
	s_cbranch_scc1 .LBB66_22
.LBB66_23:
	s_nop 0
	s_sendmsg sendmsg(MSG_DEALLOC_VGPRS)
	s_endpgm
	.section	.rodata,"a",@progbits
	.p2align	6, 0x0
	.amdhsa_kernel _ZN4vllm3moe17topkGatingSoftmaxIfLi8ELi64ELi8ELi32ELb0ELi2ELNS0_23SharedExpertScoringFuncE1EEEvPKT_PKbPfiPiS9_iiiiii
		.amdhsa_group_segment_fixed_size 0
		.amdhsa_private_segment_fixed_size 0
		.amdhsa_kernarg_size 72
		.amdhsa_user_sgpr_count 15
		.amdhsa_user_sgpr_dispatch_ptr 0
		.amdhsa_user_sgpr_queue_ptr 0
		.amdhsa_user_sgpr_kernarg_segment_ptr 1
		.amdhsa_user_sgpr_dispatch_id 0
		.amdhsa_user_sgpr_private_segment_size 0
		.amdhsa_wavefront_size32 1
		.amdhsa_uses_dynamic_stack 0
		.amdhsa_enable_private_segment 0
		.amdhsa_system_sgpr_workgroup_id_x 1
		.amdhsa_system_sgpr_workgroup_id_y 0
		.amdhsa_system_sgpr_workgroup_id_z 0
		.amdhsa_system_sgpr_workgroup_info 0
		.amdhsa_system_vgpr_workitem_id 1
		.amdhsa_next_free_vgpr 37
		.amdhsa_next_free_sgpr 19
		.amdhsa_reserve_vcc 1
		.amdhsa_float_round_mode_32 0
		.amdhsa_float_round_mode_16_64 0
		.amdhsa_float_denorm_mode_32 3
		.amdhsa_float_denorm_mode_16_64 3
		.amdhsa_dx10_clamp 1
		.amdhsa_ieee_mode 1
		.amdhsa_fp16_overflow 0
		.amdhsa_workgroup_processor_mode 1
		.amdhsa_memory_ordered 1
		.amdhsa_forward_progress 0
		.amdhsa_shared_vgpr_count 0
		.amdhsa_exception_fp_ieee_invalid_op 0
		.amdhsa_exception_fp_denorm_src 0
		.amdhsa_exception_fp_ieee_div_zero 0
		.amdhsa_exception_fp_ieee_overflow 0
		.amdhsa_exception_fp_ieee_underflow 0
		.amdhsa_exception_fp_ieee_inexact 0
		.amdhsa_exception_int_div_zero 0
	.end_amdhsa_kernel
	.section	.text._ZN4vllm3moe17topkGatingSoftmaxIfLi8ELi64ELi8ELi32ELb0ELi2ELNS0_23SharedExpertScoringFuncE1EEEvPKT_PKbPfiPiS9_iiiiii,"axG",@progbits,_ZN4vllm3moe17topkGatingSoftmaxIfLi8ELi64ELi8ELi32ELb0ELi2ELNS0_23SharedExpertScoringFuncE1EEEvPKT_PKbPfiPiS9_iiiiii,comdat
.Lfunc_end66:
	.size	_ZN4vllm3moe17topkGatingSoftmaxIfLi8ELi64ELi8ELi32ELb0ELi2ELNS0_23SharedExpertScoringFuncE1EEEvPKT_PKbPfiPiS9_iiiiii, .Lfunc_end66-_ZN4vllm3moe17topkGatingSoftmaxIfLi8ELi64ELi8ELi32ELb0ELi2ELNS0_23SharedExpertScoringFuncE1EEEvPKT_PKbPfiPiS9_iiiiii
                                        ; -- End function
	.section	.AMDGPU.csdata,"",@progbits
; Kernel info:
; codeLenInByte = 3816
; NumSgprs: 21
; NumVgprs: 37
; ScratchSize: 0
; MemoryBound: 0
; FloatMode: 240
; IeeeMode: 1
; LDSByteSize: 0 bytes/workgroup (compile time only)
; SGPRBlocks: 2
; VGPRBlocks: 4
; NumSGPRsForWavesPerEU: 21
; NumVGPRsForWavesPerEU: 37
; Occupancy: 16
; WaveLimiterHint : 0
; COMPUTE_PGM_RSRC2:SCRATCH_EN: 0
; COMPUTE_PGM_RSRC2:USER_SGPR: 15
; COMPUTE_PGM_RSRC2:TRAP_HANDLER: 0
; COMPUTE_PGM_RSRC2:TGID_X_EN: 1
; COMPUTE_PGM_RSRC2:TGID_Y_EN: 0
; COMPUTE_PGM_RSRC2:TGID_Z_EN: 0
; COMPUTE_PGM_RSRC2:TIDIG_COMP_CNT: 1
	.section	.text._ZN4vllm3moe17topkGatingSoftmaxIfLi8ELi64ELi8ELi32ELb1ELi4ELNS0_23SharedExpertScoringFuncE1EEEvPKT_PKbPfiPiS9_iiiiii,"axG",@progbits,_ZN4vllm3moe17topkGatingSoftmaxIfLi8ELi64ELi8ELi32ELb1ELi4ELNS0_23SharedExpertScoringFuncE1EEEvPKT_PKbPfiPiS9_iiiiii,comdat
	.protected	_ZN4vllm3moe17topkGatingSoftmaxIfLi8ELi64ELi8ELi32ELb1ELi4ELNS0_23SharedExpertScoringFuncE1EEEvPKT_PKbPfiPiS9_iiiiii ; -- Begin function _ZN4vllm3moe17topkGatingSoftmaxIfLi8ELi64ELi8ELi32ELb1ELi4ELNS0_23SharedExpertScoringFuncE1EEEvPKT_PKbPfiPiS9_iiiiii
	.globl	_ZN4vllm3moe17topkGatingSoftmaxIfLi8ELi64ELi8ELi32ELb1ELi4ELNS0_23SharedExpertScoringFuncE1EEEvPKT_PKbPfiPiS9_iiiiii
	.p2align	8
	.type	_ZN4vllm3moe17topkGatingSoftmaxIfLi8ELi64ELi8ELi32ELb1ELi4ELNS0_23SharedExpertScoringFuncE1EEEvPKT_PKbPfiPiS9_iiiiii,@function
_ZN4vllm3moe17topkGatingSoftmaxIfLi8ELi64ELi8ELi32ELb1ELi4ELNS0_23SharedExpertScoringFuncE1EEEvPKT_PKbPfiPiS9_iiiiii: ; @_ZN4vllm3moe17topkGatingSoftmaxIfLi8ELi64ELi8ELi32ELb1ELi4ELNS0_23SharedExpertScoringFuncE1EEEvPKT_PKbPfiPiS9_iiiiii
; %bb.0:
	s_load_b32 s16, s[0:1], 0x18
	v_bfe_u32 v1, v0, 10, 10
	v_and_b32_e32 v0, 0x3ff, v0
	s_lshl_b32 s18, s15, 5
	s_mov_b32 s2, exec_lo
	s_delay_alu instid0(VALU_DEP_2) | instskip(NEXT) | instid1(VALU_DEP_2)
	v_lshlrev_b32_e32 v25, 2, v1
	v_lshrrev_b32_e32 v26, 3, v0
	s_delay_alu instid0(VALU_DEP_1) | instskip(SKIP_1) | instid1(VALU_DEP_1)
	v_add3_u32 v15, s18, v25, v26
	s_waitcnt lgkmcnt(0)
	v_cmpx_gt_i32_e64 s16, v15
	s_cbranch_execz .LBB67_22
; %bb.1:
	s_clause 0x1
	s_load_b128 s[4:7], s[0:1], 0x0
	s_load_b64 s[12:13], s[0:1], 0x10
	s_waitcnt lgkmcnt(0)
	s_cmp_eq_u64 s[6:7], 0
	s_cbranch_scc1 .LBB67_3
; %bb.2:
	v_ashrrev_i32_e32 v2, 31, v15
	v_add_co_u32 v1, vcc_lo, s6, v15
	s_delay_alu instid0(VALU_DEP_2) | instskip(SKIP_3) | instid1(VALU_DEP_1)
	v_add_co_ci_u32_e32 v2, vcc_lo, s7, v2, vcc_lo
	global_load_u8 v1, v[1:2], off
	s_waitcnt vmcnt(0)
	v_and_b32_e32 v1, 1, v1
	v_cmp_eq_u32_e32 vcc_lo, 1, v1
	s_xor_b32 s2, vcc_lo, -1
	s_delay_alu instid0(SALU_CYCLE_1)
	s_or_not1_b32 s17, s2, exec_lo
	s_branch .LBB67_4
.LBB67_3:
	s_mov_b32 s17, -1
.LBB67_4:
	s_load_b64 s[14:15], s[0:1], 0x40
	v_and_b32_e32 v16, 7, v0
	s_mov_b32 s2, exec_lo
	s_delay_alu instid0(VALU_DEP_1) | instskip(SKIP_2) | instid1(VALU_DEP_1)
	v_dual_mov_b32 v14, 0 :: v_dual_lshlrev_b32 v17, 3, v16
	s_waitcnt lgkmcnt(0)
	v_mul_lo_u32 v1, v15, s15
	v_ashrrev_i32_e32 v2, 31, v1
	s_delay_alu instid0(VALU_DEP_1) | instskip(SKIP_1) | instid1(VALU_DEP_2)
	v_lshlrev_b64 v[0:1], 2, v[1:2]
	v_lshlrev_b32_e32 v2, 5, v16
	v_add_co_u32 v8, vcc_lo, s4, v0
	s_delay_alu instid0(VALU_DEP_3) | instskip(SKIP_1) | instid1(VALU_DEP_2)
	v_add_co_ci_u32_e32 v9, vcc_lo, s5, v1, vcc_lo
	s_load_b128 s[4:7], s[0:1], 0x30
	v_add_co_u32 v4, vcc_lo, v8, v2
	s_delay_alu instid0(VALU_DEP_2)
	v_add_co_ci_u32_e32 v5, vcc_lo, 0, v9, vcc_lo
	s_clause 0x1
	global_load_b128 v[0:3], v[4:5], off offset:16
	global_load_b128 v[4:7], v[4:5], off
	v_cmpx_gt_u32_e32 4, v16
	s_cbranch_execz .LBB67_6
; %bb.5:
	v_lshlrev_b32_e32 v10, 2, v16
	s_delay_alu instid0(VALU_DEP_1)
	v_add_co_u32 v8, vcc_lo, v8, v10
	v_add_co_ci_u32_e32 v9, vcc_lo, 0, v9, vcc_lo
	global_load_b32 v8, v[8:9], off offset:256
	s_waitcnt vmcnt(0)
	v_mul_f32_e32 v9, 0xbfb8aa3b, v8
	v_cmp_nlt_f32_e32 vcc_lo, 0x42ce8ed0, v8
	s_delay_alu instid0(VALU_DEP_2) | instskip(SKIP_1) | instid1(VALU_DEP_1)
	v_fma_f32 v10, 0xbfb8aa3b, v8, -v9
	v_rndne_f32_e32 v11, v9
	v_dual_fmamk_f32 v10, v8, 0xb2a5705f, v10 :: v_dual_sub_f32 v9, v9, v11
	s_delay_alu instid0(VALU_DEP_1) | instskip(SKIP_1) | instid1(VALU_DEP_2)
	v_add_f32_e32 v9, v9, v10
	v_cvt_i32_f32_e32 v10, v11
	v_exp_f32_e32 v9, v9
	s_waitcnt_depctr 0xfff
	v_ldexp_f32 v9, v9, v10
	s_delay_alu instid0(VALU_DEP_1) | instskip(SKIP_1) | instid1(VALU_DEP_2)
	v_cndmask_b32_e32 v9, 0, v9, vcc_lo
	v_cmp_ngt_f32_e32 vcc_lo, 0xc2b17218, v8
	v_cndmask_b32_e32 v8, 0x7f800000, v9, vcc_lo
	s_delay_alu instid0(VALU_DEP_1) | instskip(NEXT) | instid1(VALU_DEP_1)
	v_add_f32_e32 v10, 1.0, v8
	v_div_scale_f32 v9, null, v10, v10, 1.0
	v_div_scale_f32 v12, vcc_lo, 1.0, v10, 1.0
	s_delay_alu instid0(VALU_DEP_2) | instskip(SKIP_2) | instid1(VALU_DEP_1)
	v_rcp_f32_e32 v11, v9
	s_waitcnt_depctr 0xfff
	v_fma_f32 v8, -v9, v11, 1.0
	v_fmac_f32_e32 v11, v8, v11
	s_waitcnt lgkmcnt(0)
	v_mul_lo_u32 v8, v15, s7
	s_delay_alu instid0(VALU_DEP_2) | instskip(NEXT) | instid1(VALU_DEP_2)
	v_mul_f32_e32 v13, v12, v11
	v_add3_u32 v8, v8, s4, v16
	s_delay_alu instid0(VALU_DEP_2) | instskip(NEXT) | instid1(VALU_DEP_1)
	v_fma_f32 v18, -v9, v13, v12
	v_fmac_f32_e32 v13, v18, v11
	s_delay_alu instid0(VALU_DEP_1) | instskip(NEXT) | instid1(VALU_DEP_4)
	v_fma_f32 v12, -v9, v13, v12
	v_ashrrev_i32_e32 v9, 31, v8
	s_delay_alu instid0(VALU_DEP_2) | instskip(NEXT) | instid1(VALU_DEP_2)
	v_div_fmas_f32 v11, v12, v11, v13
	v_lshlrev_b64 v[8:9], 2, v[8:9]
	s_delay_alu instid0(VALU_DEP_2) | instskip(NEXT) | instid1(VALU_DEP_2)
	v_div_fixup_f32 v10, v11, v10, 1.0
	v_add_co_u32 v8, vcc_lo, s12, v8
	s_delay_alu instid0(VALU_DEP_3)
	v_add_co_ci_u32_e32 v9, vcc_lo, s13, v9, vcc_lo
	global_store_b32 v[8:9], v10, off
.LBB67_6:
	s_or_b32 exec_lo, exec_lo, s2
	v_or_b32_e32 v18, 1, v17
	s_waitcnt vmcnt(0)
	v_cmp_lt_f32_e32 vcc_lo, v4, v5
	v_or_b32_e32 v19, 2, v17
	v_or_b32_e32 v20, 3, v17
	;; [unrolled: 1-line block ×4, first 2 shown]
	v_dual_cndmask_b32 v8, v17, v18 :: v_dual_cndmask_b32 v9, v4, v5
	v_or_b32_e32 v23, 6, v17
	v_or_b32_e32 v24, 7, v17
	s_delay_alu instid0(VALU_DEP_3) | instskip(NEXT) | instid1(VALU_DEP_4)
	v_cmp_lt_f32_e32 vcc_lo, v9, v6
	v_dual_cndmask_b32 v8, v8, v19 :: v_dual_cndmask_b32 v9, v9, v6
	s_delay_alu instid0(VALU_DEP_1) | instskip(NEXT) | instid1(VALU_DEP_2)
	v_cmp_lt_f32_e32 vcc_lo, v9, v7
	v_dual_cndmask_b32 v8, v8, v20 :: v_dual_cndmask_b32 v9, v9, v7
	s_delay_alu instid0(VALU_DEP_1) | instskip(NEXT) | instid1(VALU_DEP_2)
	;; [unrolled: 3-line block ×6, first 2 shown]
	v_mov_b32_dpp v10, v8 quad_perm:[1,0,3,2] row_mask:0xf bank_mask:0xf
	v_mov_b32_dpp v11, v9 quad_perm:[1,0,3,2] row_mask:0xf bank_mask:0xf
	s_delay_alu instid0(VALU_DEP_2) | instskip(NEXT) | instid1(VALU_DEP_2)
	v_cmp_lt_i32_e32 vcc_lo, v10, v8
	v_cmp_eq_f32_e64 s2, v9, v11
	v_cmp_lt_f32_e64 s3, v9, v11
	s_delay_alu instid0(VALU_DEP_2)
	s_and_b32 s2, s2, vcc_lo
	s_delay_alu instid0(VALU_DEP_1) | instid1(SALU_CYCLE_1)
	s_or_b32 vcc_lo, s3, s2
	v_dual_cndmask_b32 v9, v9, v11 :: v_dual_cndmask_b32 v8, v8, v10
	s_delay_alu instid0(VALU_DEP_1) | instskip(NEXT) | instid1(VALU_DEP_2)
	v_mov_b32_dpp v10, v9 quad_perm:[2,3,0,1] row_mask:0xf bank_mask:0xf
	v_mov_b32_dpp v11, v8 quad_perm:[2,3,0,1] row_mask:0xf bank_mask:0xf
	s_delay_alu instid0(VALU_DEP_2) | instskip(NEXT) | instid1(VALU_DEP_2)
	v_cmp_eq_f32_e32 vcc_lo, v9, v10
	v_cmp_lt_i32_e64 s2, v11, v8
	v_cmp_lt_f32_e64 s3, v9, v10
	s_delay_alu instid0(VALU_DEP_2)
	s_and_b32 s2, vcc_lo, s2
	s_delay_alu instid0(VALU_DEP_1) | instid1(SALU_CYCLE_1)
	s_or_b32 vcc_lo, s3, s2
	s_waitcnt lgkmcnt(0)
	s_cmp_gt_i32 s4, 0
	v_cndmask_b32_e32 v10, v9, v10, vcc_lo
	v_cndmask_b32_e32 v8, v8, v11, vcc_lo
	v_cmp_eq_u32_e32 vcc_lo, 0, v16
	s_cselect_b32 s3, -1, 0
	s_cmp_lt_i32 s4, 1
	v_mov_b32_dpp v12, v10 row_half_mirror row_mask:0xf bank_mask:0xf
	v_mov_b32_dpp v27, v8 row_half_mirror row_mask:0xf bank_mask:0xf
	s_cbranch_scc1 .LBB67_18
; %bb.7:
	s_load_b128 s[8:11], s[0:1], 0x20
	s_delay_alu instid0(VALU_DEP_2) | instskip(NEXT) | instid1(VALU_DEP_2)
	v_cmp_eq_f32_e64 s0, v10, v12
	v_cmp_lt_i32_e64 s1, v27, v8
	v_cmp_lt_f32_e64 s2, v10, v12
	v_mul_lo_u32 v9, v15, s7
	v_mul_lo_u32 v11, v15, s14
	v_mul_lo_u32 v13, v15, s4
	s_and_b32 s0, s0, s1
	v_mov_b32_e32 v14, 0
	s_or_b32 s0, s2, s0
	s_delay_alu instid0(SALU_CYCLE_1)
	v_cndmask_b32_e64 v8, v8, v27, s0
	v_cndmask_b32_e64 v27, v10, v12, s0
	s_and_saveexec_b32 s2, vcc_lo
	s_cbranch_execz .LBB67_9
; %bb.8:
	s_delay_alu instid0(VALU_DEP_1)
	v_sub_f32_e32 v34, v27, v27
	v_cmp_le_i32_e64 s0, s5, v8
	v_cmp_gt_i32_e64 s1, s6, v8
	v_subrev_nc_u32_e32 v35, s5, v8
	v_ashrrev_i32_e32 v14, 31, v13
	v_mul_f32_e32 v10, 0x3fb8aa3b, v34
	s_delay_alu instid0(VALU_DEP_4) | instskip(NEXT) | instid1(SALU_CYCLE_1)
	s_and_b32 s0, s0, s1
	s_and_b32 s0, s17, s0
	s_delay_alu instid0(VALU_DEP_1) | instskip(SKIP_2) | instid1(VALU_DEP_3)
	v_rndne_f32_e32 v30, v10
	v_fma_f32 v12, 0x3fb8aa3b, v34, -v10
	v_lshlrev_b64 v[32:33], 2, v[13:14]
	v_sub_f32_e32 v10, v10, v30
	s_delay_alu instid0(VALU_DEP_3) | instskip(NEXT) | instid1(VALU_DEP_1)
	v_fmamk_f32 v12, v34, 0x32a5705f, v12
	v_add_f32_e32 v12, v10, v12
	v_ashrrev_i32_e32 v10, 31, v9
	s_delay_alu instid0(VALU_DEP_2) | instskip(NEXT) | instid1(VALU_DEP_1)
	v_exp_f32_e32 v36, v12
	v_lshlrev_b64 v[28:29], 2, v[9:10]
	v_ashrrev_i32_e32 v12, 31, v11
	v_cvt_i32_f32_e32 v10, v30
	s_delay_alu instid0(VALU_DEP_2) | instskip(SKIP_2) | instid1(VALU_DEP_1)
	v_lshlrev_b64 v[30:31], 2, v[11:12]
	v_cndmask_b32_e64 v12, 64, v35, s0
	v_add_co_u32 v28, s0, s12, v28
	v_add_co_ci_u32_e64 v29, s0, s13, v29, s0
	s_delay_alu instid0(TRANS32_DEP_1) | instskip(SKIP_1) | instid1(VALU_DEP_1)
	v_ldexp_f32 v10, v36, v10
	v_cmp_ngt_f32_e64 s0, 0xc2ce8ed0, v34
	v_cndmask_b32_e64 v10, 0, v10, s0
	s_waitcnt lgkmcnt(0)
	v_add_co_u32 v30, s0, s8, v30
	s_delay_alu instid0(VALU_DEP_1) | instskip(SKIP_1) | instid1(VALU_DEP_1)
	v_add_co_ci_u32_e64 v31, s0, s9, v31, s0
	v_cmp_nlt_f32_e64 s0, 0x42b17218, v34
	v_cndmask_b32_e64 v14, 0x7f800000, v10, s0
	v_add_co_u32 v32, s0, s10, v32
	s_delay_alu instid0(VALU_DEP_1)
	v_add_co_ci_u32_e64 v33, s0, s11, v33, s0
	global_store_b32 v[30:31], v12, off
	global_store_b32 v[28:29], v14, off
	;; [unrolled: 1-line block ×3, first 2 shown]
.LBB67_9:
	s_or_b32 exec_lo, exec_lo, s2
	v_ashrrev_i32_e32 v12, 31, v8
	s_mov_b32 s1, exec_lo
	s_delay_alu instid0(VALU_DEP_1) | instskip(NEXT) | instid1(VALU_DEP_1)
	v_lshrrev_b32_e32 v10, 29, v12
	v_add_nc_u32_e32 v10, v8, v10
	s_delay_alu instid0(VALU_DEP_1) | instskip(NEXT) | instid1(VALU_DEP_1)
	v_ashrrev_i32_e32 v10, 3, v10
	v_lshrrev_b32_e32 v28, 29, v10
	s_delay_alu instid0(VALU_DEP_1) | instskip(NEXT) | instid1(VALU_DEP_1)
	v_add_nc_u32_e32 v28, v10, v28
	v_and_b32_e32 v28, -8, v28
	s_delay_alu instid0(VALU_DEP_1) | instskip(NEXT) | instid1(VALU_DEP_1)
	v_sub_nc_u32_e32 v28, v10, v28
	v_cmpx_eq_u32_e64 v16, v28
	s_cbranch_execz .LBB67_11
; %bb.10:
	v_lshrrev_b32_e32 v12, 26, v12
	v_lshlrev_b32_e32 v10, 3, v10
	s_delay_alu instid0(VALU_DEP_2) | instskip(NEXT) | instid1(VALU_DEP_2)
	v_add_nc_u32_e32 v12, v8, v12
	v_sub_nc_u32_e32 v8, v8, v10
	s_delay_alu instid0(VALU_DEP_2) | instskip(NEXT) | instid1(VALU_DEP_1)
	v_ashrrev_i32_e32 v10, 6, v12
	v_lshl_add_u32 v8, v10, 3, v8
	s_delay_alu instid0(VALU_DEP_1) | instskip(NEXT) | instid1(VALU_DEP_1)
	v_cmp_ne_u32_e64 s0, 7, v8
	v_cndmask_b32_e64 v3, 0xff800000, v3, s0
	v_cmp_ne_u32_e64 s0, 6, v8
	s_delay_alu instid0(VALU_DEP_1) | instskip(SKIP_1) | instid1(VALU_DEP_1)
	v_cndmask_b32_e64 v2, 0xff800000, v2, s0
	v_cmp_ne_u32_e64 s0, 5, v8
	v_cndmask_b32_e64 v1, 0xff800000, v1, s0
	v_cmp_ne_u32_e64 s0, 4, v8
	s_delay_alu instid0(VALU_DEP_1) | instskip(SKIP_1) | instid1(VALU_DEP_1)
	v_cndmask_b32_e64 v0, 0xff800000, v0, s0
	;; [unrolled: 5-line block ×3, first 2 shown]
	v_cmp_ne_u32_e64 s0, 1, v8
	v_cndmask_b32_e64 v5, 0xff800000, v5, s0
	v_cmp_ne_u32_e64 s0, 0, v8
	s_delay_alu instid0(VALU_DEP_1)
	v_cndmask_b32_e64 v4, 0xff800000, v4, s0
.LBB67_11:
	s_or_b32 exec_lo, exec_lo, s1
	s_cmp_eq_u32 s4, 1
	s_cbranch_scc1 .LBB67_18
; %bb.12:
	s_add_i32 s18, s18, s16
	v_add_nc_u32_e32 v8, 1, v13
	v_add3_u32 v25, s18, v26, v25
	v_add_nc_u32_e32 v10, 1, v11
	v_add_nc_u32_e32 v12, 1, v9
	s_add_i32 s14, s4, -1
	s_branch .LBB67_14
.LBB67_13:                              ;   in Loop: Header=BB67_14 Depth=1
	s_or_b32 exec_lo, exec_lo, s1
	v_add_nc_u32_e32 v25, s16, v25
	v_add_nc_u32_e32 v8, 1, v8
	;; [unrolled: 1-line block ×4, first 2 shown]
	s_add_i32 s14, s14, -1
	s_delay_alu instid0(SALU_CYCLE_1)
	s_cmp_eq_u32 s14, 0
	s_cbranch_scc1 .LBB67_18
.LBB67_14:                              ; =>This Inner Loop Header: Depth=1
	v_cmp_gt_f32_e64 s0, v5, v4
	s_delay_alu instid0(VALU_DEP_1) | instskip(SKIP_1) | instid1(VALU_DEP_2)
	v_cndmask_b32_e64 v11, v4, v5, s0
	v_cndmask_b32_e64 v9, v17, v18, s0
	v_cmp_gt_f32_e64 s0, v6, v11
	s_delay_alu instid0(VALU_DEP_1) | instskip(NEXT) | instid1(VALU_DEP_3)
	v_cndmask_b32_e64 v11, v11, v6, s0
	v_cndmask_b32_e64 v9, v9, v19, s0
	s_delay_alu instid0(VALU_DEP_2) | instskip(NEXT) | instid1(VALU_DEP_1)
	v_cmp_gt_f32_e64 s0, v7, v11
	v_cndmask_b32_e64 v11, v11, v7, s0
	s_delay_alu instid0(VALU_DEP_3) | instskip(NEXT) | instid1(VALU_DEP_2)
	v_cndmask_b32_e64 v9, v9, v20, s0
	v_cmp_gt_f32_e64 s0, v0, v11
	s_delay_alu instid0(VALU_DEP_1) | instskip(NEXT) | instid1(VALU_DEP_3)
	v_cndmask_b32_e64 v11, v11, v0, s0
	v_cndmask_b32_e64 v9, v9, v21, s0
	s_delay_alu instid0(VALU_DEP_2) | instskip(NEXT) | instid1(VALU_DEP_1)
	v_cmp_gt_f32_e64 s0, v1, v11
	v_cndmask_b32_e64 v11, v11, v1, s0
	s_delay_alu instid0(VALU_DEP_3) | instskip(NEXT) | instid1(VALU_DEP_2)
	v_cndmask_b32_e64 v9, v9, v22, s0
	v_cmp_gt_f32_e64 s0, v2, v11
	s_delay_alu instid0(VALU_DEP_1) | instskip(NEXT) | instid1(VALU_DEP_3)
	v_cndmask_b32_e64 v11, v11, v2, s0
	v_cndmask_b32_e64 v9, v9, v23, s0
	s_delay_alu instid0(VALU_DEP_2) | instskip(NEXT) | instid1(VALU_DEP_1)
	v_cmp_gt_f32_e64 s0, v3, v11
	v_cndmask_b32_e64 v9, v9, v24, s0
	v_cndmask_b32_e64 v11, v11, v3, s0
	s_delay_alu instid0(VALU_DEP_2) | instskip(NEXT) | instid1(VALU_DEP_2)
	v_mov_b32_dpp v13, v9 quad_perm:[1,0,3,2] row_mask:0xf bank_mask:0xf
	v_mov_b32_dpp v26, v11 quad_perm:[1,0,3,2] row_mask:0xf bank_mask:0xf
	s_delay_alu instid0(VALU_DEP_2) | instskip(NEXT) | instid1(VALU_DEP_2)
	v_cmp_lt_i32_e64 s0, v13, v9
	v_cmp_eq_f32_e64 s1, v11, v26
	v_cmp_lt_f32_e64 s2, v11, v26
	s_delay_alu instid0(VALU_DEP_2)
	s_and_b32 s0, s1, s0
	s_delay_alu instid0(VALU_DEP_1) | instid1(SALU_CYCLE_1)
	s_or_b32 s0, s2, s0
	s_delay_alu instid0(SALU_CYCLE_1) | instskip(SKIP_1) | instid1(VALU_DEP_2)
	v_cndmask_b32_e64 v11, v11, v26, s0
	v_cndmask_b32_e64 v13, v9, v13, s0
	v_mov_b32_dpp v9, v11 quad_perm:[2,3,0,1] row_mask:0xf bank_mask:0xf
	s_delay_alu instid0(VALU_DEP_2) | instskip(NEXT) | instid1(VALU_DEP_2)
	v_mov_b32_dpp v26, v13 quad_perm:[2,3,0,1] row_mask:0xf bank_mask:0xf
	v_cmp_eq_f32_e64 s0, v11, v9
	s_delay_alu instid0(VALU_DEP_2) | instskip(SKIP_1) | instid1(VALU_DEP_2)
	v_cmp_lt_i32_e64 s1, v26, v13
	v_cmp_lt_f32_e64 s2, v11, v9
	s_and_b32 s0, s0, s1
	s_delay_alu instid0(VALU_DEP_1) | instid1(SALU_CYCLE_1)
	s_or_b32 s0, s2, s0
	s_delay_alu instid0(SALU_CYCLE_1) | instskip(SKIP_1) | instid1(VALU_DEP_2)
	v_cndmask_b32_e64 v9, v11, v9, s0
	v_cndmask_b32_e64 v13, v13, v26, s0
	v_mov_b32_dpp v11, v9 row_half_mirror row_mask:0xf bank_mask:0xf
	s_delay_alu instid0(VALU_DEP_2) | instskip(NEXT) | instid1(VALU_DEP_2)
	v_mov_b32_dpp v26, v13 row_half_mirror row_mask:0xf bank_mask:0xf
	v_cmp_eq_f32_e64 s0, v9, v11
	s_delay_alu instid0(VALU_DEP_2) | instskip(SKIP_1) | instid1(VALU_DEP_2)
	v_cmp_lt_i32_e64 s1, v26, v13
	v_cmp_lt_f32_e64 s2, v9, v11
	s_and_b32 s0, s0, s1
	s_delay_alu instid0(VALU_DEP_1) | instid1(SALU_CYCLE_1)
	s_or_b32 s0, s2, s0
	s_delay_alu instid0(SALU_CYCLE_1)
	v_cndmask_b32_e64 v26, v13, v26, s0
	s_and_saveexec_b32 s2, vcc_lo
	s_cbranch_execz .LBB67_16
; %bb.15:                               ;   in Loop: Header=BB67_14 Depth=1
	v_cndmask_b32_e64 v9, v9, v11, s0
	s_delay_alu instid0(VALU_DEP_2) | instskip(SKIP_4) | instid1(VALU_DEP_4)
	v_cmp_le_i32_e64 s0, s5, v26
	v_cmp_gt_i32_e64 s1, s6, v26
	v_ashrrev_i32_e32 v13, 31, v12
	v_subrev_nc_u32_e32 v35, s5, v26
	v_sub_f32_e32 v34, v9, v27
	s_and_b32 s0, s0, s1
	s_delay_alu instid0(SALU_CYCLE_1) | instskip(NEXT) | instid1(VALU_DEP_1)
	s_and_b32 s0, s17, s0
	v_mul_f32_e32 v9, 0x3fb8aa3b, v34
	s_delay_alu instid0(VALU_DEP_1) | instskip(SKIP_1) | instid1(VALU_DEP_2)
	v_fma_f32 v11, 0x3fb8aa3b, v34, -v9
	v_rndne_f32_e32 v28, v9
	v_fmac_f32_e32 v11, 0x32a5705f, v34
	s_delay_alu instid0(VALU_DEP_2) | instskip(SKIP_2) | instid1(VALU_DEP_3)
	v_sub_f32_e32 v9, v9, v28
	v_cvt_i32_f32_e32 v33, v28
	v_lshlrev_b64 v[28:29], 2, v[12:13]
	v_add_f32_e32 v9, v9, v11
	v_ashrrev_i32_e32 v11, 31, v10
	s_delay_alu instid0(VALU_DEP_2) | instskip(SKIP_1) | instid1(VALU_DEP_2)
	v_exp_f32_e32 v32, v9
	v_ashrrev_i32_e32 v9, 31, v8
	v_lshlrev_b64 v[30:31], 2, v[10:11]
	s_waitcnt_depctr 0xfff
	v_ldexp_f32 v11, v32, v33
	v_lshlrev_b64 v[32:33], 2, v[8:9]
	v_cndmask_b32_e64 v9, 64, v35, s0
	v_cmp_ngt_f32_e64 s0, 0xc2ce8ed0, v34
	s_delay_alu instid0(VALU_DEP_1) | instskip(SKIP_1) | instid1(VALU_DEP_1)
	v_cndmask_b32_e64 v11, 0, v11, s0
	v_add_co_u32 v28, s0, s12, v28
	v_add_co_ci_u32_e64 v29, s0, s13, v29, s0
	v_cmp_nlt_f32_e64 s0, 0x42b17218, v34
	s_delay_alu instid0(VALU_DEP_1) | instskip(SKIP_2) | instid1(VALU_DEP_1)
	v_cndmask_b32_e64 v11, 0x7f800000, v11, s0
	s_waitcnt lgkmcnt(0)
	v_add_co_u32 v30, s0, s8, v30
	v_add_co_ci_u32_e64 v31, s0, s9, v31, s0
	s_delay_alu instid0(VALU_DEP_3) | instskip(SKIP_1) | instid1(VALU_DEP_1)
	v_add_f32_e32 v14, v14, v11
	v_add_co_u32 v32, s0, s10, v32
	v_add_co_ci_u32_e64 v33, s0, s11, v33, s0
	global_store_b32 v[28:29], v11, off
	global_store_b32 v[30:31], v9, off
	;; [unrolled: 1-line block ×3, first 2 shown]
.LBB67_16:                              ;   in Loop: Header=BB67_14 Depth=1
	s_or_b32 exec_lo, exec_lo, s2
	s_delay_alu instid0(VALU_DEP_1) | instskip(SKIP_1) | instid1(VALU_DEP_1)
	v_ashrrev_i32_e32 v11, 31, v26
	s_mov_b32 s1, exec_lo
	v_lshrrev_b32_e32 v9, 29, v11
	s_delay_alu instid0(VALU_DEP_1) | instskip(NEXT) | instid1(VALU_DEP_1)
	v_add_nc_u32_e32 v9, v26, v9
	v_ashrrev_i32_e32 v9, 3, v9
	s_delay_alu instid0(VALU_DEP_1) | instskip(NEXT) | instid1(VALU_DEP_1)
	v_lshrrev_b32_e32 v13, 29, v9
	v_add_nc_u32_e32 v13, v9, v13
	s_delay_alu instid0(VALU_DEP_1) | instskip(NEXT) | instid1(VALU_DEP_1)
	v_and_b32_e32 v13, -8, v13
	v_sub_nc_u32_e32 v13, v9, v13
	s_delay_alu instid0(VALU_DEP_1)
	v_cmpx_eq_u32_e64 v16, v13
	s_cbranch_execz .LBB67_13
; %bb.17:                               ;   in Loop: Header=BB67_14 Depth=1
	v_lshrrev_b32_e32 v11, 26, v11
	v_lshlrev_b32_e32 v9, 3, v9
	s_delay_alu instid0(VALU_DEP_2) | instskip(NEXT) | instid1(VALU_DEP_2)
	v_add_nc_u32_e32 v11, v26, v11
	v_sub_nc_u32_e32 v9, v26, v9
	s_delay_alu instid0(VALU_DEP_2) | instskip(NEXT) | instid1(VALU_DEP_1)
	v_ashrrev_i32_e32 v11, 6, v11
	v_lshl_add_u32 v9, v11, 3, v9
	s_delay_alu instid0(VALU_DEP_1) | instskip(NEXT) | instid1(VALU_DEP_1)
	v_cmp_ne_u32_e64 s0, 7, v9
	v_cndmask_b32_e64 v3, 0xff800000, v3, s0
	v_cmp_ne_u32_e64 s0, 6, v9
	s_delay_alu instid0(VALU_DEP_1) | instskip(SKIP_1) | instid1(VALU_DEP_1)
	v_cndmask_b32_e64 v2, 0xff800000, v2, s0
	v_cmp_ne_u32_e64 s0, 5, v9
	v_cndmask_b32_e64 v1, 0xff800000, v1, s0
	v_cmp_ne_u32_e64 s0, 4, v9
	s_delay_alu instid0(VALU_DEP_1) | instskip(SKIP_1) | instid1(VALU_DEP_1)
	v_cndmask_b32_e64 v0, 0xff800000, v0, s0
	;; [unrolled: 5-line block ×3, first 2 shown]
	v_cmp_ne_u32_e64 s0, 1, v9
	v_cndmask_b32_e64 v5, 0xff800000, v5, s0
	v_cmp_ne_u32_e64 s0, 0, v9
	s_delay_alu instid0(VALU_DEP_1)
	v_cndmask_b32_e64 v4, 0xff800000, v4, s0
	s_branch .LBB67_13
.LBB67_18:
	v_cmp_eq_u32_e32 vcc_lo, 0, v16
	v_cmp_neq_f32_e64 s0, 0, v14
	s_delay_alu instid0(VALU_DEP_1) | instskip(NEXT) | instid1(SALU_CYCLE_1)
	s_and_b32 s0, vcc_lo, s0
	s_and_b32 exec_lo, exec_lo, s0
	s_cbranch_execz .LBB67_22
; %bb.19:
	s_and_not1_b32 vcc_lo, exec_lo, s3
	s_cbranch_vccnz .LBB67_22
; %bb.20:
	v_div_scale_f32 v1, null, v14, v14, 1.0
	v_div_scale_f32 v3, vcc_lo, 1.0, v14, 1.0
	s_delay_alu instid0(VALU_DEP_2) | instskip(SKIP_2) | instid1(VALU_DEP_1)
	v_rcp_f32_e32 v2, v1
	s_waitcnt_depctr 0xfff
	v_fma_f32 v0, -v1, v2, 1.0
	v_fmac_f32_e32 v2, v0, v2
	v_mul_lo_u32 v0, v15, s7
	s_delay_alu instid0(VALU_DEP_2) | instskip(NEXT) | instid1(VALU_DEP_1)
	v_mul_f32_e32 v4, v3, v2
	v_fma_f32 v5, -v1, v4, v3
	s_delay_alu instid0(VALU_DEP_1) | instskip(NEXT) | instid1(VALU_DEP_1)
	v_fmac_f32_e32 v4, v5, v2
	v_fma_f32 v3, -v1, v4, v3
	v_ashrrev_i32_e32 v1, 31, v0
	s_delay_alu instid0(VALU_DEP_2) | instskip(NEXT) | instid1(VALU_DEP_2)
	v_div_fmas_f32 v2, v3, v2, v4
	v_lshlrev_b64 v[0:1], 2, v[0:1]
	s_delay_alu instid0(VALU_DEP_2) | instskip(NEXT) | instid1(VALU_DEP_2)
	v_div_fixup_f32 v2, v2, v14, 1.0
	v_add_co_u32 v0, vcc_lo, s12, v0
	s_delay_alu instid0(VALU_DEP_3)
	v_add_co_ci_u32_e32 v1, vcc_lo, s13, v1, vcc_lo
.LBB67_21:                              ; =>This Inner Loop Header: Depth=1
	global_load_b32 v3, v[0:1], off
	s_add_i32 s4, s4, -1
	s_delay_alu instid0(SALU_CYCLE_1)
	s_cmp_lg_u32 s4, 0
	s_waitcnt vmcnt(0)
	v_mul_f32_e32 v3, v2, v3
	global_store_b32 v[0:1], v3, off
	v_add_co_u32 v0, vcc_lo, v0, 4
	v_add_co_ci_u32_e32 v1, vcc_lo, 0, v1, vcc_lo
	s_cbranch_scc1 .LBB67_21
.LBB67_22:
	s_nop 0
	s_sendmsg sendmsg(MSG_DEALLOC_VGPRS)
	s_endpgm
	.section	.rodata,"a",@progbits
	.p2align	6, 0x0
	.amdhsa_kernel _ZN4vllm3moe17topkGatingSoftmaxIfLi8ELi64ELi8ELi32ELb1ELi4ELNS0_23SharedExpertScoringFuncE1EEEvPKT_PKbPfiPiS9_iiiiii
		.amdhsa_group_segment_fixed_size 0
		.amdhsa_private_segment_fixed_size 0
		.amdhsa_kernarg_size 72
		.amdhsa_user_sgpr_count 15
		.amdhsa_user_sgpr_dispatch_ptr 0
		.amdhsa_user_sgpr_queue_ptr 0
		.amdhsa_user_sgpr_kernarg_segment_ptr 1
		.amdhsa_user_sgpr_dispatch_id 0
		.amdhsa_user_sgpr_private_segment_size 0
		.amdhsa_wavefront_size32 1
		.amdhsa_uses_dynamic_stack 0
		.amdhsa_enable_private_segment 0
		.amdhsa_system_sgpr_workgroup_id_x 1
		.amdhsa_system_sgpr_workgroup_id_y 0
		.amdhsa_system_sgpr_workgroup_id_z 0
		.amdhsa_system_sgpr_workgroup_info 0
		.amdhsa_system_vgpr_workitem_id 1
		.amdhsa_next_free_vgpr 37
		.amdhsa_next_free_sgpr 19
		.amdhsa_reserve_vcc 1
		.amdhsa_float_round_mode_32 0
		.amdhsa_float_round_mode_16_64 0
		.amdhsa_float_denorm_mode_32 3
		.amdhsa_float_denorm_mode_16_64 3
		.amdhsa_dx10_clamp 1
		.amdhsa_ieee_mode 1
		.amdhsa_fp16_overflow 0
		.amdhsa_workgroup_processor_mode 1
		.amdhsa_memory_ordered 1
		.amdhsa_forward_progress 0
		.amdhsa_shared_vgpr_count 0
		.amdhsa_exception_fp_ieee_invalid_op 0
		.amdhsa_exception_fp_denorm_src 0
		.amdhsa_exception_fp_ieee_div_zero 0
		.amdhsa_exception_fp_ieee_overflow 0
		.amdhsa_exception_fp_ieee_underflow 0
		.amdhsa_exception_fp_ieee_inexact 0
		.amdhsa_exception_int_div_zero 0
	.end_amdhsa_kernel
	.section	.text._ZN4vllm3moe17topkGatingSoftmaxIfLi8ELi64ELi8ELi32ELb1ELi4ELNS0_23SharedExpertScoringFuncE1EEEvPKT_PKbPfiPiS9_iiiiii,"axG",@progbits,_ZN4vllm3moe17topkGatingSoftmaxIfLi8ELi64ELi8ELi32ELb1ELi4ELNS0_23SharedExpertScoringFuncE1EEEvPKT_PKbPfiPiS9_iiiiii,comdat
.Lfunc_end67:
	.size	_ZN4vllm3moe17topkGatingSoftmaxIfLi8ELi64ELi8ELi32ELb1ELi4ELNS0_23SharedExpertScoringFuncE1EEEvPKT_PKbPfiPiS9_iiiiii, .Lfunc_end67-_ZN4vllm3moe17topkGatingSoftmaxIfLi8ELi64ELi8ELi32ELb1ELi4ELNS0_23SharedExpertScoringFuncE1EEEvPKT_PKbPfiPiS9_iiiiii
                                        ; -- End function
	.section	.AMDGPU.csdata,"",@progbits
; Kernel info:
; codeLenInByte = 2932
; NumSgprs: 21
; NumVgprs: 37
; ScratchSize: 0
; MemoryBound: 0
; FloatMode: 240
; IeeeMode: 1
; LDSByteSize: 0 bytes/workgroup (compile time only)
; SGPRBlocks: 2
; VGPRBlocks: 4
; NumSGPRsForWavesPerEU: 21
; NumVGPRsForWavesPerEU: 37
; Occupancy: 16
; WaveLimiterHint : 0
; COMPUTE_PGM_RSRC2:SCRATCH_EN: 0
; COMPUTE_PGM_RSRC2:USER_SGPR: 15
; COMPUTE_PGM_RSRC2:TRAP_HANDLER: 0
; COMPUTE_PGM_RSRC2:TGID_X_EN: 1
; COMPUTE_PGM_RSRC2:TGID_Y_EN: 0
; COMPUTE_PGM_RSRC2:TGID_Z_EN: 0
; COMPUTE_PGM_RSRC2:TIDIG_COMP_CNT: 1
	.section	.text._ZN4vllm3moe17topkGatingSoftmaxIfLi8ELi64ELi8ELi32ELb0ELi4ELNS0_23SharedExpertScoringFuncE1EEEvPKT_PKbPfiPiS9_iiiiii,"axG",@progbits,_ZN4vllm3moe17topkGatingSoftmaxIfLi8ELi64ELi8ELi32ELb0ELi4ELNS0_23SharedExpertScoringFuncE1EEEvPKT_PKbPfiPiS9_iiiiii,comdat
	.protected	_ZN4vllm3moe17topkGatingSoftmaxIfLi8ELi64ELi8ELi32ELb0ELi4ELNS0_23SharedExpertScoringFuncE1EEEvPKT_PKbPfiPiS9_iiiiii ; -- Begin function _ZN4vllm3moe17topkGatingSoftmaxIfLi8ELi64ELi8ELi32ELb0ELi4ELNS0_23SharedExpertScoringFuncE1EEEvPKT_PKbPfiPiS9_iiiiii
	.globl	_ZN4vllm3moe17topkGatingSoftmaxIfLi8ELi64ELi8ELi32ELb0ELi4ELNS0_23SharedExpertScoringFuncE1EEEvPKT_PKbPfiPiS9_iiiiii
	.p2align	8
	.type	_ZN4vllm3moe17topkGatingSoftmaxIfLi8ELi64ELi8ELi32ELb0ELi4ELNS0_23SharedExpertScoringFuncE1EEEvPKT_PKbPfiPiS9_iiiiii,@function
_ZN4vllm3moe17topkGatingSoftmaxIfLi8ELi64ELi8ELi32ELb0ELi4ELNS0_23SharedExpertScoringFuncE1EEEvPKT_PKbPfiPiS9_iiiiii: ; @_ZN4vllm3moe17topkGatingSoftmaxIfLi8ELi64ELi8ELi32ELb0ELi4ELNS0_23SharedExpertScoringFuncE1EEEvPKT_PKbPfiPiS9_iiiiii
; %bb.0:
	s_load_b32 s16, s[0:1], 0x18
	v_bfe_u32 v1, v0, 10, 10
	v_and_b32_e32 v0, 0x3ff, v0
	s_lshl_b32 s18, s15, 5
	s_mov_b32 s2, exec_lo
	s_delay_alu instid0(VALU_DEP_2) | instskip(NEXT) | instid1(VALU_DEP_2)
	v_lshlrev_b32_e32 v26, 2, v1
	v_lshrrev_b32_e32 v27, 3, v0
	s_delay_alu instid0(VALU_DEP_1) | instskip(SKIP_1) | instid1(VALU_DEP_1)
	v_add3_u32 v15, s18, v26, v27
	s_waitcnt lgkmcnt(0)
	v_cmpx_gt_i32_e64 s16, v15
	s_cbranch_execz .LBB68_23
; %bb.1:
	s_clause 0x1
	s_load_b128 s[4:7], s[0:1], 0x0
	s_load_b64 s[12:13], s[0:1], 0x10
	s_waitcnt lgkmcnt(0)
	s_cmp_eq_u64 s[6:7], 0
	s_cbranch_scc1 .LBB68_3
; %bb.2:
	v_ashrrev_i32_e32 v2, 31, v15
	v_add_co_u32 v1, vcc_lo, s6, v15
	s_delay_alu instid0(VALU_DEP_2) | instskip(SKIP_3) | instid1(VALU_DEP_1)
	v_add_co_ci_u32_e32 v2, vcc_lo, s7, v2, vcc_lo
	global_load_u8 v1, v[1:2], off
	s_waitcnt vmcnt(0)
	v_and_b32_e32 v1, 1, v1
	v_cmp_eq_u32_e32 vcc_lo, 1, v1
	s_xor_b32 s2, vcc_lo, -1
	s_delay_alu instid0(SALU_CYCLE_1)
	s_or_not1_b32 s17, s2, exec_lo
	s_branch .LBB68_4
.LBB68_3:
	s_mov_b32 s17, -1
.LBB68_4:
	s_load_b64 s[14:15], s[0:1], 0x40
	v_and_b32_e32 v16, 7, v0
	v_mov_b32_e32 v14, 0
	s_mov_b32 s2, exec_lo
	s_delay_alu instid0(VALU_DEP_2) | instskip(SKIP_2) | instid1(VALU_DEP_1)
	v_lshlrev_b32_e32 v18, 3, v16
	s_waitcnt lgkmcnt(0)
	v_mul_lo_u32 v1, v15, s15
	v_ashrrev_i32_e32 v2, 31, v1
	s_delay_alu instid0(VALU_DEP_1) | instskip(SKIP_1) | instid1(VALU_DEP_2)
	v_lshlrev_b64 v[0:1], 2, v[1:2]
	v_lshlrev_b32_e32 v2, 5, v16
	v_add_co_u32 v8, vcc_lo, s4, v0
	s_delay_alu instid0(VALU_DEP_3) | instskip(SKIP_1) | instid1(VALU_DEP_2)
	v_add_co_ci_u32_e32 v9, vcc_lo, s5, v1, vcc_lo
	s_load_b128 s[4:7], s[0:1], 0x30
	v_add_co_u32 v4, vcc_lo, v8, v2
	s_delay_alu instid0(VALU_DEP_2)
	v_add_co_ci_u32_e32 v5, vcc_lo, 0, v9, vcc_lo
	s_clause 0x1
	global_load_b128 v[0:3], v[4:5], off offset:16
	global_load_b128 v[4:7], v[4:5], off
	v_cmpx_gt_u32_e32 4, v16
	s_cbranch_execz .LBB68_6
; %bb.5:
	v_lshlrev_b32_e32 v10, 2, v16
	s_delay_alu instid0(VALU_DEP_1)
	v_add_co_u32 v8, vcc_lo, v8, v10
	v_add_co_ci_u32_e32 v9, vcc_lo, 0, v9, vcc_lo
	global_load_b32 v8, v[8:9], off offset:256
	s_waitcnt vmcnt(0)
	v_mul_f32_e32 v9, 0xbfb8aa3b, v8
	v_cmp_nlt_f32_e32 vcc_lo, 0x42ce8ed0, v8
	s_delay_alu instid0(VALU_DEP_2) | instskip(SKIP_1) | instid1(VALU_DEP_1)
	v_fma_f32 v10, 0xbfb8aa3b, v8, -v9
	v_rndne_f32_e32 v11, v9
	v_dual_fmamk_f32 v10, v8, 0xb2a5705f, v10 :: v_dual_sub_f32 v9, v9, v11
	s_delay_alu instid0(VALU_DEP_1) | instskip(SKIP_1) | instid1(VALU_DEP_2)
	v_add_f32_e32 v9, v9, v10
	v_cvt_i32_f32_e32 v10, v11
	v_exp_f32_e32 v9, v9
	s_waitcnt_depctr 0xfff
	v_ldexp_f32 v9, v9, v10
	s_delay_alu instid0(VALU_DEP_1) | instskip(SKIP_1) | instid1(VALU_DEP_2)
	v_cndmask_b32_e32 v9, 0, v9, vcc_lo
	v_cmp_ngt_f32_e32 vcc_lo, 0xc2b17218, v8
	v_cndmask_b32_e32 v8, 0x7f800000, v9, vcc_lo
	s_delay_alu instid0(VALU_DEP_1) | instskip(NEXT) | instid1(VALU_DEP_1)
	v_add_f32_e32 v10, 1.0, v8
	v_div_scale_f32 v9, null, v10, v10, 1.0
	v_div_scale_f32 v12, vcc_lo, 1.0, v10, 1.0
	s_delay_alu instid0(VALU_DEP_2) | instskip(SKIP_2) | instid1(VALU_DEP_1)
	v_rcp_f32_e32 v11, v9
	s_waitcnt_depctr 0xfff
	v_fma_f32 v8, -v9, v11, 1.0
	v_fmac_f32_e32 v11, v8, v11
	s_waitcnt lgkmcnt(0)
	v_mul_lo_u32 v8, v15, s7
	s_delay_alu instid0(VALU_DEP_2) | instskip(NEXT) | instid1(VALU_DEP_2)
	v_mul_f32_e32 v13, v12, v11
	v_add3_u32 v8, v8, s4, v16
	s_delay_alu instid0(VALU_DEP_2) | instskip(NEXT) | instid1(VALU_DEP_1)
	v_fma_f32 v17, -v9, v13, v12
	v_fmac_f32_e32 v13, v17, v11
	s_delay_alu instid0(VALU_DEP_1) | instskip(NEXT) | instid1(VALU_DEP_4)
	v_fma_f32 v12, -v9, v13, v12
	v_ashrrev_i32_e32 v9, 31, v8
	s_delay_alu instid0(VALU_DEP_2) | instskip(NEXT) | instid1(VALU_DEP_2)
	v_div_fmas_f32 v11, v12, v11, v13
	v_lshlrev_b64 v[8:9], 2, v[8:9]
	s_delay_alu instid0(VALU_DEP_2) | instskip(NEXT) | instid1(VALU_DEP_2)
	v_div_fixup_f32 v10, v11, v10, 1.0
	v_add_co_u32 v8, vcc_lo, s12, v8
	s_delay_alu instid0(VALU_DEP_3)
	v_add_co_ci_u32_e32 v9, vcc_lo, s13, v9, vcc_lo
	global_store_b32 v[8:9], v10, off
.LBB68_6:
	s_or_b32 exec_lo, exec_lo, s2
	v_or_b32_e32 v19, 1, v18
	s_waitcnt vmcnt(0)
	v_cmp_lt_f32_e32 vcc_lo, v4, v5
	v_or_b32_e32 v20, 2, v18
	v_or_b32_e32 v21, 3, v18
	;; [unrolled: 1-line block ×4, first 2 shown]
	v_dual_cndmask_b32 v8, v18, v19 :: v_dual_cndmask_b32 v9, v4, v5
	v_or_b32_e32 v24, 6, v18
	v_or_b32_e32 v25, 7, v18
	s_delay_alu instid0(VALU_DEP_3) | instskip(NEXT) | instid1(VALU_DEP_4)
	v_cmp_lt_f32_e32 vcc_lo, v9, v6
	v_dual_cndmask_b32 v8, v8, v20 :: v_dual_cndmask_b32 v9, v9, v6
	s_delay_alu instid0(VALU_DEP_1) | instskip(NEXT) | instid1(VALU_DEP_2)
	v_cmp_lt_f32_e32 vcc_lo, v9, v7
	v_dual_cndmask_b32 v8, v8, v21 :: v_dual_cndmask_b32 v9, v9, v7
	s_delay_alu instid0(VALU_DEP_1) | instskip(NEXT) | instid1(VALU_DEP_2)
	;; [unrolled: 3-line block ×6, first 2 shown]
	v_mov_b32_dpp v10, v8 quad_perm:[1,0,3,2] row_mask:0xf bank_mask:0xf
	v_mov_b32_dpp v11, v9 quad_perm:[1,0,3,2] row_mask:0xf bank_mask:0xf
	s_delay_alu instid0(VALU_DEP_2) | instskip(NEXT) | instid1(VALU_DEP_2)
	v_cmp_lt_i32_e32 vcc_lo, v10, v8
	v_cmp_eq_f32_e64 s2, v9, v11
	v_cmp_lt_f32_e64 s3, v9, v11
	s_delay_alu instid0(VALU_DEP_2)
	s_and_b32 s2, s2, vcc_lo
	s_delay_alu instid0(VALU_DEP_1) | instid1(SALU_CYCLE_1)
	s_or_b32 vcc_lo, s3, s2
	v_dual_cndmask_b32 v9, v9, v11 :: v_dual_cndmask_b32 v8, v8, v10
	s_delay_alu instid0(VALU_DEP_1) | instskip(NEXT) | instid1(VALU_DEP_2)
	v_mov_b32_dpp v10, v9 quad_perm:[2,3,0,1] row_mask:0xf bank_mask:0xf
	v_mov_b32_dpp v11, v8 quad_perm:[2,3,0,1] row_mask:0xf bank_mask:0xf
	s_delay_alu instid0(VALU_DEP_2) | instskip(NEXT) | instid1(VALU_DEP_2)
	v_cmp_eq_f32_e32 vcc_lo, v9, v10
	v_cmp_lt_i32_e64 s2, v11, v8
	v_cmp_lt_f32_e64 s3, v9, v10
	s_delay_alu instid0(VALU_DEP_2)
	s_and_b32 s2, vcc_lo, s2
	s_delay_alu instid0(VALU_DEP_1) | instid1(SALU_CYCLE_1)
	s_or_b32 vcc_lo, s3, s2
	v_dual_cndmask_b32 v9, v9, v10 :: v_dual_cndmask_b32 v8, v8, v11
	s_delay_alu instid0(VALU_DEP_1) | instskip(NEXT) | instid1(VALU_DEP_2)
	v_mov_b32_dpp v11, v9 row_half_mirror row_mask:0xf bank_mask:0xf
	v_mov_b32_dpp v10, v8 row_half_mirror row_mask:0xf bank_mask:0xf
	s_delay_alu instid0(VALU_DEP_2) | instskip(NEXT) | instid1(VALU_DEP_2)
	v_cmp_eq_f32_e32 vcc_lo, v9, v11
	v_cmp_lt_i32_e64 s2, v10, v8
	v_cmp_lt_f32_e64 s3, v9, v11
	s_delay_alu instid0(VALU_DEP_2) | instskip(SKIP_1) | instid1(VALU_DEP_2)
	s_and_b32 s2, vcc_lo, s2
	v_cmp_eq_u32_e32 vcc_lo, 0, v16
	s_or_b32 s2, s3, s2
	s_waitcnt lgkmcnt(0)
	s_cmp_gt_i32 s4, 0
	v_cndmask_b32_e64 v17, v9, v11, s2
	s_cselect_b32 s3, -1, 0
	s_cmp_lt_i32 s4, 1
	s_cbranch_scc1 .LBB68_18
; %bb.7:
	s_load_b128 s[8:11], s[0:1], 0x20
	v_mul_lo_u32 v9, v15, s7
	v_mul_lo_u32 v11, v15, s14
	;; [unrolled: 1-line block ×3, first 2 shown]
	v_cndmask_b32_e64 v8, v8, v10, s2
	v_mov_b32_e32 v14, 0
	s_and_saveexec_b32 s2, vcc_lo
	s_cbranch_execz .LBB68_9
; %bb.8:
	v_sub_f32_e32 v34, v17, v17
	v_cmp_le_i32_e64 s0, s5, v8
	v_cmp_gt_i32_e64 s1, s6, v8
	v_subrev_nc_u32_e32 v35, s5, v8
	v_ashrrev_i32_e32 v14, 31, v13
	v_mul_f32_e32 v10, 0x3fb8aa3b, v34
	s_delay_alu instid0(VALU_DEP_4) | instskip(NEXT) | instid1(SALU_CYCLE_1)
	s_and_b32 s0, s0, s1
	s_and_b32 s0, s17, s0
	s_delay_alu instid0(VALU_DEP_1) | instskip(SKIP_2) | instid1(VALU_DEP_3)
	v_rndne_f32_e32 v30, v10
	v_fma_f32 v12, 0x3fb8aa3b, v34, -v10
	v_lshlrev_b64 v[32:33], 2, v[13:14]
	v_sub_f32_e32 v10, v10, v30
	s_delay_alu instid0(VALU_DEP_3) | instskip(NEXT) | instid1(VALU_DEP_1)
	v_fmamk_f32 v12, v34, 0x32a5705f, v12
	v_add_f32_e32 v12, v10, v12
	v_ashrrev_i32_e32 v10, 31, v9
	s_delay_alu instid0(VALU_DEP_2) | instskip(NEXT) | instid1(VALU_DEP_1)
	v_exp_f32_e32 v36, v12
	v_lshlrev_b64 v[28:29], 2, v[9:10]
	v_ashrrev_i32_e32 v12, 31, v11
	v_cvt_i32_f32_e32 v10, v30
	s_delay_alu instid0(VALU_DEP_2) | instskip(SKIP_2) | instid1(VALU_DEP_1)
	v_lshlrev_b64 v[30:31], 2, v[11:12]
	v_cndmask_b32_e64 v12, 64, v35, s0
	v_add_co_u32 v28, s0, s12, v28
	v_add_co_ci_u32_e64 v29, s0, s13, v29, s0
	s_delay_alu instid0(TRANS32_DEP_1) | instskip(SKIP_1) | instid1(VALU_DEP_1)
	v_ldexp_f32 v10, v36, v10
	v_cmp_ngt_f32_e64 s0, 0xc2ce8ed0, v34
	v_cndmask_b32_e64 v10, 0, v10, s0
	s_waitcnt lgkmcnt(0)
	v_add_co_u32 v30, s0, s8, v30
	s_delay_alu instid0(VALU_DEP_1) | instskip(SKIP_1) | instid1(VALU_DEP_1)
	v_add_co_ci_u32_e64 v31, s0, s9, v31, s0
	v_cmp_nlt_f32_e64 s0, 0x42b17218, v34
	v_cndmask_b32_e64 v14, 0x7f800000, v10, s0
	v_add_co_u32 v32, s0, s10, v32
	s_delay_alu instid0(VALU_DEP_1)
	v_add_co_ci_u32_e64 v33, s0, s11, v33, s0
	global_store_b32 v[30:31], v12, off
	global_store_b32 v[28:29], v14, off
	;; [unrolled: 1-line block ×3, first 2 shown]
.LBB68_9:
	s_or_b32 exec_lo, exec_lo, s2
	v_ashrrev_i32_e32 v12, 31, v8
	s_mov_b32 s1, exec_lo
	s_delay_alu instid0(VALU_DEP_1) | instskip(NEXT) | instid1(VALU_DEP_1)
	v_lshrrev_b32_e32 v10, 29, v12
	v_add_nc_u32_e32 v10, v8, v10
	s_delay_alu instid0(VALU_DEP_1) | instskip(NEXT) | instid1(VALU_DEP_1)
	v_ashrrev_i32_e32 v10, 3, v10
	v_lshrrev_b32_e32 v28, 29, v10
	s_delay_alu instid0(VALU_DEP_1) | instskip(NEXT) | instid1(VALU_DEP_1)
	v_add_nc_u32_e32 v28, v10, v28
	v_and_b32_e32 v28, -8, v28
	s_delay_alu instid0(VALU_DEP_1) | instskip(NEXT) | instid1(VALU_DEP_1)
	v_sub_nc_u32_e32 v28, v10, v28
	v_cmpx_eq_u32_e64 v16, v28
	s_cbranch_execz .LBB68_11
; %bb.10:
	v_lshrrev_b32_e32 v12, 26, v12
	v_lshlrev_b32_e32 v10, 3, v10
	s_delay_alu instid0(VALU_DEP_2) | instskip(NEXT) | instid1(VALU_DEP_2)
	v_add_nc_u32_e32 v12, v8, v12
	v_sub_nc_u32_e32 v8, v8, v10
	s_delay_alu instid0(VALU_DEP_2) | instskip(NEXT) | instid1(VALU_DEP_1)
	v_ashrrev_i32_e32 v10, 6, v12
	v_lshl_add_u32 v8, v10, 3, v8
	s_delay_alu instid0(VALU_DEP_1) | instskip(NEXT) | instid1(VALU_DEP_1)
	v_cmp_ne_u32_e64 s0, 7, v8
	v_cndmask_b32_e64 v3, 0xff800000, v3, s0
	v_cmp_ne_u32_e64 s0, 6, v8
	s_delay_alu instid0(VALU_DEP_1) | instskip(SKIP_1) | instid1(VALU_DEP_1)
	v_cndmask_b32_e64 v2, 0xff800000, v2, s0
	v_cmp_ne_u32_e64 s0, 5, v8
	v_cndmask_b32_e64 v1, 0xff800000, v1, s0
	v_cmp_ne_u32_e64 s0, 4, v8
	s_delay_alu instid0(VALU_DEP_1) | instskip(SKIP_1) | instid1(VALU_DEP_1)
	v_cndmask_b32_e64 v0, 0xff800000, v0, s0
	;; [unrolled: 5-line block ×3, first 2 shown]
	v_cmp_ne_u32_e64 s0, 1, v8
	v_cndmask_b32_e64 v5, 0xff800000, v5, s0
	v_cmp_ne_u32_e64 s0, 0, v8
	s_delay_alu instid0(VALU_DEP_1)
	v_cndmask_b32_e64 v4, 0xff800000, v4, s0
.LBB68_11:
	s_or_b32 exec_lo, exec_lo, s1
	s_cmp_eq_u32 s4, 1
	s_cbranch_scc1 .LBB68_18
; %bb.12:
	s_add_i32 s18, s18, s16
	v_add_nc_u32_e32 v8, 1, v13
	v_add3_u32 v26, s18, v27, v26
	v_add_nc_u32_e32 v10, 1, v11
	v_add_nc_u32_e32 v12, 1, v9
	s_add_i32 s14, s4, -1
	s_branch .LBB68_14
.LBB68_13:                              ;   in Loop: Header=BB68_14 Depth=1
	s_or_b32 exec_lo, exec_lo, s1
	v_add_nc_u32_e32 v26, s16, v26
	v_add_nc_u32_e32 v8, 1, v8
	;; [unrolled: 1-line block ×4, first 2 shown]
	s_add_i32 s14, s14, -1
	s_delay_alu instid0(SALU_CYCLE_1)
	s_cmp_eq_u32 s14, 0
	s_cbranch_scc1 .LBB68_18
.LBB68_14:                              ; =>This Inner Loop Header: Depth=1
	v_cmp_gt_f32_e64 s0, v5, v4
	s_delay_alu instid0(VALU_DEP_1) | instskip(SKIP_1) | instid1(VALU_DEP_2)
	v_cndmask_b32_e64 v11, v4, v5, s0
	v_cndmask_b32_e64 v9, v18, v19, s0
	v_cmp_gt_f32_e64 s0, v6, v11
	s_delay_alu instid0(VALU_DEP_1) | instskip(NEXT) | instid1(VALU_DEP_3)
	v_cndmask_b32_e64 v11, v11, v6, s0
	v_cndmask_b32_e64 v9, v9, v20, s0
	s_delay_alu instid0(VALU_DEP_2) | instskip(NEXT) | instid1(VALU_DEP_1)
	v_cmp_gt_f32_e64 s0, v7, v11
	v_cndmask_b32_e64 v11, v11, v7, s0
	s_delay_alu instid0(VALU_DEP_3) | instskip(NEXT) | instid1(VALU_DEP_2)
	v_cndmask_b32_e64 v9, v9, v21, s0
	v_cmp_gt_f32_e64 s0, v0, v11
	s_delay_alu instid0(VALU_DEP_1) | instskip(NEXT) | instid1(VALU_DEP_3)
	v_cndmask_b32_e64 v11, v11, v0, s0
	v_cndmask_b32_e64 v9, v9, v22, s0
	s_delay_alu instid0(VALU_DEP_2) | instskip(NEXT) | instid1(VALU_DEP_1)
	v_cmp_gt_f32_e64 s0, v1, v11
	v_cndmask_b32_e64 v11, v11, v1, s0
	s_delay_alu instid0(VALU_DEP_3) | instskip(NEXT) | instid1(VALU_DEP_2)
	v_cndmask_b32_e64 v9, v9, v23, s0
	v_cmp_gt_f32_e64 s0, v2, v11
	s_delay_alu instid0(VALU_DEP_1) | instskip(NEXT) | instid1(VALU_DEP_3)
	v_cndmask_b32_e64 v11, v11, v2, s0
	v_cndmask_b32_e64 v9, v9, v24, s0
	s_delay_alu instid0(VALU_DEP_2) | instskip(NEXT) | instid1(VALU_DEP_1)
	v_cmp_gt_f32_e64 s0, v3, v11
	v_cndmask_b32_e64 v9, v9, v25, s0
	v_cndmask_b32_e64 v11, v11, v3, s0
	s_delay_alu instid0(VALU_DEP_2) | instskip(NEXT) | instid1(VALU_DEP_2)
	v_mov_b32_dpp v13, v9 quad_perm:[1,0,3,2] row_mask:0xf bank_mask:0xf
	v_mov_b32_dpp v27, v11 quad_perm:[1,0,3,2] row_mask:0xf bank_mask:0xf
	s_delay_alu instid0(VALU_DEP_2) | instskip(NEXT) | instid1(VALU_DEP_2)
	v_cmp_lt_i32_e64 s0, v13, v9
	v_cmp_eq_f32_e64 s1, v11, v27
	v_cmp_lt_f32_e64 s2, v11, v27
	s_delay_alu instid0(VALU_DEP_2)
	s_and_b32 s0, s1, s0
	s_delay_alu instid0(VALU_DEP_1) | instid1(SALU_CYCLE_1)
	s_or_b32 s0, s2, s0
	s_delay_alu instid0(SALU_CYCLE_1) | instskip(SKIP_1) | instid1(VALU_DEP_2)
	v_cndmask_b32_e64 v11, v11, v27, s0
	v_cndmask_b32_e64 v13, v9, v13, s0
	v_mov_b32_dpp v9, v11 quad_perm:[2,3,0,1] row_mask:0xf bank_mask:0xf
	s_delay_alu instid0(VALU_DEP_2) | instskip(NEXT) | instid1(VALU_DEP_2)
	v_mov_b32_dpp v27, v13 quad_perm:[2,3,0,1] row_mask:0xf bank_mask:0xf
	v_cmp_eq_f32_e64 s0, v11, v9
	s_delay_alu instid0(VALU_DEP_2) | instskip(SKIP_1) | instid1(VALU_DEP_2)
	v_cmp_lt_i32_e64 s1, v27, v13
	v_cmp_lt_f32_e64 s2, v11, v9
	s_and_b32 s0, s0, s1
	s_delay_alu instid0(VALU_DEP_1) | instid1(SALU_CYCLE_1)
	s_or_b32 s0, s2, s0
	s_delay_alu instid0(SALU_CYCLE_1) | instskip(SKIP_1) | instid1(VALU_DEP_2)
	v_cndmask_b32_e64 v9, v11, v9, s0
	v_cndmask_b32_e64 v13, v13, v27, s0
	v_mov_b32_dpp v11, v9 row_half_mirror row_mask:0xf bank_mask:0xf
	s_delay_alu instid0(VALU_DEP_2) | instskip(NEXT) | instid1(VALU_DEP_2)
	v_mov_b32_dpp v27, v13 row_half_mirror row_mask:0xf bank_mask:0xf
	v_cmp_eq_f32_e64 s0, v9, v11
	s_delay_alu instid0(VALU_DEP_2) | instskip(SKIP_1) | instid1(VALU_DEP_2)
	v_cmp_lt_i32_e64 s1, v27, v13
	v_cmp_lt_f32_e64 s2, v9, v11
	s_and_b32 s0, s0, s1
	s_delay_alu instid0(VALU_DEP_1) | instid1(SALU_CYCLE_1)
	s_or_b32 s0, s2, s0
	s_delay_alu instid0(SALU_CYCLE_1)
	v_cndmask_b32_e64 v27, v13, v27, s0
	s_and_saveexec_b32 s2, vcc_lo
	s_cbranch_execz .LBB68_16
; %bb.15:                               ;   in Loop: Header=BB68_14 Depth=1
	v_cndmask_b32_e64 v9, v9, v11, s0
	s_delay_alu instid0(VALU_DEP_2) | instskip(SKIP_4) | instid1(VALU_DEP_4)
	v_cmp_le_i32_e64 s0, s5, v27
	v_cmp_gt_i32_e64 s1, s6, v27
	v_ashrrev_i32_e32 v13, 31, v12
	v_subrev_nc_u32_e32 v35, s5, v27
	v_sub_f32_e32 v34, v9, v17
	s_and_b32 s0, s0, s1
	s_delay_alu instid0(SALU_CYCLE_1) | instskip(NEXT) | instid1(VALU_DEP_1)
	s_and_b32 s0, s17, s0
	v_mul_f32_e32 v9, 0x3fb8aa3b, v34
	s_delay_alu instid0(VALU_DEP_1) | instskip(SKIP_1) | instid1(VALU_DEP_2)
	v_fma_f32 v11, 0x3fb8aa3b, v34, -v9
	v_rndne_f32_e32 v28, v9
	v_fmac_f32_e32 v11, 0x32a5705f, v34
	s_delay_alu instid0(VALU_DEP_2) | instskip(SKIP_2) | instid1(VALU_DEP_3)
	v_sub_f32_e32 v9, v9, v28
	v_cvt_i32_f32_e32 v33, v28
	v_lshlrev_b64 v[28:29], 2, v[12:13]
	v_add_f32_e32 v9, v9, v11
	v_ashrrev_i32_e32 v11, 31, v10
	s_delay_alu instid0(VALU_DEP_2) | instskip(SKIP_1) | instid1(VALU_DEP_2)
	v_exp_f32_e32 v32, v9
	v_ashrrev_i32_e32 v9, 31, v8
	v_lshlrev_b64 v[30:31], 2, v[10:11]
	s_waitcnt_depctr 0xfff
	v_ldexp_f32 v11, v32, v33
	v_lshlrev_b64 v[32:33], 2, v[8:9]
	v_cndmask_b32_e64 v9, 64, v35, s0
	v_cmp_ngt_f32_e64 s0, 0xc2ce8ed0, v34
	s_delay_alu instid0(VALU_DEP_1) | instskip(SKIP_1) | instid1(VALU_DEP_1)
	v_cndmask_b32_e64 v11, 0, v11, s0
	v_add_co_u32 v28, s0, s12, v28
	v_add_co_ci_u32_e64 v29, s0, s13, v29, s0
	v_cmp_nlt_f32_e64 s0, 0x42b17218, v34
	s_delay_alu instid0(VALU_DEP_1) | instskip(SKIP_2) | instid1(VALU_DEP_1)
	v_cndmask_b32_e64 v11, 0x7f800000, v11, s0
	s_waitcnt lgkmcnt(0)
	v_add_co_u32 v30, s0, s8, v30
	v_add_co_ci_u32_e64 v31, s0, s9, v31, s0
	s_delay_alu instid0(VALU_DEP_3) | instskip(SKIP_1) | instid1(VALU_DEP_1)
	v_add_f32_e32 v14, v14, v11
	v_add_co_u32 v32, s0, s10, v32
	v_add_co_ci_u32_e64 v33, s0, s11, v33, s0
	global_store_b32 v[28:29], v11, off
	global_store_b32 v[30:31], v9, off
	;; [unrolled: 1-line block ×3, first 2 shown]
.LBB68_16:                              ;   in Loop: Header=BB68_14 Depth=1
	s_or_b32 exec_lo, exec_lo, s2
	s_delay_alu instid0(VALU_DEP_1) | instskip(SKIP_1) | instid1(VALU_DEP_1)
	v_ashrrev_i32_e32 v11, 31, v27
	s_mov_b32 s1, exec_lo
	v_lshrrev_b32_e32 v9, 29, v11
	s_delay_alu instid0(VALU_DEP_1) | instskip(NEXT) | instid1(VALU_DEP_1)
	v_add_nc_u32_e32 v9, v27, v9
	v_ashrrev_i32_e32 v9, 3, v9
	s_delay_alu instid0(VALU_DEP_1) | instskip(NEXT) | instid1(VALU_DEP_1)
	v_lshrrev_b32_e32 v13, 29, v9
	v_add_nc_u32_e32 v13, v9, v13
	s_delay_alu instid0(VALU_DEP_1) | instskip(NEXT) | instid1(VALU_DEP_1)
	v_and_b32_e32 v13, -8, v13
	v_sub_nc_u32_e32 v13, v9, v13
	s_delay_alu instid0(VALU_DEP_1)
	v_cmpx_eq_u32_e64 v16, v13
	s_cbranch_execz .LBB68_13
; %bb.17:                               ;   in Loop: Header=BB68_14 Depth=1
	v_lshrrev_b32_e32 v11, 26, v11
	v_lshlrev_b32_e32 v9, 3, v9
	s_delay_alu instid0(VALU_DEP_2) | instskip(NEXT) | instid1(VALU_DEP_2)
	v_add_nc_u32_e32 v11, v27, v11
	v_sub_nc_u32_e32 v9, v27, v9
	s_delay_alu instid0(VALU_DEP_2) | instskip(NEXT) | instid1(VALU_DEP_1)
	v_ashrrev_i32_e32 v11, 6, v11
	v_lshl_add_u32 v9, v11, 3, v9
	s_delay_alu instid0(VALU_DEP_1) | instskip(NEXT) | instid1(VALU_DEP_1)
	v_cmp_ne_u32_e64 s0, 7, v9
	v_cndmask_b32_e64 v3, 0xff800000, v3, s0
	v_cmp_ne_u32_e64 s0, 6, v9
	s_delay_alu instid0(VALU_DEP_1) | instskip(SKIP_1) | instid1(VALU_DEP_1)
	v_cndmask_b32_e64 v2, 0xff800000, v2, s0
	v_cmp_ne_u32_e64 s0, 5, v9
	v_cndmask_b32_e64 v1, 0xff800000, v1, s0
	v_cmp_ne_u32_e64 s0, 4, v9
	s_delay_alu instid0(VALU_DEP_1) | instskip(SKIP_1) | instid1(VALU_DEP_1)
	v_cndmask_b32_e64 v0, 0xff800000, v0, s0
	;; [unrolled: 5-line block ×3, first 2 shown]
	v_cmp_ne_u32_e64 s0, 1, v9
	v_cndmask_b32_e64 v5, 0xff800000, v5, s0
	v_cmp_ne_u32_e64 s0, 0, v9
	s_delay_alu instid0(VALU_DEP_1)
	v_cndmask_b32_e64 v4, 0xff800000, v4, s0
	s_branch .LBB68_13
.LBB68_18:
	s_delay_alu instid0(VALU_DEP_1)
	v_sub_f32_e32 v7, v7, v17
	v_sub_f32_e32 v4, v4, v17
	;; [unrolled: 1-line block ×5, first 2 shown]
	v_mul_f32_e32 v11, 0x3fb8aa3b, v7
	v_dual_sub_f32 v5, v5, v17 :: v_dual_mul_f32 v8, 0x3fb8aa3b, v4
	v_cmp_ngt_f32_e32 vcc_lo, 0xc2ce8ed0, v4
	v_sub_f32_e32 v3, v3, v17
	s_delay_alu instid0(VALU_DEP_4) | instskip(NEXT) | instid1(VALU_DEP_4)
	v_rndne_f32_e32 v23, v11
	v_fma_f32 v12, 0x3fb8aa3b, v4, -v8
	v_rndne_f32_e32 v13, v8
	s_delay_alu instid0(VALU_DEP_2) | instskip(NEXT) | instid1(VALU_DEP_2)
	v_fmac_f32_e32 v12, 0x32a5705f, v4
	v_sub_f32_e32 v8, v8, v13
	s_delay_alu instid0(VALU_DEP_1) | instskip(NEXT) | instid1(VALU_DEP_1)
	v_dual_mul_f32 v9, 0x3fb8aa3b, v5 :: v_dual_add_f32 v8, v8, v12
	v_rndne_f32_e32 v19, v9
	v_sub_f32_e32 v6, v6, v17
	v_fma_f32 v18, 0x3fb8aa3b, v5, -v9
	v_cvt_i32_f32_e32 v12, v13
	v_exp_f32_e32 v8, v8
	s_delay_alu instid0(VALU_DEP_3) | instskip(SKIP_3) | instid1(VALU_DEP_4)
	v_dual_sub_f32 v9, v9, v19 :: v_dual_mul_f32 v10, 0x3fb8aa3b, v6
	v_fma_f32 v22, 0x3fb8aa3b, v7, -v11
	v_sub_f32_e32 v11, v11, v23
	v_cvt_i32_f32_e32 v13, v19
	v_fma_f32 v20, 0x3fb8aa3b, v6, -v10
	s_delay_alu instid0(VALU_DEP_4) | instskip(SKIP_1) | instid1(TRANS32_DEP_1)
	v_fmac_f32_e32 v22, 0x32a5705f, v7
	v_fmac_f32_e32 v18, 0x32a5705f, v5
	v_ldexp_f32 v8, v8, v12
	v_rndne_f32_e32 v21, v10
	s_delay_alu instid0(VALU_DEP_4) | instskip(NEXT) | instid1(VALU_DEP_3)
	v_add_f32_e32 v11, v11, v22
	v_dual_add_f32 v9, v9, v18 :: v_dual_cndmask_b32 v8, 0, v8
	v_cmp_ngt_f32_e32 vcc_lo, 0xc2ce8ed0, v5
	s_delay_alu instid0(VALU_DEP_4) | instskip(SKIP_1) | instid1(VALU_DEP_4)
	v_sub_f32_e32 v10, v10, v21
	v_cvt_i32_f32_e32 v12, v21
	v_exp_f32_e32 v9, v9
	v_exp_f32_e32 v11, v11
	s_waitcnt_depctr 0xfff
	v_ldexp_f32 v9, v9, v13
	v_fmac_f32_e32 v20, 0x32a5705f, v6
	v_mul_f32_e32 v13, 0x3fb8aa3b, v3
	s_delay_alu instid0(VALU_DEP_3) | instskip(SKIP_1) | instid1(VALU_DEP_3)
	v_cndmask_b32_e32 v9, 0, v9, vcc_lo
	v_cmp_nlt_f32_e32 vcc_lo, 0x42b17218, v4
	v_rndne_f32_e32 v17, v13
	v_cndmask_b32_e32 v4, 0x7f800000, v8, vcc_lo
	v_cmp_nlt_f32_e32 vcc_lo, 0x42b17218, v5
	v_dual_add_f32 v10, v10, v20 :: v_dual_cndmask_b32 v5, 0x7f800000, v9
	s_delay_alu instid0(VALU_DEP_1) | instskip(SKIP_2) | instid1(VALU_DEP_3)
	v_exp_f32_e32 v10, v10
	v_cmp_ngt_f32_e32 vcc_lo, 0xc2ce8ed0, v6
	v_cvt_i32_f32_e32 v9, v23
	v_add_f32_e32 v4, v4, v5
	s_waitcnt_depctr 0xfff
	v_ldexp_f32 v10, v10, v12
	s_delay_alu instid0(VALU_DEP_1) | instskip(SKIP_2) | instid1(VALU_DEP_3)
	v_cndmask_b32_e32 v8, 0, v10, vcc_lo
	v_cmp_nlt_f32_e32 vcc_lo, 0x42b17218, v6
	v_mul_f32_e32 v10, 0x3fb8aa3b, v2
	v_cndmask_b32_e32 v5, 0x7f800000, v8, vcc_lo
	v_ldexp_f32 v8, v11, v9
	v_cmp_ngt_f32_e32 vcc_lo, 0xc2ce8ed0, v7
	s_delay_alu instid0(VALU_DEP_4)
	v_fma_f32 v11, 0x3fb8aa3b, v2, -v10
	v_rndne_f32_e32 v12, v10
	v_add_f32_e32 v4, v4, v5
	v_cndmask_b32_e32 v8, 0, v8, vcc_lo
	v_cmp_nlt_f32_e32 vcc_lo, 0x42b17218, v7
	v_fmac_f32_e32 v11, 0x32a5705f, v2
	s_delay_alu instid0(VALU_DEP_3) | instskip(SKIP_3) | instid1(VALU_DEP_4)
	v_cndmask_b32_e32 v7, 0x7f800000, v8, vcc_lo
	v_mul_f32_e32 v6, 0x3fb8aa3b, v0
	v_mul_f32_e32 v8, 0x3fb8aa3b, v1
	v_cmp_ngt_f32_e32 vcc_lo, 0xc2ce8ed0, v0
	v_add_f32_e32 v4, v4, v7
	s_delay_alu instid0(VALU_DEP_4) | instskip(SKIP_2) | instid1(VALU_DEP_2)
	v_fma_f32 v5, 0x3fb8aa3b, v0, -v6
	v_rndne_f32_e32 v9, v6
	v_rndne_f32_e32 v7, v8
	v_dual_fmac_f32 v5, 0x32a5705f, v0 :: v_dual_sub_f32 v6, v6, v9
	v_cvt_i32_f32_e32 v9, v9
	s_delay_alu instid0(VALU_DEP_2) | instskip(SKIP_3) | instid1(VALU_DEP_4)
	v_add_f32_e32 v5, v6, v5
	v_fma_f32 v6, 0x3fb8aa3b, v1, -v8
	v_sub_f32_e32 v8, v8, v7
	v_cvt_i32_f32_e32 v7, v7
	v_exp_f32_e32 v5, v5
	s_delay_alu instid0(VALU_DEP_3) | instskip(NEXT) | instid1(VALU_DEP_1)
	v_fmac_f32_e32 v6, 0x32a5705f, v1
	v_add_f32_e32 v6, v8, v6
	v_sub_f32_e32 v8, v10, v12
	v_fma_f32 v10, 0x3fb8aa3b, v3, -v13
	s_waitcnt_depctr 0xfff
	v_ldexp_f32 v5, v5, v9
	v_exp_f32_e32 v6, v6
	v_add_f32_e32 v8, v8, v11
	v_dual_fmac_f32 v10, 0x32a5705f, v3 :: v_dual_sub_f32 v9, v13, v17
	s_delay_alu instid0(VALU_DEP_3) | instskip(SKIP_1) | instid1(VALU_DEP_4)
	v_cndmask_b32_e32 v5, 0, v5, vcc_lo
	v_cmp_nlt_f32_e32 vcc_lo, 0x42b17218, v0
	v_exp_f32_e32 v8, v8
	s_delay_alu instid0(VALU_DEP_3) | instskip(NEXT) | instid1(TRANS32_DEP_2)
	v_add_f32_e32 v9, v9, v10
	v_ldexp_f32 v6, v6, v7
	v_cndmask_b32_e32 v0, 0x7f800000, v5, vcc_lo
	v_cmp_ngt_f32_e32 vcc_lo, 0xc2ce8ed0, v1
	v_cvt_i32_f32_e32 v5, v12
	v_exp_f32_e32 v7, v9
	s_delay_alu instid0(VALU_DEP_3) | instskip(SKIP_4) | instid1(VALU_DEP_4)
	v_add_f32_e32 v0, v4, v0
	v_cndmask_b32_e32 v6, 0, v6, vcc_lo
	v_cmp_nlt_f32_e32 vcc_lo, 0x42b17218, v1
	v_ldexp_f32 v4, v8, v5
	v_cvt_i32_f32_e32 v5, v17
	v_cndmask_b32_e32 v1, 0x7f800000, v6, vcc_lo
	v_cmp_ngt_f32_e32 vcc_lo, 0xc2ce8ed0, v2
	s_delay_alu instid0(TRANS32_DEP_1) | instid1(VALU_DEP_3)
	v_ldexp_f32 v5, v7, v5
	s_delay_alu instid0(VALU_DEP_3) | instskip(SKIP_2) | instid1(VALU_DEP_2)
	v_add_f32_e32 v0, v0, v1
	v_cndmask_b32_e32 v4, 0, v4, vcc_lo
	v_cmp_nlt_f32_e32 vcc_lo, 0x42b17218, v2
	v_cndmask_b32_e32 v1, 0x7f800000, v4, vcc_lo
	v_cmp_ngt_f32_e32 vcc_lo, 0xc2ce8ed0, v3
	s_delay_alu instid0(VALU_DEP_2) | instskip(SKIP_2) | instid1(VALU_DEP_2)
	v_add_f32_e32 v0, v0, v1
	v_cndmask_b32_e32 v2, 0, v5, vcc_lo
	v_cmp_nlt_f32_e32 vcc_lo, 0x42b17218, v3
	v_cndmask_b32_e32 v1, 0x7f800000, v2, vcc_lo
	v_cmp_eq_u32_e32 vcc_lo, 0, v16
	s_delay_alu instid0(VALU_DEP_2) | instskip(NEXT) | instid1(VALU_DEP_1)
	v_add_f32_e32 v0, v0, v1
	v_mov_b32_dpp v1, v0 quad_perm:[1,0,3,2] row_mask:0xf bank_mask:0xf
	s_delay_alu instid0(VALU_DEP_1) | instskip(NEXT) | instid1(VALU_DEP_1)
	v_add_f32_e32 v0, v0, v1
	v_mov_b32_dpp v1, v0 quad_perm:[2,3,0,1] row_mask:0xf bank_mask:0xf
	s_delay_alu instid0(VALU_DEP_1) | instskip(NEXT) | instid1(VALU_DEP_1)
	v_add_f32_e32 v0, v0, v1
	v_mov_b32_dpp v1, v0 row_half_mirror row_mask:0xf bank_mask:0xf
	s_and_b32 exec_lo, exec_lo, vcc_lo
	s_cbranch_execz .LBB68_23
; %bb.19:
	s_delay_alu instid0(VALU_DEP_1) | instskip(NEXT) | instid1(VALU_DEP_1)
	v_add_f32_e32 v0, v0, v1
	v_add_f32_e32 v0, v14, v0
	s_delay_alu instid0(VALU_DEP_1)
	v_cmp_neq_f32_e32 vcc_lo, 0, v0
	s_and_b32 exec_lo, exec_lo, vcc_lo
	s_cbranch_execz .LBB68_23
; %bb.20:
	s_and_not1_b32 vcc_lo, exec_lo, s3
	s_cbranch_vccnz .LBB68_23
; %bb.21:
	v_div_scale_f32 v2, null, v0, v0, 1.0
	v_div_scale_f32 v4, vcc_lo, 1.0, v0, 1.0
	s_delay_alu instid0(VALU_DEP_2) | instskip(SKIP_2) | instid1(VALU_DEP_1)
	v_rcp_f32_e32 v3, v2
	s_waitcnt_depctr 0xfff
	v_fma_f32 v1, -v2, v3, 1.0
	v_fmac_f32_e32 v3, v1, v3
	v_mul_lo_u32 v1, v15, s7
	s_delay_alu instid0(VALU_DEP_2) | instskip(NEXT) | instid1(VALU_DEP_1)
	v_mul_f32_e32 v5, v4, v3
	v_fma_f32 v6, -v2, v5, v4
	s_delay_alu instid0(VALU_DEP_1) | instskip(NEXT) | instid1(VALU_DEP_1)
	v_fmac_f32_e32 v5, v6, v3
	v_fma_f32 v4, -v2, v5, v4
	v_ashrrev_i32_e32 v2, 31, v1
	s_delay_alu instid0(VALU_DEP_2) | instskip(NEXT) | instid1(VALU_DEP_2)
	v_div_fmas_f32 v5, v4, v3, v5
	v_lshlrev_b64 v[3:4], 2, v[1:2]
	s_delay_alu instid0(VALU_DEP_2) | instskip(NEXT) | instid1(VALU_DEP_2)
	v_div_fixup_f32 v2, v5, v0, 1.0
	v_add_co_u32 v0, vcc_lo, s12, v3
	s_delay_alu instid0(VALU_DEP_3)
	v_add_co_ci_u32_e32 v1, vcc_lo, s13, v4, vcc_lo
.LBB68_22:                              ; =>This Inner Loop Header: Depth=1
	global_load_b32 v3, v[0:1], off
	s_add_i32 s4, s4, -1
	s_delay_alu instid0(SALU_CYCLE_1)
	s_cmp_lg_u32 s4, 0
	s_waitcnt vmcnt(0)
	v_mul_f32_e32 v3, v2, v3
	global_store_b32 v[0:1], v3, off
	v_add_co_u32 v0, vcc_lo, v0, 4
	v_add_co_ci_u32_e32 v1, vcc_lo, 0, v1, vcc_lo
	s_cbranch_scc1 .LBB68_22
.LBB68_23:
	s_nop 0
	s_sendmsg sendmsg(MSG_DEALLOC_VGPRS)
	s_endpgm
	.section	.rodata,"a",@progbits
	.p2align	6, 0x0
	.amdhsa_kernel _ZN4vllm3moe17topkGatingSoftmaxIfLi8ELi64ELi8ELi32ELb0ELi4ELNS0_23SharedExpertScoringFuncE1EEEvPKT_PKbPfiPiS9_iiiiii
		.amdhsa_group_segment_fixed_size 0
		.amdhsa_private_segment_fixed_size 0
		.amdhsa_kernarg_size 72
		.amdhsa_user_sgpr_count 15
		.amdhsa_user_sgpr_dispatch_ptr 0
		.amdhsa_user_sgpr_queue_ptr 0
		.amdhsa_user_sgpr_kernarg_segment_ptr 1
		.amdhsa_user_sgpr_dispatch_id 0
		.amdhsa_user_sgpr_private_segment_size 0
		.amdhsa_wavefront_size32 1
		.amdhsa_uses_dynamic_stack 0
		.amdhsa_enable_private_segment 0
		.amdhsa_system_sgpr_workgroup_id_x 1
		.amdhsa_system_sgpr_workgroup_id_y 0
		.amdhsa_system_sgpr_workgroup_id_z 0
		.amdhsa_system_sgpr_workgroup_info 0
		.amdhsa_system_vgpr_workitem_id 1
		.amdhsa_next_free_vgpr 37
		.amdhsa_next_free_sgpr 19
		.amdhsa_reserve_vcc 1
		.amdhsa_float_round_mode_32 0
		.amdhsa_float_round_mode_16_64 0
		.amdhsa_float_denorm_mode_32 3
		.amdhsa_float_denorm_mode_16_64 3
		.amdhsa_dx10_clamp 1
		.amdhsa_ieee_mode 1
		.amdhsa_fp16_overflow 0
		.amdhsa_workgroup_processor_mode 1
		.amdhsa_memory_ordered 1
		.amdhsa_forward_progress 0
		.amdhsa_shared_vgpr_count 0
		.amdhsa_exception_fp_ieee_invalid_op 0
		.amdhsa_exception_fp_denorm_src 0
		.amdhsa_exception_fp_ieee_div_zero 0
		.amdhsa_exception_fp_ieee_overflow 0
		.amdhsa_exception_fp_ieee_underflow 0
		.amdhsa_exception_fp_ieee_inexact 0
		.amdhsa_exception_int_div_zero 0
	.end_amdhsa_kernel
	.section	.text._ZN4vllm3moe17topkGatingSoftmaxIfLi8ELi64ELi8ELi32ELb0ELi4ELNS0_23SharedExpertScoringFuncE1EEEvPKT_PKbPfiPiS9_iiiiii,"axG",@progbits,_ZN4vllm3moe17topkGatingSoftmaxIfLi8ELi64ELi8ELi32ELb0ELi4ELNS0_23SharedExpertScoringFuncE1EEEvPKT_PKbPfiPiS9_iiiiii,comdat
.Lfunc_end68:
	.size	_ZN4vllm3moe17topkGatingSoftmaxIfLi8ELi64ELi8ELi32ELb0ELi4ELNS0_23SharedExpertScoringFuncE1EEEvPKT_PKbPfiPiS9_iiiiii, .Lfunc_end68-_ZN4vllm3moe17topkGatingSoftmaxIfLi8ELi64ELi8ELi32ELb0ELi4ELNS0_23SharedExpertScoringFuncE1EEEvPKT_PKbPfiPiS9_iiiiii
                                        ; -- End function
	.section	.AMDGPU.csdata,"",@progbits
; Kernel info:
; codeLenInByte = 3816
; NumSgprs: 21
; NumVgprs: 37
; ScratchSize: 0
; MemoryBound: 0
; FloatMode: 240
; IeeeMode: 1
; LDSByteSize: 0 bytes/workgroup (compile time only)
; SGPRBlocks: 2
; VGPRBlocks: 4
; NumSGPRsForWavesPerEU: 21
; NumVGPRsForWavesPerEU: 37
; Occupancy: 16
; WaveLimiterHint : 0
; COMPUTE_PGM_RSRC2:SCRATCH_EN: 0
; COMPUTE_PGM_RSRC2:USER_SGPR: 15
; COMPUTE_PGM_RSRC2:TRAP_HANDLER: 0
; COMPUTE_PGM_RSRC2:TGID_X_EN: 1
; COMPUTE_PGM_RSRC2:TGID_Y_EN: 0
; COMPUTE_PGM_RSRC2:TGID_Z_EN: 0
; COMPUTE_PGM_RSRC2:TIDIG_COMP_CNT: 1
	.section	.text._ZN4vllm3moe17topkGatingSoftmaxIfLi8ELi64ELi8ELi32ELb1ELi8ELNS0_23SharedExpertScoringFuncE1EEEvPKT_PKbPfiPiS9_iiiiii,"axG",@progbits,_ZN4vllm3moe17topkGatingSoftmaxIfLi8ELi64ELi8ELi32ELb1ELi8ELNS0_23SharedExpertScoringFuncE1EEEvPKT_PKbPfiPiS9_iiiiii,comdat
	.protected	_ZN4vllm3moe17topkGatingSoftmaxIfLi8ELi64ELi8ELi32ELb1ELi8ELNS0_23SharedExpertScoringFuncE1EEEvPKT_PKbPfiPiS9_iiiiii ; -- Begin function _ZN4vllm3moe17topkGatingSoftmaxIfLi8ELi64ELi8ELi32ELb1ELi8ELNS0_23SharedExpertScoringFuncE1EEEvPKT_PKbPfiPiS9_iiiiii
	.globl	_ZN4vllm3moe17topkGatingSoftmaxIfLi8ELi64ELi8ELi32ELb1ELi8ELNS0_23SharedExpertScoringFuncE1EEEvPKT_PKbPfiPiS9_iiiiii
	.p2align	8
	.type	_ZN4vllm3moe17topkGatingSoftmaxIfLi8ELi64ELi8ELi32ELb1ELi8ELNS0_23SharedExpertScoringFuncE1EEEvPKT_PKbPfiPiS9_iiiiii,@function
_ZN4vllm3moe17topkGatingSoftmaxIfLi8ELi64ELi8ELi32ELb1ELi8ELNS0_23SharedExpertScoringFuncE1EEEvPKT_PKbPfiPiS9_iiiiii: ; @_ZN4vllm3moe17topkGatingSoftmaxIfLi8ELi64ELi8ELi32ELb1ELi8ELNS0_23SharedExpertScoringFuncE1EEEvPKT_PKbPfiPiS9_iiiiii
; %bb.0:
	s_load_b32 s16, s[0:1], 0x18
	v_bfe_u32 v1, v0, 10, 10
	v_and_b32_e32 v0, 0x3ff, v0
	s_lshl_b32 s18, s15, 5
	s_mov_b32 s2, exec_lo
	s_delay_alu instid0(VALU_DEP_2) | instskip(NEXT) | instid1(VALU_DEP_2)
	v_lshlrev_b32_e32 v14, 2, v1
	v_lshrrev_b32_e32 v24, 3, v0
	s_delay_alu instid0(VALU_DEP_1) | instskip(SKIP_1) | instid1(VALU_DEP_1)
	v_add3_u32 v27, s18, v14, v24
	s_waitcnt lgkmcnt(0)
	v_cmpx_gt_i32_e64 s16, v27
	s_cbranch_execz .LBB69_20
; %bb.1:
	s_clause 0x1
	s_load_b128 s[4:7], s[0:1], 0x0
	s_load_b64 s[12:13], s[0:1], 0x10
	s_waitcnt lgkmcnt(0)
	s_cmp_eq_u64 s[6:7], 0
	s_cbranch_scc1 .LBB69_3
; %bb.2:
	v_ashrrev_i32_e32 v2, 31, v27
	v_add_co_u32 v1, vcc_lo, s6, v27
	s_delay_alu instid0(VALU_DEP_2) | instskip(SKIP_3) | instid1(VALU_DEP_1)
	v_add_co_ci_u32_e32 v2, vcc_lo, s7, v2, vcc_lo
	global_load_u8 v1, v[1:2], off
	s_waitcnt vmcnt(0)
	v_and_b32_e32 v1, 1, v1
	v_cmp_eq_u32_e32 vcc_lo, 1, v1
	s_xor_b32 s2, vcc_lo, -1
	s_delay_alu instid0(SALU_CYCLE_1)
	s_or_not1_b32 s17, s2, exec_lo
	s_branch .LBB69_4
.LBB69_3:
	s_mov_b32 s17, -1
.LBB69_4:
	s_clause 0x1
	s_load_b64 s[14:15], s[0:1], 0x40
	s_load_b128 s[8:11], s[0:1], 0x30
	v_and_b32_e32 v15, 7, v0
	s_delay_alu instid0(VALU_DEP_1) | instskip(SKIP_2) | instid1(VALU_DEP_1)
	v_dual_mov_b32 v25, 0 :: v_dual_lshlrev_b32 v8, 2, v15
	s_waitcnt lgkmcnt(0)
	v_mul_lo_u32 v1, v27, s15
	v_ashrrev_i32_e32 v2, 31, v1
	s_delay_alu instid0(VALU_DEP_1) | instskip(SKIP_1) | instid1(VALU_DEP_2)
	v_lshlrev_b64 v[0:1], 2, v[1:2]
	v_lshlrev_b32_e32 v2, 5, v15
	v_add_co_u32 v6, vcc_lo, s4, v0
	s_delay_alu instid0(VALU_DEP_3) | instskip(NEXT) | instid1(VALU_DEP_2)
	v_add_co_ci_u32_e32 v7, vcc_lo, s5, v1, vcc_lo
	v_add_co_u32 v4, vcc_lo, v6, v2
	s_delay_alu instid0(VALU_DEP_2)
	v_add_co_ci_u32_e32 v5, vcc_lo, 0, v7, vcc_lo
	v_add_co_u32 v6, vcc_lo, v6, v8
	v_add_co_ci_u32_e32 v7, vcc_lo, 0, v7, vcc_lo
	s_clause 0x2
	global_load_b128 v[0:3], v[4:5], off
	global_load_b32 v8, v[6:7], off offset:256
	global_load_b128 v[4:7], v[4:5], off offset:16
	s_waitcnt vmcnt(2)
	v_cmp_lt_f32_e32 vcc_lo, v0, v1
	s_waitcnt vmcnt(1)
	v_mul_f32_e32 v11, 0xbfb8aa3b, v8
	v_cmp_nlt_f32_e64 s2, 0x42ce8ed0, v8
	v_cndmask_b32_e32 v10, v0, v1, vcc_lo
	v_lshlrev_b32_e32 v16, 3, v15
	s_delay_alu instid0(VALU_DEP_4) | instskip(SKIP_1) | instid1(VALU_DEP_3)
	v_fma_f32 v12, 0xbfb8aa3b, v8, -v11
	v_rndne_f32_e32 v13, v11
	v_or_b32_e32 v17, 1, v16
	v_or_b32_e32 v18, 2, v16
	s_delay_alu instid0(VALU_DEP_3)
	v_sub_f32_e32 v11, v11, v13
	v_or_b32_e32 v19, 3, v16
	v_or_b32_e32 v20, 4, v16
	v_cndmask_b32_e32 v9, v16, v17, vcc_lo
	v_cmp_lt_f32_e32 vcc_lo, v10, v2
	v_or_b32_e32 v21, 5, v16
	v_or_b32_e32 v22, 6, v16
	v_or_b32_e32 v23, 7, v16
	v_cndmask_b32_e32 v10, v10, v2, vcc_lo
	v_cndmask_b32_e32 v9, v9, v18, vcc_lo
	s_delay_alu instid0(VALU_DEP_2) | instskip(NEXT) | instid1(VALU_DEP_2)
	v_cmp_lt_f32_e32 vcc_lo, v10, v3
	v_dual_fmamk_f32 v12, v8, 0xb2a5705f, v12 :: v_dual_cndmask_b32 v9, v9, v19
	s_delay_alu instid0(VALU_DEP_1) | instskip(SKIP_1) | instid1(VALU_DEP_2)
	v_dual_add_f32 v11, v11, v12 :: v_dual_cndmask_b32 v10, v10, v3
	v_cvt_i32_f32_e32 v12, v13
	v_exp_f32_e32 v11, v11
	s_waitcnt vmcnt(0)
	s_delay_alu instid0(VALU_DEP_2)
	v_cmp_lt_f32_e32 vcc_lo, v10, v4
	v_cndmask_b32_e32 v10, v10, v4, vcc_lo
	v_cndmask_b32_e32 v9, v9, v20, vcc_lo
	s_waitcnt_depctr 0xfff
	v_ldexp_f32 v11, v11, v12
	v_cmp_lt_f32_e32 vcc_lo, v10, v5
	s_delay_alu instid0(VALU_DEP_2) | instskip(SKIP_3) | instid1(VALU_DEP_4)
	v_cndmask_b32_e64 v11, 0, v11, s2
	v_cndmask_b32_e32 v10, v10, v5, vcc_lo
	v_cndmask_b32_e32 v9, v9, v21, vcc_lo
	v_cmp_ngt_f32_e32 vcc_lo, 0xc2b17218, v8
	v_cndmask_b32_e32 v8, 0x7f800000, v11, vcc_lo
	s_delay_alu instid0(VALU_DEP_4) | instskip(NEXT) | instid1(VALU_DEP_2)
	v_cmp_lt_f32_e32 vcc_lo, v10, v6
	v_add_f32_e32 v26, 1.0, v8
	v_cndmask_b32_e32 v8, v9, v22, vcc_lo
	v_cndmask_b32_e32 v9, v10, v6, vcc_lo
	s_delay_alu instid0(VALU_DEP_3) | instskip(NEXT) | instid1(VALU_DEP_2)
	v_div_scale_f32 v11, null, v26, v26, 1.0
	v_cmp_lt_f32_e32 vcc_lo, v9, v7
	s_delay_alu instid0(VALU_DEP_2) | instskip(SKIP_1) | instid1(VALU_DEP_1)
	v_rcp_f32_e32 v28, v11
	v_cndmask_b32_e32 v10, v8, v23, vcc_lo
	v_mov_b32_dpp v12, v10 quad_perm:[1,0,3,2] row_mask:0xf bank_mask:0xf
	s_waitcnt_depctr 0xfff
	v_fma_f32 v8, -v11, v28, 1.0
	v_cndmask_b32_e32 v9, v9, v7, vcc_lo
	v_cmp_lt_i32_e64 s2, v12, v10
	v_div_scale_f32 v29, vcc_lo, 1.0, v26, 1.0
	s_delay_alu instid0(VALU_DEP_4) | instskip(NEXT) | instid1(VALU_DEP_4)
	v_fmac_f32_e32 v28, v8, v28
	v_mov_b32_dpp v13, v9 quad_perm:[1,0,3,2] row_mask:0xf bank_mask:0xf
	v_mul_lo_u32 v8, v27, s11
	s_delay_alu instid0(VALU_DEP_2) | instskip(SKIP_1) | instid1(VALU_DEP_2)
	v_cmp_eq_f32_e64 s3, v9, v13
	v_cmp_lt_f32_e64 s4, v9, v13
	s_and_b32 s2, s3, s2
	s_delay_alu instid0(VALU_DEP_1) | instid1(SALU_CYCLE_1)
	s_or_b32 s2, s4, s2
	s_delay_alu instid0(SALU_CYCLE_1) | instskip(SKIP_2) | instid1(VALU_DEP_3)
	v_cndmask_b32_e64 v32, v10, v12, s2
	v_cndmask_b32_e64 v31, v9, v13, s2
	v_add3_u32 v9, v8, s8, v15
	v_mov_b32_dpp v34, v32 quad_perm:[2,3,0,1] row_mask:0xf bank_mask:0xf
	v_mul_f32_e32 v30, v29, v28
	s_delay_alu instid0(VALU_DEP_4) | instskip(NEXT) | instid1(VALU_DEP_4)
	v_mov_b32_dpp v33, v31 quad_perm:[2,3,0,1] row_mask:0xf bank_mask:0xf
	v_ashrrev_i32_e32 v10, 31, v9
	s_delay_alu instid0(VALU_DEP_4) | instskip(NEXT) | instid1(VALU_DEP_4)
	v_cmp_lt_i32_e64 s3, v34, v32
	v_fma_f32 v12, -v11, v30, v29
	s_delay_alu instid0(VALU_DEP_4) | instskip(SKIP_1) | instid1(VALU_DEP_3)
	v_cmp_eq_f32_e64 s2, v31, v33
	v_cmp_lt_f32_e64 s4, v31, v33
	v_fmac_f32_e32 v30, v12, v28
	v_lshlrev_b64 v[12:13], 2, v[9:10]
	s_delay_alu instid0(VALU_DEP_4) | instskip(NEXT) | instid1(VALU_DEP_2)
	s_and_b32 s2, s2, s3
	v_fma_f32 v9, -v11, v30, v29
	s_delay_alu instid0(VALU_DEP_1)
	v_div_fmas_f32 v10, v9, v28, v30
	s_or_b32 vcc_lo, s4, s2
	s_cmp_gt_i32 s8, 0
	v_cndmask_b32_e32 v11, v32, v34, vcc_lo
	v_cndmask_b32_e32 v9, v31, v33, vcc_lo
	v_add_co_u32 v28, vcc_lo, s12, v12
	v_add_co_ci_u32_e32 v29, vcc_lo, s13, v13, vcc_lo
	v_div_fixup_f32 v10, v10, v26, 1.0
	s_delay_alu instid0(VALU_DEP_4)
	v_mov_b32_dpp v13, v9 row_half_mirror row_mask:0xf bank_mask:0xf
	v_mov_b32_dpp v26, v11 row_half_mirror row_mask:0xf bank_mask:0xf
	v_cmp_eq_u32_e32 vcc_lo, 0, v15
	s_cselect_b32 s3, -1, 0
	s_cmp_lt_i32 s8, 1
	global_store_b32 v[28:29], v10, off
	s_cbranch_scc1 .LBB69_16
; %bb.5:
	s_load_b128 s[4:7], s[0:1], 0x20
	v_cmp_eq_f32_e64 s0, v9, v13
	v_cmp_lt_i32_e64 s1, v26, v11
	v_cmp_lt_f32_e64 s2, v9, v13
	v_mul_lo_u32 v10, v27, s14
	v_mul_lo_u32 v12, v27, s8
	v_mov_b32_e32 v25, 0
	s_and_b32 s0, s0, s1
	s_delay_alu instid0(SALU_CYCLE_1) | instskip(NEXT) | instid1(SALU_CYCLE_1)
	s_or_b32 s0, s2, s0
	v_cndmask_b32_e64 v28, v11, v26, s0
	v_cndmask_b32_e64 v26, v9, v13, s0
	s_and_saveexec_b32 s2, vcc_lo
	s_cbranch_execz .LBB69_7
; %bb.6:
	s_delay_alu instid0(VALU_DEP_1)
	v_sub_f32_e32 v25, v26, v26
	v_cmp_le_i32_e64 s0, s9, v28
	v_cmp_gt_i32_e64 s1, s10, v28
	v_subrev_nc_u32_e32 v35, s9, v28
	v_ashrrev_i32_e32 v13, 31, v12
	v_mul_f32_e32 v9, 0x3fb8aa3b, v25
	s_delay_alu instid0(VALU_DEP_4) | instskip(NEXT) | instid1(SALU_CYCLE_1)
	s_and_b32 s0, s0, s1
	s_and_b32 s0, s17, s0
	s_delay_alu instid0(VALU_DEP_1) | instskip(SKIP_2) | instid1(VALU_DEP_3)
	v_rndne_f32_e32 v31, v9
	v_fma_f32 v11, 0x3fb8aa3b, v25, -v9
	v_lshlrev_b64 v[33:34], 2, v[12:13]
	v_sub_f32_e32 v9, v9, v31
	s_delay_alu instid0(VALU_DEP_3) | instskip(NEXT) | instid1(VALU_DEP_1)
	v_fmamk_f32 v11, v25, 0x32a5705f, v11
	v_add_f32_e32 v11, v9, v11
	v_ashrrev_i32_e32 v9, 31, v8
	s_delay_alu instid0(VALU_DEP_2) | instskip(NEXT) | instid1(VALU_DEP_1)
	v_exp_f32_e32 v36, v11
	v_lshlrev_b64 v[29:30], 2, v[8:9]
	v_ashrrev_i32_e32 v11, 31, v10
	v_cvt_i32_f32_e32 v9, v31
	s_delay_alu instid0(VALU_DEP_2) | instskip(SKIP_2) | instid1(VALU_DEP_1)
	v_lshlrev_b64 v[31:32], 2, v[10:11]
	v_cndmask_b32_e64 v11, 64, v35, s0
	v_add_co_u32 v29, s0, s12, v29
	v_add_co_ci_u32_e64 v30, s0, s13, v30, s0
	s_delay_alu instid0(TRANS32_DEP_1) | instskip(SKIP_1) | instid1(VALU_DEP_1)
	v_ldexp_f32 v9, v36, v9
	v_cmp_ngt_f32_e64 s0, 0xc2ce8ed0, v25
	v_cndmask_b32_e64 v9, 0, v9, s0
	s_waitcnt lgkmcnt(0)
	v_add_co_u32 v31, s0, s4, v31
	s_delay_alu instid0(VALU_DEP_1) | instskip(SKIP_1) | instid1(VALU_DEP_1)
	v_add_co_ci_u32_e64 v32, s0, s5, v32, s0
	v_cmp_nlt_f32_e64 s0, 0x42b17218, v25
	v_cndmask_b32_e64 v25, 0x7f800000, v9, s0
	v_add_co_u32 v33, s0, s6, v33
	s_delay_alu instid0(VALU_DEP_1)
	v_add_co_ci_u32_e64 v34, s0, s7, v34, s0
	global_store_b32 v[31:32], v11, off
	global_store_b32 v[29:30], v25, off
	;; [unrolled: 1-line block ×3, first 2 shown]
.LBB69_7:
	s_or_b32 exec_lo, exec_lo, s2
	v_ashrrev_i32_e32 v11, 31, v28
	s_mov_b32 s1, exec_lo
	s_delay_alu instid0(VALU_DEP_1) | instskip(NEXT) | instid1(VALU_DEP_1)
	v_lshrrev_b32_e32 v9, 29, v11
	v_add_nc_u32_e32 v9, v28, v9
	s_delay_alu instid0(VALU_DEP_1) | instskip(NEXT) | instid1(VALU_DEP_1)
	v_ashrrev_i32_e32 v9, 3, v9
	v_lshrrev_b32_e32 v13, 29, v9
	s_delay_alu instid0(VALU_DEP_1) | instskip(NEXT) | instid1(VALU_DEP_1)
	v_add_nc_u32_e32 v13, v9, v13
	v_and_b32_e32 v13, -8, v13
	s_delay_alu instid0(VALU_DEP_1) | instskip(NEXT) | instid1(VALU_DEP_1)
	v_sub_nc_u32_e32 v13, v9, v13
	v_cmpx_eq_u32_e64 v15, v13
	s_cbranch_execz .LBB69_9
; %bb.8:
	v_lshrrev_b32_e32 v11, 26, v11
	v_lshlrev_b32_e32 v9, 3, v9
	s_delay_alu instid0(VALU_DEP_2) | instskip(NEXT) | instid1(VALU_DEP_2)
	v_add_nc_u32_e32 v11, v28, v11
	v_sub_nc_u32_e32 v9, v28, v9
	s_delay_alu instid0(VALU_DEP_2) | instskip(NEXT) | instid1(VALU_DEP_1)
	v_ashrrev_i32_e32 v11, 6, v11
	v_lshl_add_u32 v9, v11, 3, v9
	s_delay_alu instid0(VALU_DEP_1) | instskip(NEXT) | instid1(VALU_DEP_1)
	v_cmp_ne_u32_e64 s0, 7, v9
	v_cndmask_b32_e64 v7, 0xff800000, v7, s0
	v_cmp_ne_u32_e64 s0, 6, v9
	s_delay_alu instid0(VALU_DEP_1) | instskip(SKIP_1) | instid1(VALU_DEP_1)
	v_cndmask_b32_e64 v6, 0xff800000, v6, s0
	v_cmp_ne_u32_e64 s0, 5, v9
	v_cndmask_b32_e64 v5, 0xff800000, v5, s0
	v_cmp_ne_u32_e64 s0, 4, v9
	s_delay_alu instid0(VALU_DEP_1) | instskip(SKIP_1) | instid1(VALU_DEP_1)
	v_cndmask_b32_e64 v4, 0xff800000, v4, s0
	;; [unrolled: 5-line block ×3, first 2 shown]
	v_cmp_ne_u32_e64 s0, 1, v9
	v_cndmask_b32_e64 v1, 0xff800000, v1, s0
	v_cmp_ne_u32_e64 s0, 0, v9
	s_delay_alu instid0(VALU_DEP_1)
	v_cndmask_b32_e64 v0, 0xff800000, v0, s0
.LBB69_9:
	s_or_b32 exec_lo, exec_lo, s1
	s_cmp_eq_u32 s8, 1
	s_cbranch_scc1 .LBB69_16
; %bb.10:
	s_add_i32 s18, s18, s16
	v_add_nc_u32_e32 v9, 1, v12
	v_add3_u32 v24, s18, v24, v14
	v_add_nc_u32_e32 v11, 1, v10
	v_add_nc_u32_e32 v13, 1, v8
	s_add_i32 s11, s8, -1
	s_branch .LBB69_12
.LBB69_11:                              ;   in Loop: Header=BB69_12 Depth=1
	s_or_b32 exec_lo, exec_lo, s1
	v_add_nc_u32_e32 v24, s16, v24
	v_add_nc_u32_e32 v9, 1, v9
	;; [unrolled: 1-line block ×4, first 2 shown]
	s_add_i32 s11, s11, -1
	s_delay_alu instid0(SALU_CYCLE_1)
	s_cmp_eq_u32 s11, 0
	s_cbranch_scc1 .LBB69_16
.LBB69_12:                              ; =>This Inner Loop Header: Depth=1
	v_cmp_gt_f32_e64 s0, v1, v0
	s_delay_alu instid0(VALU_DEP_1) | instskip(SKIP_1) | instid1(VALU_DEP_2)
	v_cndmask_b32_e64 v12, v0, v1, s0
	v_cndmask_b32_e64 v10, v16, v17, s0
	v_cmp_gt_f32_e64 s0, v2, v12
	s_delay_alu instid0(VALU_DEP_1) | instskip(NEXT) | instid1(VALU_DEP_3)
	v_cndmask_b32_e64 v12, v12, v2, s0
	v_cndmask_b32_e64 v10, v10, v18, s0
	s_delay_alu instid0(VALU_DEP_2) | instskip(NEXT) | instid1(VALU_DEP_1)
	v_cmp_gt_f32_e64 s0, v3, v12
	v_cndmask_b32_e64 v12, v12, v3, s0
	s_delay_alu instid0(VALU_DEP_3) | instskip(NEXT) | instid1(VALU_DEP_2)
	v_cndmask_b32_e64 v10, v10, v19, s0
	v_cmp_gt_f32_e64 s0, v4, v12
	s_delay_alu instid0(VALU_DEP_1) | instskip(NEXT) | instid1(VALU_DEP_3)
	v_cndmask_b32_e64 v12, v12, v4, s0
	v_cndmask_b32_e64 v10, v10, v20, s0
	s_delay_alu instid0(VALU_DEP_2) | instskip(NEXT) | instid1(VALU_DEP_1)
	v_cmp_gt_f32_e64 s0, v5, v12
	v_cndmask_b32_e64 v12, v12, v5, s0
	s_delay_alu instid0(VALU_DEP_3) | instskip(NEXT) | instid1(VALU_DEP_2)
	v_cndmask_b32_e64 v10, v10, v21, s0
	v_cmp_gt_f32_e64 s0, v6, v12
	s_delay_alu instid0(VALU_DEP_1) | instskip(NEXT) | instid1(VALU_DEP_3)
	v_cndmask_b32_e64 v12, v12, v6, s0
	v_cndmask_b32_e64 v10, v10, v22, s0
	s_delay_alu instid0(VALU_DEP_2) | instskip(NEXT) | instid1(VALU_DEP_1)
	v_cmp_gt_f32_e64 s0, v7, v12
	v_cndmask_b32_e64 v10, v10, v23, s0
	v_cndmask_b32_e64 v12, v12, v7, s0
	s_delay_alu instid0(VALU_DEP_2) | instskip(NEXT) | instid1(VALU_DEP_2)
	v_mov_b32_dpp v14, v10 quad_perm:[1,0,3,2] row_mask:0xf bank_mask:0xf
	v_mov_b32_dpp v27, v12 quad_perm:[1,0,3,2] row_mask:0xf bank_mask:0xf
	s_delay_alu instid0(VALU_DEP_2) | instskip(NEXT) | instid1(VALU_DEP_2)
	v_cmp_lt_i32_e64 s0, v14, v10
	v_cmp_eq_f32_e64 s1, v12, v27
	v_cmp_lt_f32_e64 s2, v12, v27
	s_delay_alu instid0(VALU_DEP_2)
	s_and_b32 s0, s1, s0
	s_delay_alu instid0(VALU_DEP_1) | instid1(SALU_CYCLE_1)
	s_or_b32 s0, s2, s0
	s_delay_alu instid0(SALU_CYCLE_1) | instskip(SKIP_1) | instid1(VALU_DEP_2)
	v_cndmask_b32_e64 v12, v12, v27, s0
	v_cndmask_b32_e64 v14, v10, v14, s0
	v_mov_b32_dpp v10, v12 quad_perm:[2,3,0,1] row_mask:0xf bank_mask:0xf
	s_delay_alu instid0(VALU_DEP_2) | instskip(NEXT) | instid1(VALU_DEP_2)
	v_mov_b32_dpp v27, v14 quad_perm:[2,3,0,1] row_mask:0xf bank_mask:0xf
	v_cmp_eq_f32_e64 s0, v12, v10
	s_delay_alu instid0(VALU_DEP_2) | instskip(SKIP_1) | instid1(VALU_DEP_2)
	v_cmp_lt_i32_e64 s1, v27, v14
	v_cmp_lt_f32_e64 s2, v12, v10
	s_and_b32 s0, s0, s1
	s_delay_alu instid0(VALU_DEP_1) | instid1(SALU_CYCLE_1)
	s_or_b32 s0, s2, s0
	s_delay_alu instid0(SALU_CYCLE_1) | instskip(SKIP_1) | instid1(VALU_DEP_2)
	v_cndmask_b32_e64 v10, v12, v10, s0
	v_cndmask_b32_e64 v14, v14, v27, s0
	v_mov_b32_dpp v12, v10 row_half_mirror row_mask:0xf bank_mask:0xf
	s_delay_alu instid0(VALU_DEP_2) | instskip(NEXT) | instid1(VALU_DEP_2)
	v_mov_b32_dpp v27, v14 row_half_mirror row_mask:0xf bank_mask:0xf
	v_cmp_eq_f32_e64 s0, v10, v12
	s_delay_alu instid0(VALU_DEP_2) | instskip(SKIP_1) | instid1(VALU_DEP_2)
	v_cmp_lt_i32_e64 s1, v27, v14
	v_cmp_lt_f32_e64 s2, v10, v12
	s_and_b32 s0, s0, s1
	s_delay_alu instid0(VALU_DEP_1) | instid1(SALU_CYCLE_1)
	s_or_b32 s0, s2, s0
	s_delay_alu instid0(SALU_CYCLE_1)
	v_cndmask_b32_e64 v27, v14, v27, s0
	s_and_saveexec_b32 s2, vcc_lo
	s_cbranch_execz .LBB69_14
; %bb.13:                               ;   in Loop: Header=BB69_12 Depth=1
	v_cndmask_b32_e64 v10, v10, v12, s0
	s_delay_alu instid0(VALU_DEP_2) | instskip(SKIP_4) | instid1(VALU_DEP_4)
	v_cmp_le_i32_e64 s0, s9, v27
	v_cmp_gt_i32_e64 s1, s10, v27
	v_ashrrev_i32_e32 v14, 31, v13
	v_subrev_nc_u32_e32 v35, s9, v27
	v_sub_f32_e32 v34, v10, v26
	s_and_b32 s0, s0, s1
	s_delay_alu instid0(SALU_CYCLE_1) | instskip(NEXT) | instid1(VALU_DEP_1)
	s_and_b32 s0, s17, s0
	v_mul_f32_e32 v10, 0x3fb8aa3b, v34
	s_delay_alu instid0(VALU_DEP_1) | instskip(SKIP_1) | instid1(VALU_DEP_2)
	v_fma_f32 v12, 0x3fb8aa3b, v34, -v10
	v_rndne_f32_e32 v28, v10
	v_fmac_f32_e32 v12, 0x32a5705f, v34
	s_delay_alu instid0(VALU_DEP_2) | instskip(SKIP_2) | instid1(VALU_DEP_3)
	v_sub_f32_e32 v10, v10, v28
	v_cvt_i32_f32_e32 v33, v28
	v_lshlrev_b64 v[28:29], 2, v[13:14]
	v_add_f32_e32 v10, v10, v12
	v_ashrrev_i32_e32 v12, 31, v11
	s_delay_alu instid0(VALU_DEP_2) | instskip(SKIP_1) | instid1(VALU_DEP_2)
	v_exp_f32_e32 v32, v10
	v_ashrrev_i32_e32 v10, 31, v9
	v_lshlrev_b64 v[30:31], 2, v[11:12]
	s_waitcnt_depctr 0xfff
	v_ldexp_f32 v12, v32, v33
	v_lshlrev_b64 v[32:33], 2, v[9:10]
	v_cndmask_b32_e64 v10, 64, v35, s0
	v_cmp_ngt_f32_e64 s0, 0xc2ce8ed0, v34
	s_delay_alu instid0(VALU_DEP_1) | instskip(SKIP_1) | instid1(VALU_DEP_1)
	v_cndmask_b32_e64 v12, 0, v12, s0
	v_add_co_u32 v28, s0, s12, v28
	v_add_co_ci_u32_e64 v29, s0, s13, v29, s0
	v_cmp_nlt_f32_e64 s0, 0x42b17218, v34
	s_delay_alu instid0(VALU_DEP_1) | instskip(SKIP_2) | instid1(VALU_DEP_1)
	v_cndmask_b32_e64 v12, 0x7f800000, v12, s0
	s_waitcnt lgkmcnt(0)
	v_add_co_u32 v30, s0, s4, v30
	v_add_co_ci_u32_e64 v31, s0, s5, v31, s0
	s_delay_alu instid0(VALU_DEP_3) | instskip(SKIP_1) | instid1(VALU_DEP_1)
	v_add_f32_e32 v25, v25, v12
	v_add_co_u32 v32, s0, s6, v32
	v_add_co_ci_u32_e64 v33, s0, s7, v33, s0
	global_store_b32 v[28:29], v12, off
	global_store_b32 v[30:31], v10, off
	;; [unrolled: 1-line block ×3, first 2 shown]
.LBB69_14:                              ;   in Loop: Header=BB69_12 Depth=1
	s_or_b32 exec_lo, exec_lo, s2
	s_delay_alu instid0(VALU_DEP_1) | instskip(SKIP_1) | instid1(VALU_DEP_1)
	v_ashrrev_i32_e32 v12, 31, v27
	s_mov_b32 s1, exec_lo
	v_lshrrev_b32_e32 v10, 29, v12
	s_delay_alu instid0(VALU_DEP_1) | instskip(NEXT) | instid1(VALU_DEP_1)
	v_add_nc_u32_e32 v10, v27, v10
	v_ashrrev_i32_e32 v10, 3, v10
	s_delay_alu instid0(VALU_DEP_1) | instskip(NEXT) | instid1(VALU_DEP_1)
	v_lshrrev_b32_e32 v14, 29, v10
	v_add_nc_u32_e32 v14, v10, v14
	s_delay_alu instid0(VALU_DEP_1) | instskip(NEXT) | instid1(VALU_DEP_1)
	v_and_b32_e32 v14, -8, v14
	v_sub_nc_u32_e32 v14, v10, v14
	s_delay_alu instid0(VALU_DEP_1)
	v_cmpx_eq_u32_e64 v15, v14
	s_cbranch_execz .LBB69_11
; %bb.15:                               ;   in Loop: Header=BB69_12 Depth=1
	v_lshrrev_b32_e32 v12, 26, v12
	v_lshlrev_b32_e32 v10, 3, v10
	s_delay_alu instid0(VALU_DEP_2) | instskip(NEXT) | instid1(VALU_DEP_2)
	v_add_nc_u32_e32 v12, v27, v12
	v_sub_nc_u32_e32 v10, v27, v10
	s_delay_alu instid0(VALU_DEP_2) | instskip(NEXT) | instid1(VALU_DEP_1)
	v_ashrrev_i32_e32 v12, 6, v12
	v_lshl_add_u32 v10, v12, 3, v10
	s_delay_alu instid0(VALU_DEP_1) | instskip(NEXT) | instid1(VALU_DEP_1)
	v_cmp_ne_u32_e64 s0, 7, v10
	v_cndmask_b32_e64 v7, 0xff800000, v7, s0
	v_cmp_ne_u32_e64 s0, 6, v10
	s_delay_alu instid0(VALU_DEP_1) | instskip(SKIP_1) | instid1(VALU_DEP_1)
	v_cndmask_b32_e64 v6, 0xff800000, v6, s0
	v_cmp_ne_u32_e64 s0, 5, v10
	v_cndmask_b32_e64 v5, 0xff800000, v5, s0
	v_cmp_ne_u32_e64 s0, 4, v10
	s_delay_alu instid0(VALU_DEP_1) | instskip(SKIP_1) | instid1(VALU_DEP_1)
	v_cndmask_b32_e64 v4, 0xff800000, v4, s0
	;; [unrolled: 5-line block ×3, first 2 shown]
	v_cmp_ne_u32_e64 s0, 1, v10
	v_cndmask_b32_e64 v1, 0xff800000, v1, s0
	v_cmp_ne_u32_e64 s0, 0, v10
	s_delay_alu instid0(VALU_DEP_1)
	v_cndmask_b32_e64 v0, 0xff800000, v0, s0
	s_branch .LBB69_11
.LBB69_16:
	v_cmp_eq_u32_e32 vcc_lo, 0, v15
	v_cmp_neq_f32_e64 s0, 0, v25
	s_delay_alu instid0(VALU_DEP_1) | instskip(NEXT) | instid1(SALU_CYCLE_1)
	s_and_b32 s0, vcc_lo, s0
	s_and_b32 exec_lo, exec_lo, s0
	s_cbranch_execz .LBB69_20
; %bb.17:
	s_and_not1_b32 vcc_lo, exec_lo, s3
	s_cbranch_vccnz .LBB69_20
; %bb.18:
	v_div_scale_f32 v0, null, v25, v25, 1.0
	v_div_scale_f32 v3, vcc_lo, 1.0, v25, 1.0
	v_ashrrev_i32_e32 v9, 31, v8
	s_delay_alu instid0(VALU_DEP_3) | instskip(SKIP_2) | instid1(VALU_DEP_1)
	v_rcp_f32_e32 v1, v0
	s_waitcnt_depctr 0xfff
	v_fma_f32 v2, -v0, v1, 1.0
	v_fmac_f32_e32 v1, v2, v1
	s_delay_alu instid0(VALU_DEP_1) | instskip(NEXT) | instid1(VALU_DEP_1)
	v_mul_f32_e32 v2, v3, v1
	v_fma_f32 v4, -v0, v2, v3
	s_delay_alu instid0(VALU_DEP_1) | instskip(NEXT) | instid1(VALU_DEP_1)
	v_fmac_f32_e32 v2, v4, v1
	v_fma_f32 v0, -v0, v2, v3
	s_delay_alu instid0(VALU_DEP_1) | instskip(SKIP_1) | instid1(VALU_DEP_2)
	v_div_fmas_f32 v2, v0, v1, v2
	v_lshlrev_b64 v[0:1], 2, v[8:9]
	v_div_fixup_f32 v2, v2, v25, 1.0
	s_delay_alu instid0(VALU_DEP_2) | instskip(NEXT) | instid1(VALU_DEP_3)
	v_add_co_u32 v0, vcc_lo, s12, v0
	v_add_co_ci_u32_e32 v1, vcc_lo, s13, v1, vcc_lo
.LBB69_19:                              ; =>This Inner Loop Header: Depth=1
	global_load_b32 v3, v[0:1], off
	s_add_i32 s8, s8, -1
	s_delay_alu instid0(SALU_CYCLE_1)
	s_cmp_lg_u32 s8, 0
	s_waitcnt vmcnt(0)
	v_mul_f32_e32 v3, v2, v3
	global_store_b32 v[0:1], v3, off
	v_add_co_u32 v0, vcc_lo, v0, 4
	v_add_co_ci_u32_e32 v1, vcc_lo, 0, v1, vcc_lo
	s_cbranch_scc1 .LBB69_19
.LBB69_20:
	s_nop 0
	s_sendmsg sendmsg(MSG_DEALLOC_VGPRS)
	s_endpgm
	.section	.rodata,"a",@progbits
	.p2align	6, 0x0
	.amdhsa_kernel _ZN4vllm3moe17topkGatingSoftmaxIfLi8ELi64ELi8ELi32ELb1ELi8ELNS0_23SharedExpertScoringFuncE1EEEvPKT_PKbPfiPiS9_iiiiii
		.amdhsa_group_segment_fixed_size 0
		.amdhsa_private_segment_fixed_size 0
		.amdhsa_kernarg_size 72
		.amdhsa_user_sgpr_count 15
		.amdhsa_user_sgpr_dispatch_ptr 0
		.amdhsa_user_sgpr_queue_ptr 0
		.amdhsa_user_sgpr_kernarg_segment_ptr 1
		.amdhsa_user_sgpr_dispatch_id 0
		.amdhsa_user_sgpr_private_segment_size 0
		.amdhsa_wavefront_size32 1
		.amdhsa_uses_dynamic_stack 0
		.amdhsa_enable_private_segment 0
		.amdhsa_system_sgpr_workgroup_id_x 1
		.amdhsa_system_sgpr_workgroup_id_y 0
		.amdhsa_system_sgpr_workgroup_id_z 0
		.amdhsa_system_sgpr_workgroup_info 0
		.amdhsa_system_vgpr_workitem_id 1
		.amdhsa_next_free_vgpr 37
		.amdhsa_next_free_sgpr 19
		.amdhsa_reserve_vcc 1
		.amdhsa_float_round_mode_32 0
		.amdhsa_float_round_mode_16_64 0
		.amdhsa_float_denorm_mode_32 3
		.amdhsa_float_denorm_mode_16_64 3
		.amdhsa_dx10_clamp 1
		.amdhsa_ieee_mode 1
		.amdhsa_fp16_overflow 0
		.amdhsa_workgroup_processor_mode 1
		.amdhsa_memory_ordered 1
		.amdhsa_forward_progress 0
		.amdhsa_shared_vgpr_count 0
		.amdhsa_exception_fp_ieee_invalid_op 0
		.amdhsa_exception_fp_denorm_src 0
		.amdhsa_exception_fp_ieee_div_zero 0
		.amdhsa_exception_fp_ieee_overflow 0
		.amdhsa_exception_fp_ieee_underflow 0
		.amdhsa_exception_fp_ieee_inexact 0
		.amdhsa_exception_int_div_zero 0
	.end_amdhsa_kernel
	.section	.text._ZN4vllm3moe17topkGatingSoftmaxIfLi8ELi64ELi8ELi32ELb1ELi8ELNS0_23SharedExpertScoringFuncE1EEEvPKT_PKbPfiPiS9_iiiiii,"axG",@progbits,_ZN4vllm3moe17topkGatingSoftmaxIfLi8ELi64ELi8ELi32ELb1ELi8ELNS0_23SharedExpertScoringFuncE1EEEvPKT_PKbPfiPiS9_iiiiii,comdat
.Lfunc_end69:
	.size	_ZN4vllm3moe17topkGatingSoftmaxIfLi8ELi64ELi8ELi32ELb1ELi8ELNS0_23SharedExpertScoringFuncE1EEEvPKT_PKbPfiPiS9_iiiiii, .Lfunc_end69-_ZN4vllm3moe17topkGatingSoftmaxIfLi8ELi64ELi8ELi32ELb1ELi8ELNS0_23SharedExpertScoringFuncE1EEEvPKT_PKbPfiPiS9_iiiiii
                                        ; -- End function
	.section	.AMDGPU.csdata,"",@progbits
; Kernel info:
; codeLenInByte = 2888
; NumSgprs: 21
; NumVgprs: 37
; ScratchSize: 0
; MemoryBound: 0
; FloatMode: 240
; IeeeMode: 1
; LDSByteSize: 0 bytes/workgroup (compile time only)
; SGPRBlocks: 2
; VGPRBlocks: 4
; NumSGPRsForWavesPerEU: 21
; NumVGPRsForWavesPerEU: 37
; Occupancy: 16
; WaveLimiterHint : 0
; COMPUTE_PGM_RSRC2:SCRATCH_EN: 0
; COMPUTE_PGM_RSRC2:USER_SGPR: 15
; COMPUTE_PGM_RSRC2:TRAP_HANDLER: 0
; COMPUTE_PGM_RSRC2:TGID_X_EN: 1
; COMPUTE_PGM_RSRC2:TGID_Y_EN: 0
; COMPUTE_PGM_RSRC2:TGID_Z_EN: 0
; COMPUTE_PGM_RSRC2:TIDIG_COMP_CNT: 1
	.section	.text._ZN4vllm3moe17topkGatingSoftmaxIfLi8ELi64ELi8ELi32ELb0ELi8ELNS0_23SharedExpertScoringFuncE1EEEvPKT_PKbPfiPiS9_iiiiii,"axG",@progbits,_ZN4vllm3moe17topkGatingSoftmaxIfLi8ELi64ELi8ELi32ELb0ELi8ELNS0_23SharedExpertScoringFuncE1EEEvPKT_PKbPfiPiS9_iiiiii,comdat
	.protected	_ZN4vllm3moe17topkGatingSoftmaxIfLi8ELi64ELi8ELi32ELb0ELi8ELNS0_23SharedExpertScoringFuncE1EEEvPKT_PKbPfiPiS9_iiiiii ; -- Begin function _ZN4vllm3moe17topkGatingSoftmaxIfLi8ELi64ELi8ELi32ELb0ELi8ELNS0_23SharedExpertScoringFuncE1EEEvPKT_PKbPfiPiS9_iiiiii
	.globl	_ZN4vllm3moe17topkGatingSoftmaxIfLi8ELi64ELi8ELi32ELb0ELi8ELNS0_23SharedExpertScoringFuncE1EEEvPKT_PKbPfiPiS9_iiiiii
	.p2align	8
	.type	_ZN4vllm3moe17topkGatingSoftmaxIfLi8ELi64ELi8ELi32ELb0ELi8ELNS0_23SharedExpertScoringFuncE1EEEvPKT_PKbPfiPiS9_iiiiii,@function
_ZN4vllm3moe17topkGatingSoftmaxIfLi8ELi64ELi8ELi32ELb0ELi8ELNS0_23SharedExpertScoringFuncE1EEEvPKT_PKbPfiPiS9_iiiiii: ; @_ZN4vllm3moe17topkGatingSoftmaxIfLi8ELi64ELi8ELi32ELb0ELi8ELNS0_23SharedExpertScoringFuncE1EEEvPKT_PKbPfiPiS9_iiiiii
; %bb.0:
	s_load_b32 s16, s[0:1], 0x18
	v_bfe_u32 v1, v0, 10, 10
	v_and_b32_e32 v0, 0x3ff, v0
	s_lshl_b32 s18, s15, 5
	s_mov_b32 s2, exec_lo
	s_delay_alu instid0(VALU_DEP_2) | instskip(NEXT) | instid1(VALU_DEP_2)
	v_lshlrev_b32_e32 v14, 2, v1
	v_lshrrev_b32_e32 v26, 3, v0
	s_delay_alu instid0(VALU_DEP_1) | instskip(SKIP_1) | instid1(VALU_DEP_1)
	v_add3_u32 v27, s18, v14, v26
	s_waitcnt lgkmcnt(0)
	v_cmpx_gt_i32_e64 s16, v27
	s_cbranch_execz .LBB70_21
; %bb.1:
	s_clause 0x1
	s_load_b128 s[4:7], s[0:1], 0x0
	s_load_b64 s[12:13], s[0:1], 0x10
	s_waitcnt lgkmcnt(0)
	s_cmp_eq_u64 s[6:7], 0
	s_cbranch_scc1 .LBB70_3
; %bb.2:
	v_ashrrev_i32_e32 v2, 31, v27
	v_add_co_u32 v1, vcc_lo, s6, v27
	s_delay_alu instid0(VALU_DEP_2) | instskip(SKIP_3) | instid1(VALU_DEP_1)
	v_add_co_ci_u32_e32 v2, vcc_lo, s7, v2, vcc_lo
	global_load_u8 v1, v[1:2], off
	s_waitcnt vmcnt(0)
	v_and_b32_e32 v1, 1, v1
	v_cmp_eq_u32_e32 vcc_lo, 1, v1
	s_xor_b32 s2, vcc_lo, -1
	s_delay_alu instid0(SALU_CYCLE_1)
	s_or_not1_b32 s17, s2, exec_lo
	s_branch .LBB70_4
.LBB70_3:
	s_mov_b32 s17, -1
.LBB70_4:
	s_clause 0x1
	s_load_b64 s[14:15], s[0:1], 0x40
	s_load_b128 s[8:11], s[0:1], 0x30
	v_dual_mov_b32 v16, 0 :: v_dual_and_b32 v15, 7, v0
	s_waitcnt lgkmcnt(0)
	v_mul_lo_u32 v1, v27, s15
	s_delay_alu instid0(VALU_DEP_1) | instskip(NEXT) | instid1(VALU_DEP_1)
	v_ashrrev_i32_e32 v2, 31, v1
	v_lshlrev_b64 v[0:1], 2, v[1:2]
	v_lshlrev_b32_e32 v2, 5, v15
	s_delay_alu instid0(VALU_DEP_2) | instskip(NEXT) | instid1(VALU_DEP_3)
	v_add_co_u32 v3, vcc_lo, s4, v0
	v_add_co_ci_u32_e32 v8, vcc_lo, s5, v1, vcc_lo
	s_delay_alu instid0(VALU_DEP_2) | instskip(SKIP_1) | instid1(VALU_DEP_3)
	v_add_co_u32 v0, vcc_lo, v3, v2
	v_lshlrev_b32_e32 v2, 2, v15
	v_add_co_ci_u32_e32 v1, vcc_lo, 0, v8, vcc_lo
	s_delay_alu instid0(VALU_DEP_2)
	v_add_co_u32 v2, vcc_lo, v3, v2
	v_add_co_ci_u32_e32 v3, vcc_lo, 0, v8, vcc_lo
	s_clause 0x2
	global_load_b128 v[4:7], v[0:1], off
	global_load_b32 v8, v[2:3], off offset:256
	global_load_b128 v[0:3], v[0:1], off offset:16
	s_waitcnt vmcnt(2)
	v_cmp_lt_f32_e32 vcc_lo, v4, v5
	s_waitcnt vmcnt(1)
	v_mul_f32_e32 v11, 0xbfb8aa3b, v8
	v_cmp_ngt_f32_e64 s2, 0xc2b17218, v8
	v_cndmask_b32_e32 v10, v4, v5, vcc_lo
	s_delay_alu instid0(VALU_DEP_3) | instskip(SKIP_2) | instid1(VALU_DEP_3)
	v_rndne_f32_e32 v13, v11
	v_lshlrev_b32_e32 v18, 3, v15
	v_fma_f32 v12, 0xbfb8aa3b, v8, -v11
	v_sub_f32_e32 v11, v11, v13
	s_delay_alu instid0(VALU_DEP_3)
	v_or_b32_e32 v19, 1, v18
	v_or_b32_e32 v20, 2, v18
	;; [unrolled: 1-line block ×3, first 2 shown]
	v_fmamk_f32 v12, v8, 0xb2a5705f, v12
	v_or_b32_e32 v22, 4, v18
	v_cndmask_b32_e32 v9, v18, v19, vcc_lo
	v_cmp_lt_f32_e32 vcc_lo, v10, v6
	v_or_b32_e32 v23, 5, v18
	v_add_f32_e32 v11, v11, v12
	v_cvt_i32_f32_e32 v12, v13
	v_or_b32_e32 v24, 6, v18
	v_dual_cndmask_b32 v9, v9, v20 :: v_dual_cndmask_b32 v10, v10, v6
	s_delay_alu instid0(VALU_DEP_4) | instskip(SKIP_1) | instid1(VALU_DEP_2)
	v_exp_f32_e32 v11, v11
	v_or_b32_e32 v25, 7, v18
	v_cmp_lt_f32_e32 vcc_lo, v10, v7
	s_delay_alu instid0(VALU_DEP_3)
	v_dual_cndmask_b32 v9, v9, v21 :: v_dual_cndmask_b32 v10, v10, v7
	s_waitcnt_depctr 0xfff
	v_ldexp_f32 v11, v11, v12
	s_waitcnt vmcnt(0)
	v_cmp_lt_f32_e32 vcc_lo, v10, v0
	v_dual_cndmask_b32 v9, v9, v22 :: v_dual_cndmask_b32 v10, v10, v0
	s_delay_alu instid0(VALU_DEP_1) | instskip(NEXT) | instid1(VALU_DEP_2)
	v_cmp_lt_f32_e32 vcc_lo, v10, v1
	v_dual_cndmask_b32 v9, v9, v23 :: v_dual_cndmask_b32 v10, v10, v1
	v_cmp_nlt_f32_e32 vcc_lo, 0x42ce8ed0, v8
	v_cndmask_b32_e32 v11, 0, v11, vcc_lo
	s_delay_alu instid0(VALU_DEP_3) | instskip(SKIP_1) | instid1(VALU_DEP_3)
	v_cmp_lt_f32_e32 vcc_lo, v10, v2
	v_cndmask_b32_e32 v10, v10, v2, vcc_lo
	v_cndmask_b32_e64 v8, 0x7f800000, v11, s2
	v_cndmask_b32_e32 v9, v9, v24, vcc_lo
	s_delay_alu instid0(VALU_DEP_3) | instskip(NEXT) | instid1(VALU_DEP_3)
	v_cmp_lt_f32_e32 vcc_lo, v10, v3
	v_add_f32_e32 v17, 1.0, v8
	v_mul_lo_u32 v8, v27, s11
	s_delay_alu instid0(VALU_DEP_4) | instskip(NEXT) | instid1(VALU_DEP_3)
	v_dual_cndmask_b32 v10, v10, v3 :: v_dual_cndmask_b32 v9, v9, v25
	v_div_scale_f32 v28, null, v17, v17, 1.0
	s_delay_alu instid0(VALU_DEP_2) | instskip(NEXT) | instid1(VALU_DEP_3)
	v_mov_b32_dpp v12, v10 quad_perm:[1,0,3,2] row_mask:0xf bank_mask:0xf
	v_mov_b32_dpp v11, v9 quad_perm:[1,0,3,2] row_mask:0xf bank_mask:0xf
	s_delay_alu instid0(VALU_DEP_3) | instskip(NEXT) | instid1(VALU_DEP_2)
	v_rcp_f32_e32 v29, v28
	v_cmp_eq_f32_e64 s2, v10, v12
	s_delay_alu instid0(VALU_DEP_2) | instskip(SKIP_1) | instid1(VALU_DEP_3)
	v_cmp_lt_i32_e32 vcc_lo, v11, v9
	v_cmp_lt_f32_e64 s3, v10, v12
	s_and_b32 s2, s2, vcc_lo
	s_waitcnt_depctr 0xfff
	v_fma_f32 v13, -v28, v29, 1.0
	s_or_b32 s2, s3, s2
	v_div_scale_f32 v30, vcc_lo, 1.0, v17, 1.0
	v_cndmask_b32_e64 v12, v10, v12, s2
	v_cndmask_b32_e64 v9, v9, v11, s2
	v_fmac_f32_e32 v29, v13, v29
	v_add3_u32 v10, v8, s8, v15
	s_delay_alu instid0(VALU_DEP_4) | instskip(NEXT) | instid1(VALU_DEP_4)
	v_mov_b32_dpp v13, v12 quad_perm:[2,3,0,1] row_mask:0xf bank_mask:0xf
	v_mov_b32_dpp v31, v9 quad_perm:[2,3,0,1] row_mask:0xf bank_mask:0xf
	s_delay_alu instid0(VALU_DEP_4) | instskip(NEXT) | instid1(VALU_DEP_4)
	v_mul_f32_e32 v32, v30, v29
	v_ashrrev_i32_e32 v11, 31, v10
	s_delay_alu instid0(VALU_DEP_4) | instskip(NEXT) | instid1(VALU_DEP_4)
	v_cmp_eq_f32_e64 s2, v12, v13
	v_cmp_lt_i32_e64 s3, v31, v9
	v_cmp_lt_f32_e64 s4, v12, v13
	v_fma_f32 v33, -v28, v32, v30
	s_delay_alu instid0(VALU_DEP_3)
	s_and_b32 s2, s2, s3
	s_delay_alu instid0(VALU_DEP_2) | instid1(SALU_CYCLE_1)
	s_or_b32 s2, s4, s2
	s_delay_alu instid0(VALU_DEP_1)
	v_fmac_f32_e32 v32, v33, v29
	v_cndmask_b32_e64 v33, v12, v13, s2
	v_cndmask_b32_e64 v9, v9, v31, s2
	v_lshlrev_b64 v[12:13], 2, v[10:11]
	v_cmp_eq_u32_e64 s2, 0, v15
	v_fma_f32 v10, -v28, v32, v30
	v_mov_b32_dpp v28, v33 row_half_mirror row_mask:0xf bank_mask:0xf
	v_mov_b32_dpp v11, v9 row_half_mirror row_mask:0xf bank_mask:0xf
	v_add_co_u32 v12, s5, s12, v12
	s_delay_alu instid0(VALU_DEP_3) | instskip(NEXT) | instid1(VALU_DEP_3)
	v_cmp_eq_f32_e64 s3, v33, v28
	v_cmp_lt_i32_e64 s4, v11, v9
	v_div_fmas_f32 v10, v10, v29, v32
	v_cmp_lt_f32_e32 vcc_lo, v33, v28
	v_add_co_ci_u32_e64 v13, s5, s13, v13, s5
	s_delay_alu instid0(VALU_DEP_4) | instskip(NEXT) | instid1(VALU_DEP_3)
	s_and_b32 s3, s3, s4
	v_div_fixup_f32 v10, v10, v17, 1.0
	s_or_b32 vcc_lo, vcc_lo, s3
	s_cmp_gt_i32 s8, 0
	v_cndmask_b32_e32 v17, v33, v28, vcc_lo
	s_cselect_b32 s3, -1, 0
	s_cmp_lt_i32 s8, 1
	global_store_b32 v[12:13], v10, off
	s_cbranch_scc1 .LBB70_16
; %bb.5:
	s_load_b128 s[4:7], s[0:1], 0x20
	v_mul_lo_u32 v10, v27, s14
	v_mul_lo_u32 v12, v27, s8
	v_cndmask_b32_e32 v28, v9, v11, vcc_lo
	v_mov_b32_e32 v16, 0
	s_and_saveexec_b32 s1, s2
	s_cbranch_execz .LBB70_7
; %bb.6:
	s_delay_alu instid0(VALU_DEP_2) | instskip(SKIP_3) | instid1(VALU_DEP_3)
	v_cmp_le_i32_e32 vcc_lo, s9, v28
	v_cmp_gt_i32_e64 s0, s10, v28
	v_subrev_nc_u32_e32 v35, s9, v28
	v_ashrrev_i32_e32 v13, 31, v12
	s_and_b32 s0, vcc_lo, s0
	s_delay_alu instid0(SALU_CYCLE_1) | instskip(SKIP_1) | instid1(VALU_DEP_2)
	s_and_b32 vcc_lo, s17, s0
	v_sub_f32_e32 v16, v17, v17
	v_lshlrev_b64 v[33:34], 2, v[12:13]
	s_delay_alu instid0(VALU_DEP_2) | instskip(NEXT) | instid1(VALU_DEP_1)
	v_mul_f32_e32 v9, 0x3fb8aa3b, v16
	v_rndne_f32_e32 v31, v9
	v_fma_f32 v11, 0x3fb8aa3b, v16, -v9
	s_delay_alu instid0(VALU_DEP_2) | instskip(NEXT) | instid1(VALU_DEP_2)
	v_sub_f32_e32 v9, v9, v31
	v_fmamk_f32 v11, v16, 0x32a5705f, v11
	s_delay_alu instid0(VALU_DEP_1) | instskip(SKIP_1) | instid1(VALU_DEP_2)
	v_add_f32_e32 v11, v9, v11
	v_ashrrev_i32_e32 v9, 31, v8
	v_exp_f32_e32 v36, v11
	s_delay_alu instid0(VALU_DEP_1) | instskip(SKIP_2) | instid1(VALU_DEP_2)
	v_lshlrev_b64 v[29:30], 2, v[8:9]
	v_ashrrev_i32_e32 v11, 31, v10
	v_cvt_i32_f32_e32 v9, v31
	v_lshlrev_b64 v[31:32], 2, v[10:11]
	v_cndmask_b32_e32 v11, 64, v35, vcc_lo
	v_add_co_u32 v29, vcc_lo, s12, v29
	v_add_co_ci_u32_e32 v30, vcc_lo, s13, v30, vcc_lo
	s_delay_alu instid0(TRANS32_DEP_1) | instskip(SKIP_1) | instid1(VALU_DEP_2)
	v_ldexp_f32 v9, v36, v9
	v_cmp_ngt_f32_e32 vcc_lo, 0xc2ce8ed0, v16
	v_cndmask_b32_e32 v9, 0, v9, vcc_lo
	s_waitcnt lgkmcnt(0)
	v_add_co_u32 v31, vcc_lo, s4, v31
	v_add_co_ci_u32_e32 v32, vcc_lo, s5, v32, vcc_lo
	v_cmp_nlt_f32_e32 vcc_lo, 0x42b17218, v16
	v_cndmask_b32_e32 v16, 0x7f800000, v9, vcc_lo
	v_add_co_u32 v33, vcc_lo, s6, v33
	v_add_co_ci_u32_e32 v34, vcc_lo, s7, v34, vcc_lo
	global_store_b32 v[31:32], v11, off
	global_store_b32 v[29:30], v16, off
	;; [unrolled: 1-line block ×3, first 2 shown]
.LBB70_7:
	s_or_b32 exec_lo, exec_lo, s1
	v_ashrrev_i32_e32 v11, 31, v28
	s_mov_b32 s0, exec_lo
	s_delay_alu instid0(VALU_DEP_1) | instskip(NEXT) | instid1(VALU_DEP_1)
	v_lshrrev_b32_e32 v9, 29, v11
	v_add_nc_u32_e32 v9, v28, v9
	s_delay_alu instid0(VALU_DEP_1) | instskip(NEXT) | instid1(VALU_DEP_1)
	v_ashrrev_i32_e32 v9, 3, v9
	v_lshrrev_b32_e32 v13, 29, v9
	s_delay_alu instid0(VALU_DEP_1) | instskip(NEXT) | instid1(VALU_DEP_1)
	v_add_nc_u32_e32 v13, v9, v13
	v_and_b32_e32 v13, -8, v13
	s_delay_alu instid0(VALU_DEP_1) | instskip(NEXT) | instid1(VALU_DEP_1)
	v_sub_nc_u32_e32 v13, v9, v13
	v_cmpx_eq_u32_e64 v15, v13
	s_cbranch_execz .LBB70_9
; %bb.8:
	v_lshrrev_b32_e32 v11, 26, v11
	v_lshlrev_b32_e32 v9, 3, v9
	s_delay_alu instid0(VALU_DEP_2) | instskip(NEXT) | instid1(VALU_DEP_2)
	v_add_nc_u32_e32 v11, v28, v11
	v_sub_nc_u32_e32 v9, v28, v9
	s_delay_alu instid0(VALU_DEP_2) | instskip(NEXT) | instid1(VALU_DEP_1)
	v_ashrrev_i32_e32 v11, 6, v11
	v_lshl_add_u32 v9, v11, 3, v9
	s_delay_alu instid0(VALU_DEP_1)
	v_cmp_ne_u32_e32 vcc_lo, 7, v9
	v_cndmask_b32_e32 v3, 0xff800000, v3, vcc_lo
	v_cmp_ne_u32_e32 vcc_lo, 6, v9
	v_cndmask_b32_e32 v2, 0xff800000, v2, vcc_lo
	;; [unrolled: 2-line block ×8, first 2 shown]
.LBB70_9:
	s_or_b32 exec_lo, exec_lo, s0
	s_cmp_eq_u32 s8, 1
	s_cbranch_scc1 .LBB70_16
; %bb.10:
	s_add_i32 s18, s18, s16
	v_add_nc_u32_e32 v9, 1, v12
	v_add3_u32 v26, s18, v26, v14
	v_add_nc_u32_e32 v11, 1, v10
	v_add_nc_u32_e32 v13, 1, v8
	s_add_i32 s11, s8, -1
	s_branch .LBB70_12
.LBB70_11:                              ;   in Loop: Header=BB70_12 Depth=1
	s_or_b32 exec_lo, exec_lo, s0
	v_add_nc_u32_e32 v26, s16, v26
	v_add_nc_u32_e32 v9, 1, v9
	;; [unrolled: 1-line block ×4, first 2 shown]
	s_add_i32 s11, s11, -1
	s_delay_alu instid0(SALU_CYCLE_1)
	s_cmp_eq_u32 s11, 0
	s_cbranch_scc1 .LBB70_16
.LBB70_12:                              ; =>This Inner Loop Header: Depth=1
	v_cmp_gt_f32_e32 vcc_lo, v5, v4
	v_cndmask_b32_e32 v12, v4, v5, vcc_lo
	v_cndmask_b32_e32 v10, v18, v19, vcc_lo
	s_delay_alu instid0(VALU_DEP_2) | instskip(SKIP_1) | instid1(VALU_DEP_3)
	v_cmp_gt_f32_e32 vcc_lo, v6, v12
	v_cndmask_b32_e32 v12, v12, v6, vcc_lo
	v_cndmask_b32_e32 v10, v10, v20, vcc_lo
	s_delay_alu instid0(VALU_DEP_2) | instskip(SKIP_1) | instid1(VALU_DEP_3)
	v_cmp_gt_f32_e32 vcc_lo, v7, v12
	v_cndmask_b32_e32 v12, v12, v7, vcc_lo
	v_cndmask_b32_e32 v10, v10, v21, vcc_lo
	s_delay_alu instid0(VALU_DEP_2) | instskip(SKIP_1) | instid1(VALU_DEP_3)
	v_cmp_gt_f32_e32 vcc_lo, v0, v12
	v_cndmask_b32_e32 v12, v12, v0, vcc_lo
	v_cndmask_b32_e32 v10, v10, v22, vcc_lo
	s_delay_alu instid0(VALU_DEP_2) | instskip(SKIP_1) | instid1(VALU_DEP_3)
	v_cmp_gt_f32_e32 vcc_lo, v1, v12
	v_cndmask_b32_e32 v12, v12, v1, vcc_lo
	v_cndmask_b32_e32 v10, v10, v23, vcc_lo
	s_delay_alu instid0(VALU_DEP_2) | instskip(SKIP_1) | instid1(VALU_DEP_3)
	v_cmp_gt_f32_e32 vcc_lo, v2, v12
	v_cndmask_b32_e32 v12, v12, v2, vcc_lo
	v_cndmask_b32_e32 v10, v10, v24, vcc_lo
	s_delay_alu instid0(VALU_DEP_2) | instskip(NEXT) | instid1(VALU_DEP_2)
	v_cmp_gt_f32_e32 vcc_lo, v3, v12
	v_cndmask_b32_e32 v10, v10, v25, vcc_lo
	v_cndmask_b32_e32 v12, v12, v3, vcc_lo
	s_delay_alu instid0(VALU_DEP_2) | instskip(NEXT) | instid1(VALU_DEP_2)
	v_mov_b32_dpp v14, v10 quad_perm:[1,0,3,2] row_mask:0xf bank_mask:0xf
	v_mov_b32_dpp v27, v12 quad_perm:[1,0,3,2] row_mask:0xf bank_mask:0xf
	s_delay_alu instid0(VALU_DEP_2) | instskip(NEXT) | instid1(VALU_DEP_2)
	v_cmp_lt_i32_e32 vcc_lo, v14, v10
	v_cmp_eq_f32_e64 s0, v12, v27
	v_cmp_lt_f32_e64 s1, v12, v27
	s_delay_alu instid0(VALU_DEP_2)
	s_and_b32 s0, s0, vcc_lo
	s_delay_alu instid0(VALU_DEP_1) | instid1(SALU_CYCLE_1)
	s_or_b32 vcc_lo, s1, s0
	v_cndmask_b32_e32 v12, v12, v27, vcc_lo
	v_cndmask_b32_e32 v14, v10, v14, vcc_lo
	s_delay_alu instid0(VALU_DEP_2) | instskip(NEXT) | instid1(VALU_DEP_2)
	v_mov_b32_dpp v10, v12 quad_perm:[2,3,0,1] row_mask:0xf bank_mask:0xf
	v_mov_b32_dpp v27, v14 quad_perm:[2,3,0,1] row_mask:0xf bank_mask:0xf
	s_delay_alu instid0(VALU_DEP_2) | instskip(NEXT) | instid1(VALU_DEP_2)
	v_cmp_eq_f32_e32 vcc_lo, v12, v10
	v_cmp_lt_i32_e64 s0, v27, v14
	v_cmp_lt_f32_e64 s1, v12, v10
	s_delay_alu instid0(VALU_DEP_2)
	s_and_b32 s0, vcc_lo, s0
	s_delay_alu instid0(VALU_DEP_1) | instid1(SALU_CYCLE_1)
	s_or_b32 vcc_lo, s1, s0
	v_cndmask_b32_e32 v10, v12, v10, vcc_lo
	v_cndmask_b32_e32 v14, v14, v27, vcc_lo
	s_delay_alu instid0(VALU_DEP_2) | instskip(NEXT) | instid1(VALU_DEP_2)
	v_mov_b32_dpp v12, v10 row_half_mirror row_mask:0xf bank_mask:0xf
	v_mov_b32_dpp v27, v14 row_half_mirror row_mask:0xf bank_mask:0xf
	s_delay_alu instid0(VALU_DEP_2) | instskip(NEXT) | instid1(VALU_DEP_2)
	v_cmp_eq_f32_e32 vcc_lo, v10, v12
	v_cmp_lt_i32_e64 s0, v27, v14
	v_cmp_lt_f32_e64 s1, v10, v12
	s_delay_alu instid0(VALU_DEP_2)
	s_and_b32 s0, vcc_lo, s0
	s_delay_alu instid0(VALU_DEP_1) | instid1(SALU_CYCLE_1)
	s_or_b32 vcc_lo, s1, s0
	v_cndmask_b32_e32 v27, v14, v27, vcc_lo
	s_and_saveexec_b32 s1, s2
	s_cbranch_execz .LBB70_14
; %bb.13:                               ;   in Loop: Header=BB70_12 Depth=1
	v_cndmask_b32_e32 v10, v10, v12, vcc_lo
	s_delay_alu instid0(VALU_DEP_2) | instskip(SKIP_4) | instid1(VALU_DEP_4)
	v_cmp_le_i32_e32 vcc_lo, s9, v27
	v_cmp_gt_i32_e64 s0, s10, v27
	v_ashrrev_i32_e32 v14, 31, v13
	v_subrev_nc_u32_e32 v35, s9, v27
	v_sub_f32_e32 v34, v10, v17
	s_and_b32 s0, vcc_lo, s0
	s_delay_alu instid0(SALU_CYCLE_1) | instskip(NEXT) | instid1(VALU_DEP_1)
	s_and_b32 vcc_lo, s17, s0
	v_mul_f32_e32 v10, 0x3fb8aa3b, v34
	s_delay_alu instid0(VALU_DEP_1) | instskip(SKIP_1) | instid1(VALU_DEP_2)
	v_fma_f32 v12, 0x3fb8aa3b, v34, -v10
	v_rndne_f32_e32 v28, v10
	v_fmac_f32_e32 v12, 0x32a5705f, v34
	s_delay_alu instid0(VALU_DEP_2) | instskip(SKIP_2) | instid1(VALU_DEP_3)
	v_sub_f32_e32 v10, v10, v28
	v_cvt_i32_f32_e32 v33, v28
	v_lshlrev_b64 v[28:29], 2, v[13:14]
	v_add_f32_e32 v10, v10, v12
	v_ashrrev_i32_e32 v12, 31, v11
	s_delay_alu instid0(VALU_DEP_2) | instskip(SKIP_1) | instid1(VALU_DEP_2)
	v_exp_f32_e32 v32, v10
	v_ashrrev_i32_e32 v10, 31, v9
	v_lshlrev_b64 v[30:31], 2, v[11:12]
	s_waitcnt_depctr 0xfff
	v_ldexp_f32 v12, v32, v33
	v_lshlrev_b64 v[32:33], 2, v[9:10]
	v_cndmask_b32_e32 v10, 64, v35, vcc_lo
	v_cmp_ngt_f32_e32 vcc_lo, 0xc2ce8ed0, v34
	s_delay_alu instid0(VALU_DEP_4) | instskip(SKIP_3) | instid1(VALU_DEP_4)
	v_cndmask_b32_e32 v12, 0, v12, vcc_lo
	v_add_co_u32 v28, vcc_lo, s12, v28
	v_add_co_ci_u32_e32 v29, vcc_lo, s13, v29, vcc_lo
	v_cmp_nlt_f32_e32 vcc_lo, 0x42b17218, v34
	v_cndmask_b32_e32 v12, 0x7f800000, v12, vcc_lo
	s_waitcnt lgkmcnt(0)
	v_add_co_u32 v30, vcc_lo, s4, v30
	v_add_co_ci_u32_e32 v31, vcc_lo, s5, v31, vcc_lo
	v_add_co_u32 v32, vcc_lo, s6, v32
	v_add_f32_e32 v16, v16, v12
	v_add_co_ci_u32_e32 v33, vcc_lo, s7, v33, vcc_lo
	global_store_b32 v[28:29], v12, off
	global_store_b32 v[30:31], v10, off
	;; [unrolled: 1-line block ×3, first 2 shown]
.LBB70_14:                              ;   in Loop: Header=BB70_12 Depth=1
	s_or_b32 exec_lo, exec_lo, s1
	s_delay_alu instid0(VALU_DEP_1) | instskip(SKIP_1) | instid1(VALU_DEP_1)
	v_ashrrev_i32_e32 v12, 31, v27
	s_mov_b32 s0, exec_lo
	v_lshrrev_b32_e32 v10, 29, v12
	s_delay_alu instid0(VALU_DEP_1) | instskip(NEXT) | instid1(VALU_DEP_1)
	v_add_nc_u32_e32 v10, v27, v10
	v_ashrrev_i32_e32 v10, 3, v10
	s_delay_alu instid0(VALU_DEP_1) | instskip(NEXT) | instid1(VALU_DEP_1)
	v_lshrrev_b32_e32 v14, 29, v10
	v_add_nc_u32_e32 v14, v10, v14
	s_delay_alu instid0(VALU_DEP_1) | instskip(NEXT) | instid1(VALU_DEP_1)
	v_and_b32_e32 v14, -8, v14
	v_sub_nc_u32_e32 v14, v10, v14
	s_delay_alu instid0(VALU_DEP_1)
	v_cmpx_eq_u32_e64 v15, v14
	s_cbranch_execz .LBB70_11
; %bb.15:                               ;   in Loop: Header=BB70_12 Depth=1
	v_lshrrev_b32_e32 v12, 26, v12
	v_lshlrev_b32_e32 v10, 3, v10
	s_delay_alu instid0(VALU_DEP_2) | instskip(NEXT) | instid1(VALU_DEP_2)
	v_add_nc_u32_e32 v12, v27, v12
	v_sub_nc_u32_e32 v10, v27, v10
	s_delay_alu instid0(VALU_DEP_2) | instskip(NEXT) | instid1(VALU_DEP_1)
	v_ashrrev_i32_e32 v12, 6, v12
	v_lshl_add_u32 v10, v12, 3, v10
	s_delay_alu instid0(VALU_DEP_1)
	v_cmp_ne_u32_e32 vcc_lo, 7, v10
	v_cndmask_b32_e32 v3, 0xff800000, v3, vcc_lo
	v_cmp_ne_u32_e32 vcc_lo, 6, v10
	v_cndmask_b32_e32 v2, 0xff800000, v2, vcc_lo
	;; [unrolled: 2-line block ×8, first 2 shown]
	s_branch .LBB70_11
.LBB70_16:
	v_sub_f32_e32 v6, v6, v17
	v_sub_f32_e32 v4, v4, v17
	;; [unrolled: 1-line block ×4, first 2 shown]
	s_delay_alu instid0(VALU_DEP_4) | instskip(NEXT) | instid1(VALU_DEP_3)
	v_dual_sub_f32 v2, v2, v17 :: v_dual_mul_f32 v11, 0x3fb8aa3b, v6
	v_dual_mul_f32 v9, 0x3fb8aa3b, v4 :: v_dual_mul_f32 v12, 0x3fb8aa3b, v7
	v_cmp_ngt_f32_e32 vcc_lo, 0xc2ce8ed0, v4
	v_sub_f32_e32 v0, v0, v17
	s_delay_alu instid0(VALU_DEP_4) | instskip(NEXT) | instid1(VALU_DEP_4)
	v_fma_f32 v20, 0x3fb8aa3b, v6, -v11
	v_fma_f32 v13, 0x3fb8aa3b, v4, -v9
	v_rndne_f32_e32 v14, v9
	v_mul_f32_e32 v10, 0x3fb8aa3b, v5
	v_rndne_f32_e32 v21, v11
	v_fmac_f32_e32 v20, 0x32a5705f, v6
	v_rndne_f32_e32 v23, v12
	v_sub_f32_e32 v9, v9, v14
	v_fma_f32 v18, 0x3fb8aa3b, v5, -v10
	v_rndne_f32_e32 v19, v10
	v_fmac_f32_e32 v13, 0x32a5705f, v4
	v_sub_f32_e32 v11, v11, v21
	v_sub_f32_e32 v1, v1, v17
	v_fmac_f32_e32 v18, 0x32a5705f, v5
	s_delay_alu instid0(VALU_DEP_4) | instskip(SKIP_3) | instid1(VALU_DEP_4)
	v_dual_sub_f32 v10, v10, v19 :: v_dual_add_f32 v9, v9, v13
	v_cvt_i32_f32_e32 v13, v14
	v_fma_f32 v22, 0x3fb8aa3b, v7, -v12
	v_cvt_i32_f32_e32 v14, v19
	v_add_f32_e32 v10, v10, v18
	v_exp_f32_e32 v9, v9
	s_delay_alu instid0(VALU_DEP_3) | instskip(NEXT) | instid1(VALU_DEP_2)
	v_dual_add_f32 v11, v11, v20 :: v_dual_fmac_f32 v22, 0x32a5705f, v7
	v_exp_f32_e32 v10, v10
	s_delay_alu instid0(VALU_DEP_1) | instskip(NEXT) | instid1(TRANS32_DEP_3)
	v_exp_f32_e32 v11, v11
	v_ldexp_f32 v9, v9, v13
	v_sub_f32_e32 v12, v12, v23
	v_cvt_i32_f32_e32 v13, v21
	s_waitcnt_depctr 0xfff
	v_ldexp_f32 v10, v10, v14
	v_cndmask_b32_e32 v9, 0, v9, vcc_lo
	v_cmp_ngt_f32_e32 vcc_lo, 0xc2ce8ed0, v5
	v_ldexp_f32 v11, v11, v13
	s_delay_alu instid0(VALU_DEP_4) | instskip(SKIP_3) | instid1(VALU_DEP_4)
	v_cndmask_b32_e32 v10, 0, v10, vcc_lo
	v_cmp_nlt_f32_e32 vcc_lo, 0x42b17218, v4
	v_cndmask_b32_e32 v4, 0x7f800000, v9, vcc_lo
	v_cmp_nlt_f32_e32 vcc_lo, 0x42b17218, v5
	v_cndmask_b32_e32 v5, 0x7f800000, v10, vcc_lo
	v_cmp_ngt_f32_e32 vcc_lo, 0xc2ce8ed0, v6
	v_add_f32_e32 v12, v12, v22
	v_cvt_i32_f32_e32 v10, v23
	s_delay_alu instid0(VALU_DEP_4) | instskip(NEXT) | instid1(VALU_DEP_3)
	v_dual_add_f32 v4, v4, v5 :: v_dual_cndmask_b32 v9, 0, v11
	v_exp_f32_e32 v12, v12
	v_cmp_nlt_f32_e32 vcc_lo, 0x42b17218, v6
	v_dual_mul_f32 v6, 0x3fb8aa3b, v0 :: v_dual_mul_f32 v11, 0x3fb8aa3b, v2
	s_delay_alu instid0(VALU_DEP_3) | instskip(SKIP_1) | instid1(VALU_DEP_3)
	v_cndmask_b32_e32 v5, 0x7f800000, v9, vcc_lo
	v_cmp_ngt_f32_e32 vcc_lo, 0xc2ce8ed0, v7
	v_rndne_f32_e32 v13, v11
	s_waitcnt_depctr 0xfff
	v_ldexp_f32 v9, v12, v10
	v_add_f32_e32 v4, v4, v5
	v_fma_f32 v5, 0x3fb8aa3b, v0, -v6
	v_rndne_f32_e32 v10, v6
	v_fma_f32 v12, 0x3fb8aa3b, v2, -v11
	v_cndmask_b32_e32 v9, 0, v9, vcc_lo
	v_cmp_nlt_f32_e32 vcc_lo, 0x42b17218, v7
	s_delay_alu instid0(VALU_DEP_4) | instskip(NEXT) | instid1(VALU_DEP_4)
	v_dual_fmac_f32 v5, 0x32a5705f, v0 :: v_dual_sub_f32 v6, v6, v10
	v_dual_sub_f32 v3, v3, v17 :: v_dual_fmac_f32 v12, 0x32a5705f, v2
	s_delay_alu instid0(VALU_DEP_4) | instskip(SKIP_1) | instid1(VALU_DEP_3)
	v_cndmask_b32_e32 v7, 0x7f800000, v9, vcc_lo
	v_mul_f32_e32 v9, 0x3fb8aa3b, v1
	v_dual_add_f32 v5, v6, v5 :: v_dual_mul_f32 v14, 0x3fb8aa3b, v3
	v_cvt_i32_f32_e32 v10, v10
	s_delay_alu instid0(VALU_DEP_4) | instskip(NEXT) | instid1(VALU_DEP_4)
	v_add_f32_e32 v4, v4, v7
	v_fma_f32 v6, 0x3fb8aa3b, v1, -v9
	v_rndne_f32_e32 v7, v9
	v_exp_f32_e32 v5, v5
	v_cmp_ngt_f32_e32 vcc_lo, 0xc2ce8ed0, v0
	v_rndne_f32_e32 v17, v14
	s_delay_alu instid0(VALU_DEP_3) | instskip(SKIP_1) | instid1(VALU_DEP_2)
	v_dual_fmac_f32 v6, 0x32a5705f, v1 :: v_dual_sub_f32 v9, v9, v7
	v_cvt_i32_f32_e32 v7, v7
	v_add_f32_e32 v6, v9, v6
	s_waitcnt_depctr 0xfff
	v_ldexp_f32 v5, v5, v10
	v_exp_f32_e32 v6, v6
	s_waitcnt_depctr 0xfff
	v_ldexp_f32 v6, v6, v7
	v_cndmask_b32_e32 v5, 0, v5, vcc_lo
	v_cmp_nlt_f32_e32 vcc_lo, 0x42b17218, v0
	s_delay_alu instid0(VALU_DEP_2) | instskip(SKIP_2) | instid1(VALU_DEP_3)
	v_cndmask_b32_e32 v0, 0x7f800000, v5, vcc_lo
	v_cmp_ngt_f32_e32 vcc_lo, 0xc2ce8ed0, v1
	v_cvt_i32_f32_e32 v5, v13
	v_add_f32_e32 v0, v4, v0
	v_cndmask_b32_e32 v6, 0, v6, vcc_lo
	v_cmp_nlt_f32_e32 vcc_lo, 0x42b17218, v1
	s_delay_alu instid0(VALU_DEP_2) | instskip(SKIP_2) | instid1(VALU_DEP_1)
	v_dual_sub_f32 v10, v14, v17 :: v_dual_cndmask_b32 v1, 0x7f800000, v6
	v_sub_f32_e32 v9, v11, v13
	v_fma_f32 v11, 0x3fb8aa3b, v3, -v14
	v_fmac_f32_e32 v11, 0x32a5705f, v3
	s_delay_alu instid0(VALU_DEP_1) | instskip(SKIP_1) | instid1(VALU_DEP_2)
	v_dual_add_f32 v10, v10, v11 :: v_dual_add_f32 v9, v9, v12
	v_cmp_ngt_f32_e32 vcc_lo, 0xc2ce8ed0, v2
	v_exp_f32_e32 v7, v10
	s_delay_alu instid0(VALU_DEP_2) | instskip(SKIP_3) | instid1(VALU_DEP_2)
	v_exp_f32_e32 v9, v9
	s_waitcnt_depctr 0xfff
	v_ldexp_f32 v4, v9, v5
	v_cvt_i32_f32_e32 v5, v17
	v_cndmask_b32_e32 v4, 0, v4, vcc_lo
	v_cmp_nlt_f32_e32 vcc_lo, 0x42b17218, v2
	s_delay_alu instid0(VALU_DEP_3) | instskip(NEXT) | instid1(VALU_DEP_3)
	v_ldexp_f32 v5, v7, v5
	v_dual_add_f32 v0, v0, v1 :: v_dual_cndmask_b32 v1, 0x7f800000, v4
	v_cmp_ngt_f32_e32 vcc_lo, 0xc2ce8ed0, v3
	s_delay_alu instid0(VALU_DEP_2) | instskip(NEXT) | instid1(VALU_DEP_4)
	v_add_f32_e32 v0, v0, v1
	v_cndmask_b32_e32 v2, 0, v5, vcc_lo
	v_cmp_nlt_f32_e32 vcc_lo, 0x42b17218, v3
	s_delay_alu instid0(VALU_DEP_2) | instskip(SKIP_1) | instid1(VALU_DEP_2)
	v_cndmask_b32_e32 v1, 0x7f800000, v2, vcc_lo
	v_cmp_eq_u32_e32 vcc_lo, 0, v15
	v_add_f32_e32 v0, v0, v1
	s_delay_alu instid0(VALU_DEP_1) | instskip(NEXT) | instid1(VALU_DEP_1)
	v_mov_b32_dpp v1, v0 quad_perm:[1,0,3,2] row_mask:0xf bank_mask:0xf
	v_add_f32_e32 v0, v0, v1
	s_delay_alu instid0(VALU_DEP_1) | instskip(NEXT) | instid1(VALU_DEP_1)
	v_mov_b32_dpp v1, v0 quad_perm:[2,3,0,1] row_mask:0xf bank_mask:0xf
	v_add_f32_e32 v0, v0, v1
	s_delay_alu instid0(VALU_DEP_1)
	v_mov_b32_dpp v1, v0 row_half_mirror row_mask:0xf bank_mask:0xf
	s_and_b32 exec_lo, exec_lo, vcc_lo
	s_cbranch_execz .LBB70_21
; %bb.17:
	s_delay_alu instid0(VALU_DEP_1) | instskip(NEXT) | instid1(VALU_DEP_1)
	v_add_f32_e32 v0, v0, v1
	v_add_f32_e32 v0, v16, v0
	s_delay_alu instid0(VALU_DEP_1)
	v_cmp_neq_f32_e32 vcc_lo, 0, v0
	s_and_b32 exec_lo, exec_lo, vcc_lo
	s_cbranch_execz .LBB70_21
; %bb.18:
	s_and_not1_b32 vcc_lo, exec_lo, s3
	s_cbranch_vccnz .LBB70_21
; %bb.19:
	v_div_scale_f32 v1, null, v0, v0, 1.0
	v_div_scale_f32 v4, vcc_lo, 1.0, v0, 1.0
	v_ashrrev_i32_e32 v9, 31, v8
	s_delay_alu instid0(VALU_DEP_3) | instskip(SKIP_2) | instid1(VALU_DEP_1)
	v_rcp_f32_e32 v2, v1
	s_waitcnt_depctr 0xfff
	v_fma_f32 v3, -v1, v2, 1.0
	v_fmac_f32_e32 v2, v3, v2
	s_delay_alu instid0(VALU_DEP_1) | instskip(NEXT) | instid1(VALU_DEP_1)
	v_mul_f32_e32 v3, v4, v2
	v_fma_f32 v5, -v1, v3, v4
	s_delay_alu instid0(VALU_DEP_1) | instskip(NEXT) | instid1(VALU_DEP_1)
	v_fmac_f32_e32 v3, v5, v2
	v_fma_f32 v1, -v1, v3, v4
	s_delay_alu instid0(VALU_DEP_1) | instskip(SKIP_1) | instid1(VALU_DEP_2)
	v_div_fmas_f32 v1, v1, v2, v3
	v_lshlrev_b64 v[3:4], 2, v[8:9]
	v_div_fixup_f32 v2, v1, v0, 1.0
	s_delay_alu instid0(VALU_DEP_2) | instskip(NEXT) | instid1(VALU_DEP_3)
	v_add_co_u32 v0, vcc_lo, s12, v3
	v_add_co_ci_u32_e32 v1, vcc_lo, s13, v4, vcc_lo
.LBB70_20:                              ; =>This Inner Loop Header: Depth=1
	global_load_b32 v3, v[0:1], off
	s_add_i32 s8, s8, -1
	s_delay_alu instid0(SALU_CYCLE_1)
	s_cmp_lg_u32 s8, 0
	s_waitcnt vmcnt(0)
	v_mul_f32_e32 v3, v2, v3
	global_store_b32 v[0:1], v3, off
	v_add_co_u32 v0, vcc_lo, v0, 4
	v_add_co_ci_u32_e32 v1, vcc_lo, 0, v1, vcc_lo
	s_cbranch_scc1 .LBB70_20
.LBB70_21:
	s_nop 0
	s_sendmsg sendmsg(MSG_DEALLOC_VGPRS)
	s_endpgm
	.section	.rodata,"a",@progbits
	.p2align	6, 0x0
	.amdhsa_kernel _ZN4vllm3moe17topkGatingSoftmaxIfLi8ELi64ELi8ELi32ELb0ELi8ELNS0_23SharedExpertScoringFuncE1EEEvPKT_PKbPfiPiS9_iiiiii
		.amdhsa_group_segment_fixed_size 0
		.amdhsa_private_segment_fixed_size 0
		.amdhsa_kernarg_size 72
		.amdhsa_user_sgpr_count 15
		.amdhsa_user_sgpr_dispatch_ptr 0
		.amdhsa_user_sgpr_queue_ptr 0
		.amdhsa_user_sgpr_kernarg_segment_ptr 1
		.amdhsa_user_sgpr_dispatch_id 0
		.amdhsa_user_sgpr_private_segment_size 0
		.amdhsa_wavefront_size32 1
		.amdhsa_uses_dynamic_stack 0
		.amdhsa_enable_private_segment 0
		.amdhsa_system_sgpr_workgroup_id_x 1
		.amdhsa_system_sgpr_workgroup_id_y 0
		.amdhsa_system_sgpr_workgroup_id_z 0
		.amdhsa_system_sgpr_workgroup_info 0
		.amdhsa_system_vgpr_workitem_id 1
		.amdhsa_next_free_vgpr 37
		.amdhsa_next_free_sgpr 19
		.amdhsa_reserve_vcc 1
		.amdhsa_float_round_mode_32 0
		.amdhsa_float_round_mode_16_64 0
		.amdhsa_float_denorm_mode_32 3
		.amdhsa_float_denorm_mode_16_64 3
		.amdhsa_dx10_clamp 1
		.amdhsa_ieee_mode 1
		.amdhsa_fp16_overflow 0
		.amdhsa_workgroup_processor_mode 1
		.amdhsa_memory_ordered 1
		.amdhsa_forward_progress 0
		.amdhsa_shared_vgpr_count 0
		.amdhsa_exception_fp_ieee_invalid_op 0
		.amdhsa_exception_fp_denorm_src 0
		.amdhsa_exception_fp_ieee_div_zero 0
		.amdhsa_exception_fp_ieee_overflow 0
		.amdhsa_exception_fp_ieee_underflow 0
		.amdhsa_exception_fp_ieee_inexact 0
		.amdhsa_exception_int_div_zero 0
	.end_amdhsa_kernel
	.section	.text._ZN4vllm3moe17topkGatingSoftmaxIfLi8ELi64ELi8ELi32ELb0ELi8ELNS0_23SharedExpertScoringFuncE1EEEvPKT_PKbPfiPiS9_iiiiii,"axG",@progbits,_ZN4vllm3moe17topkGatingSoftmaxIfLi8ELi64ELi8ELi32ELb0ELi8ELNS0_23SharedExpertScoringFuncE1EEEvPKT_PKbPfiPiS9_iiiiii,comdat
.Lfunc_end70:
	.size	_ZN4vllm3moe17topkGatingSoftmaxIfLi8ELi64ELi8ELi32ELb0ELi8ELNS0_23SharedExpertScoringFuncE1EEEvPKT_PKbPfiPiS9_iiiiii, .Lfunc_end70-_ZN4vllm3moe17topkGatingSoftmaxIfLi8ELi64ELi8ELi32ELb0ELi8ELNS0_23SharedExpertScoringFuncE1EEEvPKT_PKbPfiPiS9_iiiiii
                                        ; -- End function
	.section	.AMDGPU.csdata,"",@progbits
; Kernel info:
; codeLenInByte = 3376
; NumSgprs: 21
; NumVgprs: 37
; ScratchSize: 0
; MemoryBound: 0
; FloatMode: 240
; IeeeMode: 1
; LDSByteSize: 0 bytes/workgroup (compile time only)
; SGPRBlocks: 2
; VGPRBlocks: 4
; NumSGPRsForWavesPerEU: 21
; NumVGPRsForWavesPerEU: 37
; Occupancy: 16
; WaveLimiterHint : 0
; COMPUTE_PGM_RSRC2:SCRATCH_EN: 0
; COMPUTE_PGM_RSRC2:USER_SGPR: 15
; COMPUTE_PGM_RSRC2:TRAP_HANDLER: 0
; COMPUTE_PGM_RSRC2:TGID_X_EN: 1
; COMPUTE_PGM_RSRC2:TGID_Y_EN: 0
; COMPUTE_PGM_RSRC2:TGID_Z_EN: 0
; COMPUTE_PGM_RSRC2:TIDIG_COMP_CNT: 1
	.section	.text._ZN4vllm3moe17topkGatingSoftmaxIfLi8ELi128ELi8ELi32ELb1ELi0ELNS0_23SharedExpertScoringFuncE0EEEvPKT_PKbPfiPiS9_iiiiii,"axG",@progbits,_ZN4vllm3moe17topkGatingSoftmaxIfLi8ELi128ELi8ELi32ELb1ELi0ELNS0_23SharedExpertScoringFuncE0EEEvPKT_PKbPfiPiS9_iiiiii,comdat
	.protected	_ZN4vllm3moe17topkGatingSoftmaxIfLi8ELi128ELi8ELi32ELb1ELi0ELNS0_23SharedExpertScoringFuncE0EEEvPKT_PKbPfiPiS9_iiiiii ; -- Begin function _ZN4vllm3moe17topkGatingSoftmaxIfLi8ELi128ELi8ELi32ELb1ELi0ELNS0_23SharedExpertScoringFuncE0EEEvPKT_PKbPfiPiS9_iiiiii
	.globl	_ZN4vllm3moe17topkGatingSoftmaxIfLi8ELi128ELi8ELi32ELb1ELi0ELNS0_23SharedExpertScoringFuncE0EEEvPKT_PKbPfiPiS9_iiiiii
	.p2align	8
	.type	_ZN4vllm3moe17topkGatingSoftmaxIfLi8ELi128ELi8ELi32ELb1ELi0ELNS0_23SharedExpertScoringFuncE0EEEvPKT_PKbPfiPiS9_iiiiii,@function
_ZN4vllm3moe17topkGatingSoftmaxIfLi8ELi128ELi8ELi32ELb1ELi0ELNS0_23SharedExpertScoringFuncE0EEEvPKT_PKbPfiPiS9_iiiiii: ; @_ZN4vllm3moe17topkGatingSoftmaxIfLi8ELi128ELi8ELi32ELb1ELi0ELNS0_23SharedExpertScoringFuncE0EEEvPKT_PKbPfiPiS9_iiiiii
; %bb.0:
	s_load_b32 s16, s[0:1], 0x18
	v_bfe_u32 v1, v0, 10, 10
	v_and_b32_e32 v0, 0x3ff, v0
	s_lshl_b32 s18, s15, 4
	s_mov_b32 s2, exec_lo
	s_delay_alu instid0(VALU_DEP_2) | instskip(NEXT) | instid1(VALU_DEP_2)
	v_lshlrev_b32_e32 v26, 1, v1
	v_lshrrev_b32_e32 v27, 4, v0
	s_delay_alu instid0(VALU_DEP_1) | instskip(SKIP_1) | instid1(VALU_DEP_1)
	v_add3_u32 v15, s18, v26, v27
	s_waitcnt lgkmcnt(0)
	v_cmpx_gt_i32_e64 s16, v15
	s_cbranch_execz .LBB71_20
; %bb.1:
	s_clause 0x1
	s_load_b128 s[4:7], s[0:1], 0x0
	s_load_b64 s[12:13], s[0:1], 0x10
	s_waitcnt lgkmcnt(0)
	s_cmp_eq_u64 s[6:7], 0
	s_cbranch_scc1 .LBB71_3
; %bb.2:
	v_ashrrev_i32_e32 v2, 31, v15
	v_add_co_u32 v1, vcc_lo, s6, v15
	s_delay_alu instid0(VALU_DEP_2) | instskip(SKIP_3) | instid1(VALU_DEP_1)
	v_add_co_ci_u32_e32 v2, vcc_lo, s7, v2, vcc_lo
	global_load_u8 v1, v[1:2], off
	s_waitcnt vmcnt(0)
	v_and_b32_e32 v1, 1, v1
	v_cmp_eq_u32_e32 vcc_lo, 1, v1
	s_xor_b32 s2, vcc_lo, -1
	s_delay_alu instid0(SALU_CYCLE_1)
	s_or_not1_b32 s17, s2, exec_lo
	s_branch .LBB71_4
.LBB71_3:
	s_mov_b32 s17, -1
.LBB71_4:
	s_load_b64 s[14:15], s[0:1], 0x40
	v_and_b32_e32 v16, 15, v0
	v_mov_b32_e32 v14, 0
	s_waitcnt lgkmcnt(0)
	v_mul_lo_u32 v1, v15, s15
	s_delay_alu instid0(VALU_DEP_1) | instskip(NEXT) | instid1(VALU_DEP_1)
	v_ashrrev_i32_e32 v2, 31, v1
	v_lshlrev_b64 v[0:1], 2, v[1:2]
	v_lshlrev_b32_e32 v2, 5, v16
	s_delay_alu instid0(VALU_DEP_2) | instskip(NEXT) | instid1(VALU_DEP_3)
	v_add_co_u32 v0, vcc_lo, s4, v0
	v_add_co_ci_u32_e32 v1, vcc_lo, s5, v1, vcc_lo
	s_load_b128 s[4:7], s[0:1], 0x30
	s_delay_alu instid0(VALU_DEP_2) | instskip(NEXT) | instid1(VALU_DEP_2)
	v_add_co_u32 v4, vcc_lo, v0, v2
	v_add_co_ci_u32_e32 v5, vcc_lo, 0, v1, vcc_lo
	s_clause 0x1
	global_load_b128 v[0:3], v[4:5], off
	global_load_b128 v[4:7], v[4:5], off offset:16
	s_waitcnt vmcnt(1)
	v_cmp_lt_f32_e32 vcc_lo, v0, v1
	v_cndmask_b32_e32 v9, v0, v1, vcc_lo
	v_lshlrev_b32_e32 v17, 3, v16
	s_delay_alu instid0(VALU_DEP_1) | instskip(SKIP_1) | instid1(VALU_DEP_2)
	v_or_b32_e32 v18, 1, v17
	v_or_b32_e32 v19, 2, v17
	v_cndmask_b32_e32 v8, v17, v18, vcc_lo
	v_cmp_lt_f32_e32 vcc_lo, v9, v2
	s_delay_alu instid0(VALU_DEP_2)
	v_cndmask_b32_e32 v8, v8, v19, vcc_lo
	v_or_b32_e32 v20, 3, v17
	v_cndmask_b32_e32 v9, v9, v2, vcc_lo
	v_or_b32_e32 v21, 4, v17
	v_or_b32_e32 v22, 5, v17
	;; [unrolled: 1-line block ×4, first 2 shown]
	v_cmp_lt_f32_e32 vcc_lo, v9, v3
	v_dual_cndmask_b32 v8, v8, v20 :: v_dual_cndmask_b32 v9, v9, v3
	s_waitcnt vmcnt(0)
	s_delay_alu instid0(VALU_DEP_1) | instskip(NEXT) | instid1(VALU_DEP_2)
	v_cmp_lt_f32_e32 vcc_lo, v9, v4
	v_dual_cndmask_b32 v8, v8, v21 :: v_dual_cndmask_b32 v9, v9, v4
	s_delay_alu instid0(VALU_DEP_1) | instskip(NEXT) | instid1(VALU_DEP_2)
	v_cmp_lt_f32_e32 vcc_lo, v9, v5
	v_dual_cndmask_b32 v8, v8, v22 :: v_dual_cndmask_b32 v9, v9, v5
	;; [unrolled: 3-line block ×4, first 2 shown]
	s_delay_alu instid0(VALU_DEP_1) | instskip(NEXT) | instid1(VALU_DEP_2)
	v_mov_b32_dpp v10, v8 quad_perm:[1,0,3,2] row_mask:0xf bank_mask:0xf
	v_mov_b32_dpp v11, v9 quad_perm:[1,0,3,2] row_mask:0xf bank_mask:0xf
	s_delay_alu instid0(VALU_DEP_2) | instskip(NEXT) | instid1(VALU_DEP_2)
	v_cmp_lt_i32_e32 vcc_lo, v10, v8
	v_cmp_eq_f32_e64 s2, v9, v11
	v_cmp_lt_f32_e64 s3, v9, v11
	s_delay_alu instid0(VALU_DEP_2)
	s_and_b32 s2, s2, vcc_lo
	s_delay_alu instid0(VALU_DEP_1) | instid1(SALU_CYCLE_1)
	s_or_b32 vcc_lo, s3, s2
	v_dual_cndmask_b32 v9, v9, v11 :: v_dual_cndmask_b32 v8, v8, v10
	s_delay_alu instid0(VALU_DEP_1) | instskip(NEXT) | instid1(VALU_DEP_2)
	v_mov_b32_dpp v10, v9 quad_perm:[2,3,0,1] row_mask:0xf bank_mask:0xf
	v_mov_b32_dpp v11, v8 quad_perm:[2,3,0,1] row_mask:0xf bank_mask:0xf
	s_delay_alu instid0(VALU_DEP_2) | instskip(NEXT) | instid1(VALU_DEP_2)
	v_cmp_eq_f32_e32 vcc_lo, v9, v10
	v_cmp_lt_i32_e64 s2, v11, v8
	v_cmp_lt_f32_e64 s3, v9, v10
	s_delay_alu instid0(VALU_DEP_2)
	s_and_b32 s2, vcc_lo, s2
	s_delay_alu instid0(VALU_DEP_1) | instid1(SALU_CYCLE_1)
	s_or_b32 vcc_lo, s3, s2
	v_dual_cndmask_b32 v9, v9, v10 :: v_dual_cndmask_b32 v8, v8, v11
	s_delay_alu instid0(VALU_DEP_1) | instskip(NEXT) | instid1(VALU_DEP_2)
	v_mov_b32_dpp v10, v9 row_half_mirror row_mask:0xf bank_mask:0xf
	v_mov_b32_dpp v11, v8 row_half_mirror row_mask:0xf bank_mask:0xf
	s_delay_alu instid0(VALU_DEP_2) | instskip(NEXT) | instid1(VALU_DEP_2)
	v_cmp_eq_f32_e32 vcc_lo, v9, v10
	v_cmp_lt_i32_e64 s2, v11, v8
	v_cmp_lt_f32_e64 s3, v9, v10
	s_delay_alu instid0(VALU_DEP_2)
	s_and_b32 s2, vcc_lo, s2
	s_delay_alu instid0(VALU_DEP_1) | instid1(SALU_CYCLE_1)
	s_or_b32 vcc_lo, s3, s2
	s_waitcnt lgkmcnt(0)
	s_cmp_gt_i32 s4, 0
	v_cndmask_b32_e32 v10, v9, v10, vcc_lo
	v_cndmask_b32_e32 v8, v8, v11, vcc_lo
	v_cmp_eq_u32_e32 vcc_lo, 0, v16
	s_cselect_b32 s3, -1, 0
	s_cmp_lt_i32 s4, 1
	v_mov_b32_dpp v12, v10 row_mirror row_mask:0xf bank_mask:0xf
	v_mov_b32_dpp v25, v8 row_mirror row_mask:0xf bank_mask:0xf
	s_cbranch_scc1 .LBB71_16
; %bb.5:
	s_load_b128 s[8:11], s[0:1], 0x20
	s_delay_alu instid0(VALU_DEP_2) | instskip(NEXT) | instid1(VALU_DEP_2)
	v_cmp_eq_f32_e64 s0, v10, v12
	v_cmp_lt_i32_e64 s1, v25, v8
	v_cmp_lt_f32_e64 s2, v10, v12
	v_mul_lo_u32 v9, v15, s7
	v_mul_lo_u32 v11, v15, s14
	;; [unrolled: 1-line block ×3, first 2 shown]
	s_and_b32 s0, s0, s1
	v_mov_b32_e32 v14, 0
	s_or_b32 s0, s2, s0
	s_delay_alu instid0(SALU_CYCLE_1)
	v_cndmask_b32_e64 v8, v8, v25, s0
	v_cndmask_b32_e64 v25, v10, v12, s0
	s_and_saveexec_b32 s2, vcc_lo
	s_cbranch_execz .LBB71_7
; %bb.6:
	s_delay_alu instid0(VALU_DEP_1)
	v_sub_f32_e32 v34, v25, v25
	v_cmp_le_i32_e64 s0, s5, v8
	v_cmp_gt_i32_e64 s1, s6, v8
	v_subrev_nc_u32_e32 v35, s5, v8
	v_ashrrev_i32_e32 v14, 31, v13
	v_mul_f32_e32 v10, 0x3fb8aa3b, v34
	s_delay_alu instid0(VALU_DEP_4) | instskip(NEXT) | instid1(SALU_CYCLE_1)
	s_and_b32 s0, s0, s1
	s_and_b32 s0, s17, s0
	s_delay_alu instid0(VALU_DEP_1) | instskip(SKIP_2) | instid1(VALU_DEP_3)
	v_rndne_f32_e32 v30, v10
	v_fma_f32 v12, 0x3fb8aa3b, v34, -v10
	v_lshlrev_b64 v[32:33], 2, v[13:14]
	v_sub_f32_e32 v10, v10, v30
	s_delay_alu instid0(VALU_DEP_3) | instskip(NEXT) | instid1(VALU_DEP_1)
	v_fmamk_f32 v12, v34, 0x32a5705f, v12
	v_add_f32_e32 v12, v10, v12
	v_ashrrev_i32_e32 v10, 31, v9
	s_delay_alu instid0(VALU_DEP_2) | instskip(NEXT) | instid1(VALU_DEP_1)
	v_exp_f32_e32 v36, v12
	v_lshlrev_b64 v[28:29], 2, v[9:10]
	v_ashrrev_i32_e32 v12, 31, v11
	v_cvt_i32_f32_e32 v10, v30
	s_delay_alu instid0(VALU_DEP_2) | instskip(SKIP_2) | instid1(VALU_DEP_1)
	v_lshlrev_b64 v[30:31], 2, v[11:12]
	v_cndmask_b32_e64 v12, 0x80, v35, s0
	v_add_co_u32 v28, s0, s12, v28
	v_add_co_ci_u32_e64 v29, s0, s13, v29, s0
	s_delay_alu instid0(TRANS32_DEP_1) | instskip(SKIP_1) | instid1(VALU_DEP_1)
	v_ldexp_f32 v10, v36, v10
	v_cmp_ngt_f32_e64 s0, 0xc2ce8ed0, v34
	v_cndmask_b32_e64 v10, 0, v10, s0
	s_waitcnt lgkmcnt(0)
	v_add_co_u32 v30, s0, s8, v30
	s_delay_alu instid0(VALU_DEP_1) | instskip(SKIP_1) | instid1(VALU_DEP_1)
	v_add_co_ci_u32_e64 v31, s0, s9, v31, s0
	v_cmp_nlt_f32_e64 s0, 0x42b17218, v34
	v_cndmask_b32_e64 v14, 0x7f800000, v10, s0
	v_add_co_u32 v32, s0, s10, v32
	s_delay_alu instid0(VALU_DEP_1)
	v_add_co_ci_u32_e64 v33, s0, s11, v33, s0
	global_store_b32 v[30:31], v12, off
	global_store_b32 v[28:29], v14, off
	;; [unrolled: 1-line block ×3, first 2 shown]
.LBB71_7:
	s_or_b32 exec_lo, exec_lo, s2
	v_ashrrev_i32_e32 v12, 31, v8
	s_mov_b32 s1, exec_lo
	s_delay_alu instid0(VALU_DEP_1) | instskip(NEXT) | instid1(VALU_DEP_1)
	v_lshrrev_b32_e32 v10, 29, v12
	v_add_nc_u32_e32 v10, v8, v10
	s_delay_alu instid0(VALU_DEP_1) | instskip(NEXT) | instid1(VALU_DEP_1)
	v_ashrrev_i32_e32 v10, 3, v10
	v_lshrrev_b32_e32 v28, 28, v10
	s_delay_alu instid0(VALU_DEP_1) | instskip(NEXT) | instid1(VALU_DEP_1)
	v_add_nc_u32_e32 v28, v10, v28
	v_and_b32_e32 v28, -16, v28
	s_delay_alu instid0(VALU_DEP_1) | instskip(NEXT) | instid1(VALU_DEP_1)
	v_sub_nc_u32_e32 v28, v10, v28
	v_cmpx_eq_u32_e64 v16, v28
	s_cbranch_execz .LBB71_9
; %bb.8:
	v_lshrrev_b32_e32 v12, 25, v12
	v_lshlrev_b32_e32 v10, 3, v10
	s_delay_alu instid0(VALU_DEP_2) | instskip(NEXT) | instid1(VALU_DEP_2)
	v_add_nc_u32_e32 v12, v8, v12
	v_sub_nc_u32_e32 v8, v8, v10
	s_delay_alu instid0(VALU_DEP_2) | instskip(NEXT) | instid1(VALU_DEP_1)
	v_ashrrev_i32_e32 v10, 7, v12
	v_lshl_add_u32 v8, v10, 3, v8
	s_delay_alu instid0(VALU_DEP_1) | instskip(NEXT) | instid1(VALU_DEP_1)
	v_cmp_ne_u32_e64 s0, 7, v8
	v_cndmask_b32_e64 v7, 0xff800000, v7, s0
	v_cmp_ne_u32_e64 s0, 6, v8
	s_delay_alu instid0(VALU_DEP_1) | instskip(SKIP_1) | instid1(VALU_DEP_1)
	v_cndmask_b32_e64 v6, 0xff800000, v6, s0
	v_cmp_ne_u32_e64 s0, 5, v8
	v_cndmask_b32_e64 v5, 0xff800000, v5, s0
	v_cmp_ne_u32_e64 s0, 4, v8
	s_delay_alu instid0(VALU_DEP_1) | instskip(SKIP_1) | instid1(VALU_DEP_1)
	v_cndmask_b32_e64 v4, 0xff800000, v4, s0
	;; [unrolled: 5-line block ×3, first 2 shown]
	v_cmp_ne_u32_e64 s0, 1, v8
	v_cndmask_b32_e64 v1, 0xff800000, v1, s0
	v_cmp_ne_u32_e64 s0, 0, v8
	s_delay_alu instid0(VALU_DEP_1)
	v_cndmask_b32_e64 v0, 0xff800000, v0, s0
.LBB71_9:
	s_or_b32 exec_lo, exec_lo, s1
	s_cmp_eq_u32 s4, 1
	s_cbranch_scc1 .LBB71_16
; %bb.10:
	s_add_i32 s18, s18, s16
	v_add_nc_u32_e32 v8, 1, v13
	v_add3_u32 v26, s18, v27, v26
	v_add_nc_u32_e32 v10, 1, v11
	v_add_nc_u32_e32 v12, 1, v9
	s_add_i32 s14, s4, -1
	s_branch .LBB71_12
.LBB71_11:                              ;   in Loop: Header=BB71_12 Depth=1
	s_or_b32 exec_lo, exec_lo, s1
	v_add_nc_u32_e32 v26, s16, v26
	v_add_nc_u32_e32 v8, 1, v8
	;; [unrolled: 1-line block ×4, first 2 shown]
	s_add_i32 s14, s14, -1
	s_delay_alu instid0(SALU_CYCLE_1)
	s_cmp_eq_u32 s14, 0
	s_cbranch_scc1 .LBB71_16
.LBB71_12:                              ; =>This Inner Loop Header: Depth=1
	v_cmp_gt_f32_e64 s0, v1, v0
	s_delay_alu instid0(VALU_DEP_1) | instskip(SKIP_1) | instid1(VALU_DEP_2)
	v_cndmask_b32_e64 v11, v0, v1, s0
	v_cndmask_b32_e64 v9, v17, v18, s0
	v_cmp_gt_f32_e64 s0, v2, v11
	s_delay_alu instid0(VALU_DEP_1) | instskip(NEXT) | instid1(VALU_DEP_3)
	v_cndmask_b32_e64 v11, v11, v2, s0
	v_cndmask_b32_e64 v9, v9, v19, s0
	s_delay_alu instid0(VALU_DEP_2) | instskip(NEXT) | instid1(VALU_DEP_1)
	v_cmp_gt_f32_e64 s0, v3, v11
	v_cndmask_b32_e64 v11, v11, v3, s0
	s_delay_alu instid0(VALU_DEP_3) | instskip(NEXT) | instid1(VALU_DEP_2)
	v_cndmask_b32_e64 v9, v9, v20, s0
	v_cmp_gt_f32_e64 s0, v4, v11
	s_delay_alu instid0(VALU_DEP_1) | instskip(NEXT) | instid1(VALU_DEP_3)
	v_cndmask_b32_e64 v11, v11, v4, s0
	v_cndmask_b32_e64 v9, v9, v21, s0
	s_delay_alu instid0(VALU_DEP_2) | instskip(NEXT) | instid1(VALU_DEP_1)
	v_cmp_gt_f32_e64 s0, v5, v11
	v_cndmask_b32_e64 v11, v11, v5, s0
	s_delay_alu instid0(VALU_DEP_3) | instskip(NEXT) | instid1(VALU_DEP_2)
	v_cndmask_b32_e64 v9, v9, v22, s0
	v_cmp_gt_f32_e64 s0, v6, v11
	s_delay_alu instid0(VALU_DEP_1) | instskip(NEXT) | instid1(VALU_DEP_3)
	v_cndmask_b32_e64 v11, v11, v6, s0
	v_cndmask_b32_e64 v9, v9, v23, s0
	s_delay_alu instid0(VALU_DEP_2) | instskip(NEXT) | instid1(VALU_DEP_1)
	v_cmp_gt_f32_e64 s0, v7, v11
	v_cndmask_b32_e64 v9, v9, v24, s0
	v_cndmask_b32_e64 v11, v11, v7, s0
	s_delay_alu instid0(VALU_DEP_2) | instskip(NEXT) | instid1(VALU_DEP_2)
	v_mov_b32_dpp v13, v9 quad_perm:[1,0,3,2] row_mask:0xf bank_mask:0xf
	v_mov_b32_dpp v27, v11 quad_perm:[1,0,3,2] row_mask:0xf bank_mask:0xf
	s_delay_alu instid0(VALU_DEP_2) | instskip(NEXT) | instid1(VALU_DEP_2)
	v_cmp_lt_i32_e64 s0, v13, v9
	v_cmp_eq_f32_e64 s1, v11, v27
	v_cmp_lt_f32_e64 s2, v11, v27
	s_delay_alu instid0(VALU_DEP_2)
	s_and_b32 s0, s1, s0
	s_delay_alu instid0(VALU_DEP_1) | instid1(SALU_CYCLE_1)
	s_or_b32 s0, s2, s0
	s_delay_alu instid0(SALU_CYCLE_1) | instskip(SKIP_1) | instid1(VALU_DEP_2)
	v_cndmask_b32_e64 v11, v11, v27, s0
	v_cndmask_b32_e64 v9, v9, v13, s0
	v_mov_b32_dpp v13, v11 quad_perm:[2,3,0,1] row_mask:0xf bank_mask:0xf
	s_delay_alu instid0(VALU_DEP_2) | instskip(NEXT) | instid1(VALU_DEP_2)
	v_mov_b32_dpp v27, v9 quad_perm:[2,3,0,1] row_mask:0xf bank_mask:0xf
	v_cmp_eq_f32_e64 s0, v11, v13
	s_delay_alu instid0(VALU_DEP_2) | instskip(SKIP_1) | instid1(VALU_DEP_2)
	v_cmp_lt_i32_e64 s1, v27, v9
	v_cmp_lt_f32_e64 s2, v11, v13
	s_and_b32 s0, s0, s1
	s_delay_alu instid0(VALU_DEP_1) | instid1(SALU_CYCLE_1)
	s_or_b32 s0, s2, s0
	s_delay_alu instid0(SALU_CYCLE_1) | instskip(SKIP_1) | instid1(VALU_DEP_2)
	v_cndmask_b32_e64 v11, v11, v13, s0
	v_cndmask_b32_e64 v13, v9, v27, s0
	v_mov_b32_dpp v9, v11 row_half_mirror row_mask:0xf bank_mask:0xf
	s_delay_alu instid0(VALU_DEP_2) | instskip(NEXT) | instid1(VALU_DEP_2)
	v_mov_b32_dpp v27, v13 row_half_mirror row_mask:0xf bank_mask:0xf
	v_cmp_eq_f32_e64 s0, v11, v9
	s_delay_alu instid0(VALU_DEP_2) | instskip(SKIP_1) | instid1(VALU_DEP_2)
	v_cmp_lt_i32_e64 s1, v27, v13
	v_cmp_lt_f32_e64 s2, v11, v9
	s_and_b32 s0, s0, s1
	s_delay_alu instid0(VALU_DEP_1) | instid1(SALU_CYCLE_1)
	s_or_b32 s0, s2, s0
	s_delay_alu instid0(SALU_CYCLE_1) | instskip(SKIP_1) | instid1(VALU_DEP_2)
	v_cndmask_b32_e64 v9, v11, v9, s0
	v_cndmask_b32_e64 v13, v13, v27, s0
	v_mov_b32_dpp v11, v9 row_mirror row_mask:0xf bank_mask:0xf
	s_delay_alu instid0(VALU_DEP_2) | instskip(NEXT) | instid1(VALU_DEP_2)
	v_mov_b32_dpp v27, v13 row_mirror row_mask:0xf bank_mask:0xf
	v_cmp_eq_f32_e64 s0, v9, v11
	s_delay_alu instid0(VALU_DEP_2) | instskip(SKIP_1) | instid1(VALU_DEP_2)
	v_cmp_lt_i32_e64 s1, v27, v13
	v_cmp_lt_f32_e64 s2, v9, v11
	s_and_b32 s0, s0, s1
	s_delay_alu instid0(VALU_DEP_1) | instid1(SALU_CYCLE_1)
	s_or_b32 s0, s2, s0
	s_delay_alu instid0(SALU_CYCLE_1)
	v_cndmask_b32_e64 v27, v13, v27, s0
	s_and_saveexec_b32 s2, vcc_lo
	s_cbranch_execz .LBB71_14
; %bb.13:                               ;   in Loop: Header=BB71_12 Depth=1
	v_cndmask_b32_e64 v9, v9, v11, s0
	s_delay_alu instid0(VALU_DEP_2) | instskip(SKIP_4) | instid1(VALU_DEP_4)
	v_cmp_le_i32_e64 s0, s5, v27
	v_cmp_gt_i32_e64 s1, s6, v27
	v_ashrrev_i32_e32 v13, 31, v12
	v_subrev_nc_u32_e32 v35, s5, v27
	v_sub_f32_e32 v34, v9, v25
	s_and_b32 s0, s0, s1
	s_delay_alu instid0(SALU_CYCLE_1) | instskip(NEXT) | instid1(VALU_DEP_1)
	s_and_b32 s0, s17, s0
	v_mul_f32_e32 v9, 0x3fb8aa3b, v34
	s_delay_alu instid0(VALU_DEP_1) | instskip(SKIP_1) | instid1(VALU_DEP_2)
	v_fma_f32 v11, 0x3fb8aa3b, v34, -v9
	v_rndne_f32_e32 v28, v9
	v_fmac_f32_e32 v11, 0x32a5705f, v34
	s_delay_alu instid0(VALU_DEP_2) | instskip(SKIP_2) | instid1(VALU_DEP_3)
	v_sub_f32_e32 v9, v9, v28
	v_cvt_i32_f32_e32 v33, v28
	v_lshlrev_b64 v[28:29], 2, v[12:13]
	v_add_f32_e32 v9, v9, v11
	v_ashrrev_i32_e32 v11, 31, v10
	s_delay_alu instid0(VALU_DEP_2) | instskip(SKIP_1) | instid1(VALU_DEP_2)
	v_exp_f32_e32 v32, v9
	v_ashrrev_i32_e32 v9, 31, v8
	v_lshlrev_b64 v[30:31], 2, v[10:11]
	s_waitcnt_depctr 0xfff
	v_ldexp_f32 v11, v32, v33
	v_lshlrev_b64 v[32:33], 2, v[8:9]
	v_cndmask_b32_e64 v9, 0x80, v35, s0
	v_cmp_ngt_f32_e64 s0, 0xc2ce8ed0, v34
	s_delay_alu instid0(VALU_DEP_1) | instskip(SKIP_1) | instid1(VALU_DEP_1)
	v_cndmask_b32_e64 v11, 0, v11, s0
	v_add_co_u32 v28, s0, s12, v28
	v_add_co_ci_u32_e64 v29, s0, s13, v29, s0
	v_cmp_nlt_f32_e64 s0, 0x42b17218, v34
	s_delay_alu instid0(VALU_DEP_1) | instskip(SKIP_2) | instid1(VALU_DEP_1)
	v_cndmask_b32_e64 v11, 0x7f800000, v11, s0
	s_waitcnt lgkmcnt(0)
	v_add_co_u32 v30, s0, s8, v30
	v_add_co_ci_u32_e64 v31, s0, s9, v31, s0
	s_delay_alu instid0(VALU_DEP_3) | instskip(SKIP_1) | instid1(VALU_DEP_1)
	v_add_f32_e32 v14, v14, v11
	v_add_co_u32 v32, s0, s10, v32
	v_add_co_ci_u32_e64 v33, s0, s11, v33, s0
	global_store_b32 v[28:29], v11, off
	global_store_b32 v[30:31], v9, off
	;; [unrolled: 1-line block ×3, first 2 shown]
.LBB71_14:                              ;   in Loop: Header=BB71_12 Depth=1
	s_or_b32 exec_lo, exec_lo, s2
	s_delay_alu instid0(VALU_DEP_1) | instskip(SKIP_1) | instid1(VALU_DEP_1)
	v_ashrrev_i32_e32 v11, 31, v27
	s_mov_b32 s1, exec_lo
	v_lshrrev_b32_e32 v9, 29, v11
	s_delay_alu instid0(VALU_DEP_1) | instskip(NEXT) | instid1(VALU_DEP_1)
	v_add_nc_u32_e32 v9, v27, v9
	v_ashrrev_i32_e32 v9, 3, v9
	s_delay_alu instid0(VALU_DEP_1) | instskip(NEXT) | instid1(VALU_DEP_1)
	v_lshrrev_b32_e32 v13, 28, v9
	v_add_nc_u32_e32 v13, v9, v13
	s_delay_alu instid0(VALU_DEP_1) | instskip(NEXT) | instid1(VALU_DEP_1)
	v_and_b32_e32 v13, -16, v13
	v_sub_nc_u32_e32 v13, v9, v13
	s_delay_alu instid0(VALU_DEP_1)
	v_cmpx_eq_u32_e64 v16, v13
	s_cbranch_execz .LBB71_11
; %bb.15:                               ;   in Loop: Header=BB71_12 Depth=1
	v_lshrrev_b32_e32 v11, 25, v11
	v_lshlrev_b32_e32 v9, 3, v9
	s_delay_alu instid0(VALU_DEP_2) | instskip(NEXT) | instid1(VALU_DEP_2)
	v_add_nc_u32_e32 v11, v27, v11
	v_sub_nc_u32_e32 v9, v27, v9
	s_delay_alu instid0(VALU_DEP_2) | instskip(NEXT) | instid1(VALU_DEP_1)
	v_ashrrev_i32_e32 v11, 7, v11
	v_lshl_add_u32 v9, v11, 3, v9
	s_delay_alu instid0(VALU_DEP_1) | instskip(NEXT) | instid1(VALU_DEP_1)
	v_cmp_ne_u32_e64 s0, 7, v9
	v_cndmask_b32_e64 v7, 0xff800000, v7, s0
	v_cmp_ne_u32_e64 s0, 6, v9
	s_delay_alu instid0(VALU_DEP_1) | instskip(SKIP_1) | instid1(VALU_DEP_1)
	v_cndmask_b32_e64 v6, 0xff800000, v6, s0
	v_cmp_ne_u32_e64 s0, 5, v9
	v_cndmask_b32_e64 v5, 0xff800000, v5, s0
	v_cmp_ne_u32_e64 s0, 4, v9
	s_delay_alu instid0(VALU_DEP_1) | instskip(SKIP_1) | instid1(VALU_DEP_1)
	v_cndmask_b32_e64 v4, 0xff800000, v4, s0
	;; [unrolled: 5-line block ×3, first 2 shown]
	v_cmp_ne_u32_e64 s0, 1, v9
	v_cndmask_b32_e64 v1, 0xff800000, v1, s0
	v_cmp_ne_u32_e64 s0, 0, v9
	s_delay_alu instid0(VALU_DEP_1)
	v_cndmask_b32_e64 v0, 0xff800000, v0, s0
	s_branch .LBB71_11
.LBB71_16:
	v_cmp_eq_u32_e32 vcc_lo, 0, v16
	v_cmp_neq_f32_e64 s0, 0, v14
	s_delay_alu instid0(VALU_DEP_1) | instskip(NEXT) | instid1(SALU_CYCLE_1)
	s_and_b32 s0, vcc_lo, s0
	s_and_b32 exec_lo, exec_lo, s0
	s_cbranch_execz .LBB71_20
; %bb.17:
	s_and_not1_b32 vcc_lo, exec_lo, s3
	s_cbranch_vccnz .LBB71_20
; %bb.18:
	v_div_scale_f32 v1, null, v14, v14, 1.0
	v_div_scale_f32 v3, vcc_lo, 1.0, v14, 1.0
	s_delay_alu instid0(VALU_DEP_2) | instskip(SKIP_2) | instid1(VALU_DEP_1)
	v_rcp_f32_e32 v2, v1
	s_waitcnt_depctr 0xfff
	v_fma_f32 v0, -v1, v2, 1.0
	v_fmac_f32_e32 v2, v0, v2
	v_mul_lo_u32 v0, v15, s7
	s_delay_alu instid0(VALU_DEP_2) | instskip(NEXT) | instid1(VALU_DEP_1)
	v_mul_f32_e32 v4, v3, v2
	v_fma_f32 v5, -v1, v4, v3
	s_delay_alu instid0(VALU_DEP_1) | instskip(NEXT) | instid1(VALU_DEP_1)
	v_fmac_f32_e32 v4, v5, v2
	v_fma_f32 v3, -v1, v4, v3
	v_ashrrev_i32_e32 v1, 31, v0
	s_delay_alu instid0(VALU_DEP_2) | instskip(NEXT) | instid1(VALU_DEP_2)
	v_div_fmas_f32 v2, v3, v2, v4
	v_lshlrev_b64 v[0:1], 2, v[0:1]
	s_delay_alu instid0(VALU_DEP_2) | instskip(NEXT) | instid1(VALU_DEP_2)
	v_div_fixup_f32 v2, v2, v14, 1.0
	v_add_co_u32 v0, vcc_lo, s12, v0
	s_delay_alu instid0(VALU_DEP_3)
	v_add_co_ci_u32_e32 v1, vcc_lo, s13, v1, vcc_lo
.LBB71_19:                              ; =>This Inner Loop Header: Depth=1
	global_load_b32 v3, v[0:1], off
	s_add_i32 s4, s4, -1
	s_delay_alu instid0(SALU_CYCLE_1)
	s_cmp_lg_u32 s4, 0
	s_waitcnt vmcnt(0)
	v_mul_f32_e32 v3, v2, v3
	global_store_b32 v[0:1], v3, off
	v_add_co_u32 v0, vcc_lo, v0, 4
	v_add_co_ci_u32_e32 v1, vcc_lo, 0, v1, vcc_lo
	s_cbranch_scc1 .LBB71_19
.LBB71_20:
	s_nop 0
	s_sendmsg sendmsg(MSG_DEALLOC_VGPRS)
	s_endpgm
	.section	.rodata,"a",@progbits
	.p2align	6, 0x0
	.amdhsa_kernel _ZN4vllm3moe17topkGatingSoftmaxIfLi8ELi128ELi8ELi32ELb1ELi0ELNS0_23SharedExpertScoringFuncE0EEEvPKT_PKbPfiPiS9_iiiiii
		.amdhsa_group_segment_fixed_size 0
		.amdhsa_private_segment_fixed_size 0
		.amdhsa_kernarg_size 72
		.amdhsa_user_sgpr_count 15
		.amdhsa_user_sgpr_dispatch_ptr 0
		.amdhsa_user_sgpr_queue_ptr 0
		.amdhsa_user_sgpr_kernarg_segment_ptr 1
		.amdhsa_user_sgpr_dispatch_id 0
		.amdhsa_user_sgpr_private_segment_size 0
		.amdhsa_wavefront_size32 1
		.amdhsa_uses_dynamic_stack 0
		.amdhsa_enable_private_segment 0
		.amdhsa_system_sgpr_workgroup_id_x 1
		.amdhsa_system_sgpr_workgroup_id_y 0
		.amdhsa_system_sgpr_workgroup_id_z 0
		.amdhsa_system_sgpr_workgroup_info 0
		.amdhsa_system_vgpr_workitem_id 1
		.amdhsa_next_free_vgpr 37
		.amdhsa_next_free_sgpr 19
		.amdhsa_reserve_vcc 1
		.amdhsa_float_round_mode_32 0
		.amdhsa_float_round_mode_16_64 0
		.amdhsa_float_denorm_mode_32 3
		.amdhsa_float_denorm_mode_16_64 3
		.amdhsa_dx10_clamp 1
		.amdhsa_ieee_mode 1
		.amdhsa_fp16_overflow 0
		.amdhsa_workgroup_processor_mode 1
		.amdhsa_memory_ordered 1
		.amdhsa_forward_progress 0
		.amdhsa_shared_vgpr_count 0
		.amdhsa_exception_fp_ieee_invalid_op 0
		.amdhsa_exception_fp_denorm_src 0
		.amdhsa_exception_fp_ieee_div_zero 0
		.amdhsa_exception_fp_ieee_overflow 0
		.amdhsa_exception_fp_ieee_underflow 0
		.amdhsa_exception_fp_ieee_inexact 0
		.amdhsa_exception_int_div_zero 0
	.end_amdhsa_kernel
	.section	.text._ZN4vllm3moe17topkGatingSoftmaxIfLi8ELi128ELi8ELi32ELb1ELi0ELNS0_23SharedExpertScoringFuncE0EEEvPKT_PKbPfiPiS9_iiiiii,"axG",@progbits,_ZN4vllm3moe17topkGatingSoftmaxIfLi8ELi128ELi8ELi32ELb1ELi0ELNS0_23SharedExpertScoringFuncE0EEEvPKT_PKbPfiPiS9_iiiiii,comdat
.Lfunc_end71:
	.size	_ZN4vllm3moe17topkGatingSoftmaxIfLi8ELi128ELi8ELi32ELb1ELi0ELNS0_23SharedExpertScoringFuncE0EEEvPKT_PKbPfiPiS9_iiiiii, .Lfunc_end71-_ZN4vllm3moe17topkGatingSoftmaxIfLi8ELi128ELi8ELi32ELb1ELi0ELNS0_23SharedExpertScoringFuncE0EEEvPKT_PKbPfiPiS9_iiiiii
                                        ; -- End function
	.section	.AMDGPU.csdata,"",@progbits
; Kernel info:
; codeLenInByte = 2776
; NumSgprs: 21
; NumVgprs: 37
; ScratchSize: 0
; MemoryBound: 0
; FloatMode: 240
; IeeeMode: 1
; LDSByteSize: 0 bytes/workgroup (compile time only)
; SGPRBlocks: 2
; VGPRBlocks: 4
; NumSGPRsForWavesPerEU: 21
; NumVGPRsForWavesPerEU: 37
; Occupancy: 16
; WaveLimiterHint : 0
; COMPUTE_PGM_RSRC2:SCRATCH_EN: 0
; COMPUTE_PGM_RSRC2:USER_SGPR: 15
; COMPUTE_PGM_RSRC2:TRAP_HANDLER: 0
; COMPUTE_PGM_RSRC2:TGID_X_EN: 1
; COMPUTE_PGM_RSRC2:TGID_Y_EN: 0
; COMPUTE_PGM_RSRC2:TGID_Z_EN: 0
; COMPUTE_PGM_RSRC2:TIDIG_COMP_CNT: 1
	.section	.text._ZN4vllm3moe17topkGatingSoftmaxIfLi8ELi128ELi8ELi32ELb0ELi0ELNS0_23SharedExpertScoringFuncE0EEEvPKT_PKbPfiPiS9_iiiiii,"axG",@progbits,_ZN4vllm3moe17topkGatingSoftmaxIfLi8ELi128ELi8ELi32ELb0ELi0ELNS0_23SharedExpertScoringFuncE0EEEvPKT_PKbPfiPiS9_iiiiii,comdat
	.protected	_ZN4vllm3moe17topkGatingSoftmaxIfLi8ELi128ELi8ELi32ELb0ELi0ELNS0_23SharedExpertScoringFuncE0EEEvPKT_PKbPfiPiS9_iiiiii ; -- Begin function _ZN4vllm3moe17topkGatingSoftmaxIfLi8ELi128ELi8ELi32ELb0ELi0ELNS0_23SharedExpertScoringFuncE0EEEvPKT_PKbPfiPiS9_iiiiii
	.globl	_ZN4vllm3moe17topkGatingSoftmaxIfLi8ELi128ELi8ELi32ELb0ELi0ELNS0_23SharedExpertScoringFuncE0EEEvPKT_PKbPfiPiS9_iiiiii
	.p2align	8
	.type	_ZN4vllm3moe17topkGatingSoftmaxIfLi8ELi128ELi8ELi32ELb0ELi0ELNS0_23SharedExpertScoringFuncE0EEEvPKT_PKbPfiPiS9_iiiiii,@function
_ZN4vllm3moe17topkGatingSoftmaxIfLi8ELi128ELi8ELi32ELb0ELi0ELNS0_23SharedExpertScoringFuncE0EEEvPKT_PKbPfiPiS9_iiiiii: ; @_ZN4vllm3moe17topkGatingSoftmaxIfLi8ELi128ELi8ELi32ELb0ELi0ELNS0_23SharedExpertScoringFuncE0EEEvPKT_PKbPfiPiS9_iiiiii
; %bb.0:
	s_load_b32 s16, s[0:1], 0x18
	v_bfe_u32 v1, v0, 10, 10
	v_and_b32_e32 v0, 0x3ff, v0
	s_lshl_b32 s18, s15, 4
	s_mov_b32 s2, exec_lo
	s_delay_alu instid0(VALU_DEP_2) | instskip(NEXT) | instid1(VALU_DEP_2)
	v_lshlrev_b32_e32 v26, 1, v1
	v_lshrrev_b32_e32 v27, 4, v0
	s_delay_alu instid0(VALU_DEP_1) | instskip(SKIP_1) | instid1(VALU_DEP_1)
	v_add3_u32 v15, s18, v26, v27
	s_waitcnt lgkmcnt(0)
	v_cmpx_gt_i32_e64 s16, v15
	s_cbranch_execz .LBB72_21
; %bb.1:
	s_clause 0x1
	s_load_b128 s[4:7], s[0:1], 0x0
	s_load_b64 s[12:13], s[0:1], 0x10
	s_waitcnt lgkmcnt(0)
	s_cmp_eq_u64 s[6:7], 0
	s_cbranch_scc1 .LBB72_3
; %bb.2:
	v_ashrrev_i32_e32 v2, 31, v15
	v_add_co_u32 v1, vcc_lo, s6, v15
	s_delay_alu instid0(VALU_DEP_2) | instskip(SKIP_3) | instid1(VALU_DEP_1)
	v_add_co_ci_u32_e32 v2, vcc_lo, s7, v2, vcc_lo
	global_load_u8 v1, v[1:2], off
	s_waitcnt vmcnt(0)
	v_and_b32_e32 v1, 1, v1
	v_cmp_eq_u32_e32 vcc_lo, 1, v1
	s_xor_b32 s2, vcc_lo, -1
	s_delay_alu instid0(SALU_CYCLE_1)
	s_or_not1_b32 s17, s2, exec_lo
	s_branch .LBB72_4
.LBB72_3:
	s_mov_b32 s17, -1
.LBB72_4:
	s_load_b64 s[14:15], s[0:1], 0x40
	v_and_b32_e32 v16, 15, v0
	v_mov_b32_e32 v14, 0
	s_waitcnt lgkmcnt(0)
	v_mul_lo_u32 v1, v15, s15
	s_delay_alu instid0(VALU_DEP_1) | instskip(NEXT) | instid1(VALU_DEP_1)
	v_ashrrev_i32_e32 v2, 31, v1
	v_lshlrev_b64 v[0:1], 2, v[1:2]
	v_lshlrev_b32_e32 v2, 5, v16
	s_delay_alu instid0(VALU_DEP_2) | instskip(NEXT) | instid1(VALU_DEP_3)
	v_add_co_u32 v0, vcc_lo, s4, v0
	v_add_co_ci_u32_e32 v1, vcc_lo, s5, v1, vcc_lo
	s_load_b128 s[4:7], s[0:1], 0x30
	s_delay_alu instid0(VALU_DEP_2) | instskip(NEXT) | instid1(VALU_DEP_2)
	v_add_co_u32 v0, vcc_lo, v0, v2
	v_add_co_ci_u32_e32 v1, vcc_lo, 0, v1, vcc_lo
	s_clause 0x1
	global_load_b128 v[4:7], v[0:1], off
	global_load_b128 v[0:3], v[0:1], off offset:16
	s_waitcnt vmcnt(1)
	v_cmp_lt_f32_e32 vcc_lo, v4, v5
	v_dual_cndmask_b32 v9, v4, v5 :: v_dual_lshlrev_b32 v18, 3, v16
	s_delay_alu instid0(VALU_DEP_1) | instskip(SKIP_1) | instid1(VALU_DEP_2)
	v_or_b32_e32 v19, 1, v18
	v_or_b32_e32 v20, 2, v18
	v_cndmask_b32_e32 v8, v18, v19, vcc_lo
	s_delay_alu instid0(VALU_DEP_4) | instskip(NEXT) | instid1(VALU_DEP_2)
	v_cmp_lt_f32_e32 vcc_lo, v9, v6
	v_dual_cndmask_b32 v9, v9, v6 :: v_dual_cndmask_b32 v8, v8, v20
	s_delay_alu instid0(VALU_DEP_1)
	v_cmp_lt_f32_e32 vcc_lo, v9, v7
	v_cndmask_b32_e32 v9, v9, v7, vcc_lo
	v_or_b32_e32 v21, 3, v18
	v_or_b32_e32 v22, 4, v18
	;; [unrolled: 1-line block ×5, first 2 shown]
	v_cndmask_b32_e32 v8, v8, v21, vcc_lo
	s_waitcnt vmcnt(0)
	v_cmp_lt_f32_e32 vcc_lo, v9, v0
	s_delay_alu instid0(VALU_DEP_2) | instskip(NEXT) | instid1(VALU_DEP_1)
	v_dual_cndmask_b32 v9, v9, v0 :: v_dual_cndmask_b32 v8, v8, v22
	v_cmp_lt_f32_e32 vcc_lo, v9, v1
	s_delay_alu instid0(VALU_DEP_2) | instskip(NEXT) | instid1(VALU_DEP_1)
	v_dual_cndmask_b32 v9, v9, v1 :: v_dual_cndmask_b32 v8, v8, v23
	;; [unrolled: 3-line block ×4, first 2 shown]
	v_mov_b32_dpp v10, v8 quad_perm:[1,0,3,2] row_mask:0xf bank_mask:0xf
	s_delay_alu instid0(VALU_DEP_2) | instskip(NEXT) | instid1(VALU_DEP_2)
	v_mov_b32_dpp v11, v9 quad_perm:[1,0,3,2] row_mask:0xf bank_mask:0xf
	v_cmp_lt_i32_e32 vcc_lo, v10, v8
	s_delay_alu instid0(VALU_DEP_2) | instskip(SKIP_1) | instid1(VALU_DEP_2)
	v_cmp_eq_f32_e64 s2, v9, v11
	v_cmp_lt_f32_e64 s3, v9, v11
	s_and_b32 s2, s2, vcc_lo
	s_delay_alu instid0(VALU_DEP_1) | instid1(SALU_CYCLE_1)
	s_or_b32 vcc_lo, s3, s2
	v_dual_cndmask_b32 v9, v9, v11 :: v_dual_cndmask_b32 v8, v8, v10
	s_delay_alu instid0(VALU_DEP_1) | instskip(NEXT) | instid1(VALU_DEP_2)
	v_mov_b32_dpp v10, v9 quad_perm:[2,3,0,1] row_mask:0xf bank_mask:0xf
	v_mov_b32_dpp v11, v8 quad_perm:[2,3,0,1] row_mask:0xf bank_mask:0xf
	s_delay_alu instid0(VALU_DEP_2) | instskip(NEXT) | instid1(VALU_DEP_2)
	v_cmp_eq_f32_e32 vcc_lo, v9, v10
	v_cmp_lt_i32_e64 s2, v11, v8
	v_cmp_lt_f32_e64 s3, v9, v10
	s_delay_alu instid0(VALU_DEP_2)
	s_and_b32 s2, vcc_lo, s2
	s_delay_alu instid0(VALU_DEP_1) | instid1(SALU_CYCLE_1)
	s_or_b32 vcc_lo, s3, s2
	v_dual_cndmask_b32 v9, v9, v10 :: v_dual_cndmask_b32 v8, v8, v11
	s_delay_alu instid0(VALU_DEP_1) | instskip(NEXT) | instid1(VALU_DEP_2)
	v_mov_b32_dpp v10, v9 row_half_mirror row_mask:0xf bank_mask:0xf
	v_mov_b32_dpp v11, v8 row_half_mirror row_mask:0xf bank_mask:0xf
	s_delay_alu instid0(VALU_DEP_2) | instskip(NEXT) | instid1(VALU_DEP_2)
	v_cmp_eq_f32_e32 vcc_lo, v9, v10
	v_cmp_lt_i32_e64 s2, v11, v8
	v_cmp_lt_f32_e64 s3, v9, v10
	s_delay_alu instid0(VALU_DEP_2)
	s_and_b32 s2, vcc_lo, s2
	s_delay_alu instid0(VALU_DEP_1) | instid1(SALU_CYCLE_1)
	s_or_b32 vcc_lo, s3, s2
	v_dual_cndmask_b32 v9, v9, v10 :: v_dual_cndmask_b32 v8, v8, v11
	s_delay_alu instid0(VALU_DEP_1) | instskip(NEXT) | instid1(VALU_DEP_2)
	v_mov_b32_dpp v11, v9 row_mirror row_mask:0xf bank_mask:0xf
	v_mov_b32_dpp v10, v8 row_mirror row_mask:0xf bank_mask:0xf
	s_delay_alu instid0(VALU_DEP_2) | instskip(NEXT) | instid1(VALU_DEP_2)
	v_cmp_eq_f32_e32 vcc_lo, v9, v11
	v_cmp_lt_i32_e64 s2, v10, v8
	v_cmp_lt_f32_e64 s3, v9, v11
	s_delay_alu instid0(VALU_DEP_2) | instskip(SKIP_1) | instid1(VALU_DEP_2)
	s_and_b32 s2, vcc_lo, s2
	v_cmp_eq_u32_e32 vcc_lo, 0, v16
	s_or_b32 s2, s3, s2
	s_waitcnt lgkmcnt(0)
	s_cmp_gt_i32 s4, 0
	v_cndmask_b32_e64 v17, v9, v11, s2
	s_cselect_b32 s3, -1, 0
	s_cmp_lt_i32 s4, 1
	s_cbranch_scc1 .LBB72_16
; %bb.5:
	s_load_b128 s[8:11], s[0:1], 0x20
	v_mul_lo_u32 v9, v15, s7
	v_mul_lo_u32 v11, v15, s14
	;; [unrolled: 1-line block ×3, first 2 shown]
	v_cndmask_b32_e64 v8, v8, v10, s2
	v_mov_b32_e32 v14, 0
	s_and_saveexec_b32 s2, vcc_lo
	s_cbranch_execz .LBB72_7
; %bb.6:
	v_sub_f32_e32 v34, v17, v17
	v_cmp_le_i32_e64 s0, s5, v8
	v_cmp_gt_i32_e64 s1, s6, v8
	v_subrev_nc_u32_e32 v35, s5, v8
	v_ashrrev_i32_e32 v14, 31, v13
	v_mul_f32_e32 v10, 0x3fb8aa3b, v34
	s_delay_alu instid0(VALU_DEP_4) | instskip(NEXT) | instid1(SALU_CYCLE_1)
	s_and_b32 s0, s0, s1
	s_and_b32 s0, s17, s0
	s_delay_alu instid0(VALU_DEP_1) | instskip(SKIP_2) | instid1(VALU_DEP_3)
	v_rndne_f32_e32 v30, v10
	v_fma_f32 v12, 0x3fb8aa3b, v34, -v10
	v_lshlrev_b64 v[32:33], 2, v[13:14]
	v_sub_f32_e32 v10, v10, v30
	s_delay_alu instid0(VALU_DEP_3) | instskip(NEXT) | instid1(VALU_DEP_1)
	v_fmamk_f32 v12, v34, 0x32a5705f, v12
	v_add_f32_e32 v12, v10, v12
	v_ashrrev_i32_e32 v10, 31, v9
	s_delay_alu instid0(VALU_DEP_2) | instskip(NEXT) | instid1(VALU_DEP_1)
	v_exp_f32_e32 v36, v12
	v_lshlrev_b64 v[28:29], 2, v[9:10]
	v_ashrrev_i32_e32 v12, 31, v11
	v_cvt_i32_f32_e32 v10, v30
	s_delay_alu instid0(VALU_DEP_2) | instskip(SKIP_2) | instid1(VALU_DEP_1)
	v_lshlrev_b64 v[30:31], 2, v[11:12]
	v_cndmask_b32_e64 v12, 0x80, v35, s0
	v_add_co_u32 v28, s0, s12, v28
	v_add_co_ci_u32_e64 v29, s0, s13, v29, s0
	s_delay_alu instid0(TRANS32_DEP_1) | instskip(SKIP_1) | instid1(VALU_DEP_1)
	v_ldexp_f32 v10, v36, v10
	v_cmp_ngt_f32_e64 s0, 0xc2ce8ed0, v34
	v_cndmask_b32_e64 v10, 0, v10, s0
	s_waitcnt lgkmcnt(0)
	v_add_co_u32 v30, s0, s8, v30
	s_delay_alu instid0(VALU_DEP_1) | instskip(SKIP_1) | instid1(VALU_DEP_1)
	v_add_co_ci_u32_e64 v31, s0, s9, v31, s0
	v_cmp_nlt_f32_e64 s0, 0x42b17218, v34
	v_cndmask_b32_e64 v14, 0x7f800000, v10, s0
	v_add_co_u32 v32, s0, s10, v32
	s_delay_alu instid0(VALU_DEP_1)
	v_add_co_ci_u32_e64 v33, s0, s11, v33, s0
	global_store_b32 v[30:31], v12, off
	global_store_b32 v[28:29], v14, off
	;; [unrolled: 1-line block ×3, first 2 shown]
.LBB72_7:
	s_or_b32 exec_lo, exec_lo, s2
	v_ashrrev_i32_e32 v12, 31, v8
	s_mov_b32 s1, exec_lo
	s_delay_alu instid0(VALU_DEP_1) | instskip(NEXT) | instid1(VALU_DEP_1)
	v_lshrrev_b32_e32 v10, 29, v12
	v_add_nc_u32_e32 v10, v8, v10
	s_delay_alu instid0(VALU_DEP_1) | instskip(NEXT) | instid1(VALU_DEP_1)
	v_ashrrev_i32_e32 v10, 3, v10
	v_lshrrev_b32_e32 v28, 28, v10
	s_delay_alu instid0(VALU_DEP_1) | instskip(NEXT) | instid1(VALU_DEP_1)
	v_add_nc_u32_e32 v28, v10, v28
	v_and_b32_e32 v28, -16, v28
	s_delay_alu instid0(VALU_DEP_1) | instskip(NEXT) | instid1(VALU_DEP_1)
	v_sub_nc_u32_e32 v28, v10, v28
	v_cmpx_eq_u32_e64 v16, v28
	s_cbranch_execz .LBB72_9
; %bb.8:
	v_lshrrev_b32_e32 v12, 25, v12
	v_lshlrev_b32_e32 v10, 3, v10
	s_delay_alu instid0(VALU_DEP_2) | instskip(NEXT) | instid1(VALU_DEP_2)
	v_add_nc_u32_e32 v12, v8, v12
	v_sub_nc_u32_e32 v8, v8, v10
	s_delay_alu instid0(VALU_DEP_2) | instskip(NEXT) | instid1(VALU_DEP_1)
	v_ashrrev_i32_e32 v10, 7, v12
	v_lshl_add_u32 v8, v10, 3, v8
	s_delay_alu instid0(VALU_DEP_1) | instskip(NEXT) | instid1(VALU_DEP_1)
	v_cmp_ne_u32_e64 s0, 7, v8
	v_cndmask_b32_e64 v3, 0xff800000, v3, s0
	v_cmp_ne_u32_e64 s0, 6, v8
	s_delay_alu instid0(VALU_DEP_1) | instskip(SKIP_1) | instid1(VALU_DEP_1)
	v_cndmask_b32_e64 v2, 0xff800000, v2, s0
	v_cmp_ne_u32_e64 s0, 5, v8
	v_cndmask_b32_e64 v1, 0xff800000, v1, s0
	v_cmp_ne_u32_e64 s0, 4, v8
	s_delay_alu instid0(VALU_DEP_1) | instskip(SKIP_1) | instid1(VALU_DEP_1)
	v_cndmask_b32_e64 v0, 0xff800000, v0, s0
	;; [unrolled: 5-line block ×3, first 2 shown]
	v_cmp_ne_u32_e64 s0, 1, v8
	v_cndmask_b32_e64 v5, 0xff800000, v5, s0
	v_cmp_ne_u32_e64 s0, 0, v8
	s_delay_alu instid0(VALU_DEP_1)
	v_cndmask_b32_e64 v4, 0xff800000, v4, s0
.LBB72_9:
	s_or_b32 exec_lo, exec_lo, s1
	s_cmp_eq_u32 s4, 1
	s_cbranch_scc1 .LBB72_16
; %bb.10:
	s_add_i32 s18, s18, s16
	v_add_nc_u32_e32 v8, 1, v13
	v_add3_u32 v26, s18, v27, v26
	v_add_nc_u32_e32 v10, 1, v11
	v_add_nc_u32_e32 v12, 1, v9
	s_add_i32 s14, s4, -1
	s_branch .LBB72_12
.LBB72_11:                              ;   in Loop: Header=BB72_12 Depth=1
	s_or_b32 exec_lo, exec_lo, s1
	v_add_nc_u32_e32 v26, s16, v26
	v_add_nc_u32_e32 v8, 1, v8
	;; [unrolled: 1-line block ×4, first 2 shown]
	s_add_i32 s14, s14, -1
	s_delay_alu instid0(SALU_CYCLE_1)
	s_cmp_eq_u32 s14, 0
	s_cbranch_scc1 .LBB72_16
.LBB72_12:                              ; =>This Inner Loop Header: Depth=1
	v_cmp_gt_f32_e64 s0, v5, v4
	s_delay_alu instid0(VALU_DEP_1) | instskip(SKIP_1) | instid1(VALU_DEP_2)
	v_cndmask_b32_e64 v11, v4, v5, s0
	v_cndmask_b32_e64 v9, v18, v19, s0
	v_cmp_gt_f32_e64 s0, v6, v11
	s_delay_alu instid0(VALU_DEP_1) | instskip(NEXT) | instid1(VALU_DEP_3)
	v_cndmask_b32_e64 v11, v11, v6, s0
	v_cndmask_b32_e64 v9, v9, v20, s0
	s_delay_alu instid0(VALU_DEP_2) | instskip(NEXT) | instid1(VALU_DEP_1)
	v_cmp_gt_f32_e64 s0, v7, v11
	v_cndmask_b32_e64 v11, v11, v7, s0
	s_delay_alu instid0(VALU_DEP_3) | instskip(NEXT) | instid1(VALU_DEP_2)
	v_cndmask_b32_e64 v9, v9, v21, s0
	v_cmp_gt_f32_e64 s0, v0, v11
	s_delay_alu instid0(VALU_DEP_1) | instskip(NEXT) | instid1(VALU_DEP_3)
	v_cndmask_b32_e64 v11, v11, v0, s0
	v_cndmask_b32_e64 v9, v9, v22, s0
	s_delay_alu instid0(VALU_DEP_2) | instskip(NEXT) | instid1(VALU_DEP_1)
	v_cmp_gt_f32_e64 s0, v1, v11
	v_cndmask_b32_e64 v11, v11, v1, s0
	s_delay_alu instid0(VALU_DEP_3) | instskip(NEXT) | instid1(VALU_DEP_2)
	v_cndmask_b32_e64 v9, v9, v23, s0
	v_cmp_gt_f32_e64 s0, v2, v11
	s_delay_alu instid0(VALU_DEP_1) | instskip(NEXT) | instid1(VALU_DEP_3)
	v_cndmask_b32_e64 v11, v11, v2, s0
	v_cndmask_b32_e64 v9, v9, v24, s0
	s_delay_alu instid0(VALU_DEP_2) | instskip(NEXT) | instid1(VALU_DEP_1)
	v_cmp_gt_f32_e64 s0, v3, v11
	v_cndmask_b32_e64 v9, v9, v25, s0
	v_cndmask_b32_e64 v11, v11, v3, s0
	s_delay_alu instid0(VALU_DEP_2) | instskip(NEXT) | instid1(VALU_DEP_2)
	v_mov_b32_dpp v13, v9 quad_perm:[1,0,3,2] row_mask:0xf bank_mask:0xf
	v_mov_b32_dpp v27, v11 quad_perm:[1,0,3,2] row_mask:0xf bank_mask:0xf
	s_delay_alu instid0(VALU_DEP_2) | instskip(NEXT) | instid1(VALU_DEP_2)
	v_cmp_lt_i32_e64 s0, v13, v9
	v_cmp_eq_f32_e64 s1, v11, v27
	v_cmp_lt_f32_e64 s2, v11, v27
	s_delay_alu instid0(VALU_DEP_2)
	s_and_b32 s0, s1, s0
	s_delay_alu instid0(VALU_DEP_1) | instid1(SALU_CYCLE_1)
	s_or_b32 s0, s2, s0
	s_delay_alu instid0(SALU_CYCLE_1) | instskip(SKIP_1) | instid1(VALU_DEP_2)
	v_cndmask_b32_e64 v11, v11, v27, s0
	v_cndmask_b32_e64 v9, v9, v13, s0
	v_mov_b32_dpp v13, v11 quad_perm:[2,3,0,1] row_mask:0xf bank_mask:0xf
	s_delay_alu instid0(VALU_DEP_2) | instskip(NEXT) | instid1(VALU_DEP_2)
	v_mov_b32_dpp v27, v9 quad_perm:[2,3,0,1] row_mask:0xf bank_mask:0xf
	v_cmp_eq_f32_e64 s0, v11, v13
	s_delay_alu instid0(VALU_DEP_2) | instskip(SKIP_1) | instid1(VALU_DEP_2)
	v_cmp_lt_i32_e64 s1, v27, v9
	v_cmp_lt_f32_e64 s2, v11, v13
	s_and_b32 s0, s0, s1
	s_delay_alu instid0(VALU_DEP_1) | instid1(SALU_CYCLE_1)
	s_or_b32 s0, s2, s0
	s_delay_alu instid0(SALU_CYCLE_1) | instskip(SKIP_1) | instid1(VALU_DEP_2)
	v_cndmask_b32_e64 v11, v11, v13, s0
	v_cndmask_b32_e64 v13, v9, v27, s0
	v_mov_b32_dpp v9, v11 row_half_mirror row_mask:0xf bank_mask:0xf
	s_delay_alu instid0(VALU_DEP_2) | instskip(NEXT) | instid1(VALU_DEP_2)
	v_mov_b32_dpp v27, v13 row_half_mirror row_mask:0xf bank_mask:0xf
	v_cmp_eq_f32_e64 s0, v11, v9
	s_delay_alu instid0(VALU_DEP_2) | instskip(SKIP_1) | instid1(VALU_DEP_2)
	v_cmp_lt_i32_e64 s1, v27, v13
	v_cmp_lt_f32_e64 s2, v11, v9
	s_and_b32 s0, s0, s1
	s_delay_alu instid0(VALU_DEP_1) | instid1(SALU_CYCLE_1)
	s_or_b32 s0, s2, s0
	s_delay_alu instid0(SALU_CYCLE_1) | instskip(SKIP_1) | instid1(VALU_DEP_2)
	v_cndmask_b32_e64 v9, v11, v9, s0
	v_cndmask_b32_e64 v13, v13, v27, s0
	v_mov_b32_dpp v11, v9 row_mirror row_mask:0xf bank_mask:0xf
	s_delay_alu instid0(VALU_DEP_2) | instskip(NEXT) | instid1(VALU_DEP_2)
	v_mov_b32_dpp v27, v13 row_mirror row_mask:0xf bank_mask:0xf
	v_cmp_eq_f32_e64 s0, v9, v11
	s_delay_alu instid0(VALU_DEP_2) | instskip(SKIP_1) | instid1(VALU_DEP_2)
	v_cmp_lt_i32_e64 s1, v27, v13
	v_cmp_lt_f32_e64 s2, v9, v11
	s_and_b32 s0, s0, s1
	s_delay_alu instid0(VALU_DEP_1) | instid1(SALU_CYCLE_1)
	s_or_b32 s0, s2, s0
	s_delay_alu instid0(SALU_CYCLE_1)
	v_cndmask_b32_e64 v27, v13, v27, s0
	s_and_saveexec_b32 s2, vcc_lo
	s_cbranch_execz .LBB72_14
; %bb.13:                               ;   in Loop: Header=BB72_12 Depth=1
	v_cndmask_b32_e64 v9, v9, v11, s0
	s_delay_alu instid0(VALU_DEP_2) | instskip(SKIP_4) | instid1(VALU_DEP_4)
	v_cmp_le_i32_e64 s0, s5, v27
	v_cmp_gt_i32_e64 s1, s6, v27
	v_ashrrev_i32_e32 v13, 31, v12
	v_subrev_nc_u32_e32 v35, s5, v27
	v_sub_f32_e32 v34, v9, v17
	s_and_b32 s0, s0, s1
	s_delay_alu instid0(SALU_CYCLE_1) | instskip(NEXT) | instid1(VALU_DEP_1)
	s_and_b32 s0, s17, s0
	v_mul_f32_e32 v9, 0x3fb8aa3b, v34
	s_delay_alu instid0(VALU_DEP_1) | instskip(SKIP_1) | instid1(VALU_DEP_2)
	v_fma_f32 v11, 0x3fb8aa3b, v34, -v9
	v_rndne_f32_e32 v28, v9
	v_fmac_f32_e32 v11, 0x32a5705f, v34
	s_delay_alu instid0(VALU_DEP_2) | instskip(SKIP_2) | instid1(VALU_DEP_3)
	v_sub_f32_e32 v9, v9, v28
	v_cvt_i32_f32_e32 v33, v28
	v_lshlrev_b64 v[28:29], 2, v[12:13]
	v_add_f32_e32 v9, v9, v11
	v_ashrrev_i32_e32 v11, 31, v10
	s_delay_alu instid0(VALU_DEP_2) | instskip(SKIP_1) | instid1(VALU_DEP_2)
	v_exp_f32_e32 v32, v9
	v_ashrrev_i32_e32 v9, 31, v8
	v_lshlrev_b64 v[30:31], 2, v[10:11]
	s_waitcnt_depctr 0xfff
	v_ldexp_f32 v11, v32, v33
	v_lshlrev_b64 v[32:33], 2, v[8:9]
	v_cndmask_b32_e64 v9, 0x80, v35, s0
	v_cmp_ngt_f32_e64 s0, 0xc2ce8ed0, v34
	s_delay_alu instid0(VALU_DEP_1) | instskip(SKIP_1) | instid1(VALU_DEP_1)
	v_cndmask_b32_e64 v11, 0, v11, s0
	v_add_co_u32 v28, s0, s12, v28
	v_add_co_ci_u32_e64 v29, s0, s13, v29, s0
	v_cmp_nlt_f32_e64 s0, 0x42b17218, v34
	s_delay_alu instid0(VALU_DEP_1) | instskip(SKIP_2) | instid1(VALU_DEP_1)
	v_cndmask_b32_e64 v11, 0x7f800000, v11, s0
	s_waitcnt lgkmcnt(0)
	v_add_co_u32 v30, s0, s8, v30
	v_add_co_ci_u32_e64 v31, s0, s9, v31, s0
	s_delay_alu instid0(VALU_DEP_3) | instskip(SKIP_1) | instid1(VALU_DEP_1)
	v_add_f32_e32 v14, v14, v11
	v_add_co_u32 v32, s0, s10, v32
	v_add_co_ci_u32_e64 v33, s0, s11, v33, s0
	global_store_b32 v[28:29], v11, off
	global_store_b32 v[30:31], v9, off
	;; [unrolled: 1-line block ×3, first 2 shown]
.LBB72_14:                              ;   in Loop: Header=BB72_12 Depth=1
	s_or_b32 exec_lo, exec_lo, s2
	s_delay_alu instid0(VALU_DEP_1) | instskip(SKIP_1) | instid1(VALU_DEP_1)
	v_ashrrev_i32_e32 v11, 31, v27
	s_mov_b32 s1, exec_lo
	v_lshrrev_b32_e32 v9, 29, v11
	s_delay_alu instid0(VALU_DEP_1) | instskip(NEXT) | instid1(VALU_DEP_1)
	v_add_nc_u32_e32 v9, v27, v9
	v_ashrrev_i32_e32 v9, 3, v9
	s_delay_alu instid0(VALU_DEP_1) | instskip(NEXT) | instid1(VALU_DEP_1)
	v_lshrrev_b32_e32 v13, 28, v9
	v_add_nc_u32_e32 v13, v9, v13
	s_delay_alu instid0(VALU_DEP_1) | instskip(NEXT) | instid1(VALU_DEP_1)
	v_and_b32_e32 v13, -16, v13
	v_sub_nc_u32_e32 v13, v9, v13
	s_delay_alu instid0(VALU_DEP_1)
	v_cmpx_eq_u32_e64 v16, v13
	s_cbranch_execz .LBB72_11
; %bb.15:                               ;   in Loop: Header=BB72_12 Depth=1
	v_lshrrev_b32_e32 v11, 25, v11
	v_lshlrev_b32_e32 v9, 3, v9
	s_delay_alu instid0(VALU_DEP_2) | instskip(NEXT) | instid1(VALU_DEP_2)
	v_add_nc_u32_e32 v11, v27, v11
	v_sub_nc_u32_e32 v9, v27, v9
	s_delay_alu instid0(VALU_DEP_2) | instskip(NEXT) | instid1(VALU_DEP_1)
	v_ashrrev_i32_e32 v11, 7, v11
	v_lshl_add_u32 v9, v11, 3, v9
	s_delay_alu instid0(VALU_DEP_1) | instskip(NEXT) | instid1(VALU_DEP_1)
	v_cmp_ne_u32_e64 s0, 7, v9
	v_cndmask_b32_e64 v3, 0xff800000, v3, s0
	v_cmp_ne_u32_e64 s0, 6, v9
	s_delay_alu instid0(VALU_DEP_1) | instskip(SKIP_1) | instid1(VALU_DEP_1)
	v_cndmask_b32_e64 v2, 0xff800000, v2, s0
	v_cmp_ne_u32_e64 s0, 5, v9
	v_cndmask_b32_e64 v1, 0xff800000, v1, s0
	v_cmp_ne_u32_e64 s0, 4, v9
	s_delay_alu instid0(VALU_DEP_1) | instskip(SKIP_1) | instid1(VALU_DEP_1)
	v_cndmask_b32_e64 v0, 0xff800000, v0, s0
	;; [unrolled: 5-line block ×3, first 2 shown]
	v_cmp_ne_u32_e64 s0, 1, v9
	v_cndmask_b32_e64 v5, 0xff800000, v5, s0
	v_cmp_ne_u32_e64 s0, 0, v9
	s_delay_alu instid0(VALU_DEP_1)
	v_cndmask_b32_e64 v4, 0xff800000, v4, s0
	s_branch .LBB72_11
.LBB72_16:
	s_delay_alu instid0(VALU_DEP_1)
	v_sub_f32_e32 v7, v7, v17
	v_sub_f32_e32 v4, v4, v17
	;; [unrolled: 1-line block ×5, first 2 shown]
	v_mul_f32_e32 v11, 0x3fb8aa3b, v7
	v_dual_sub_f32 v5, v5, v17 :: v_dual_mul_f32 v8, 0x3fb8aa3b, v4
	v_cmp_ngt_f32_e32 vcc_lo, 0xc2ce8ed0, v4
	v_sub_f32_e32 v3, v3, v17
	s_delay_alu instid0(VALU_DEP_4) | instskip(NEXT) | instid1(VALU_DEP_4)
	v_rndne_f32_e32 v23, v11
	v_fma_f32 v12, 0x3fb8aa3b, v4, -v8
	v_rndne_f32_e32 v13, v8
	s_delay_alu instid0(VALU_DEP_2) | instskip(NEXT) | instid1(VALU_DEP_2)
	v_fmac_f32_e32 v12, 0x32a5705f, v4
	v_sub_f32_e32 v8, v8, v13
	s_delay_alu instid0(VALU_DEP_1) | instskip(NEXT) | instid1(VALU_DEP_1)
	v_dual_mul_f32 v9, 0x3fb8aa3b, v5 :: v_dual_add_f32 v8, v8, v12
	v_rndne_f32_e32 v19, v9
	v_sub_f32_e32 v6, v6, v17
	v_fma_f32 v18, 0x3fb8aa3b, v5, -v9
	v_cvt_i32_f32_e32 v12, v13
	v_exp_f32_e32 v8, v8
	s_delay_alu instid0(VALU_DEP_3) | instskip(SKIP_3) | instid1(VALU_DEP_4)
	v_dual_sub_f32 v9, v9, v19 :: v_dual_mul_f32 v10, 0x3fb8aa3b, v6
	v_fma_f32 v22, 0x3fb8aa3b, v7, -v11
	v_sub_f32_e32 v11, v11, v23
	v_cvt_i32_f32_e32 v13, v19
	v_fma_f32 v20, 0x3fb8aa3b, v6, -v10
	s_delay_alu instid0(VALU_DEP_4) | instskip(SKIP_1) | instid1(TRANS32_DEP_1)
	v_fmac_f32_e32 v22, 0x32a5705f, v7
	v_fmac_f32_e32 v18, 0x32a5705f, v5
	v_ldexp_f32 v8, v8, v12
	v_rndne_f32_e32 v21, v10
	s_delay_alu instid0(VALU_DEP_4) | instskip(NEXT) | instid1(VALU_DEP_3)
	v_add_f32_e32 v11, v11, v22
	v_dual_add_f32 v9, v9, v18 :: v_dual_cndmask_b32 v8, 0, v8
	v_cmp_ngt_f32_e32 vcc_lo, 0xc2ce8ed0, v5
	s_delay_alu instid0(VALU_DEP_4) | instskip(SKIP_1) | instid1(VALU_DEP_4)
	v_sub_f32_e32 v10, v10, v21
	v_cvt_i32_f32_e32 v12, v21
	v_exp_f32_e32 v9, v9
	v_exp_f32_e32 v11, v11
	s_waitcnt_depctr 0xfff
	v_ldexp_f32 v9, v9, v13
	v_fmac_f32_e32 v20, 0x32a5705f, v6
	v_mul_f32_e32 v13, 0x3fb8aa3b, v3
	s_delay_alu instid0(VALU_DEP_3) | instskip(SKIP_1) | instid1(VALU_DEP_3)
	v_cndmask_b32_e32 v9, 0, v9, vcc_lo
	v_cmp_nlt_f32_e32 vcc_lo, 0x42b17218, v4
	v_rndne_f32_e32 v17, v13
	v_cndmask_b32_e32 v4, 0x7f800000, v8, vcc_lo
	v_cmp_nlt_f32_e32 vcc_lo, 0x42b17218, v5
	v_dual_add_f32 v10, v10, v20 :: v_dual_cndmask_b32 v5, 0x7f800000, v9
	s_delay_alu instid0(VALU_DEP_1) | instskip(SKIP_2) | instid1(VALU_DEP_3)
	v_exp_f32_e32 v10, v10
	v_cmp_ngt_f32_e32 vcc_lo, 0xc2ce8ed0, v6
	v_cvt_i32_f32_e32 v9, v23
	v_add_f32_e32 v4, v4, v5
	s_waitcnt_depctr 0xfff
	v_ldexp_f32 v10, v10, v12
	s_delay_alu instid0(VALU_DEP_1) | instskip(SKIP_2) | instid1(VALU_DEP_3)
	v_cndmask_b32_e32 v8, 0, v10, vcc_lo
	v_cmp_nlt_f32_e32 vcc_lo, 0x42b17218, v6
	v_mul_f32_e32 v10, 0x3fb8aa3b, v2
	v_cndmask_b32_e32 v5, 0x7f800000, v8, vcc_lo
	v_ldexp_f32 v8, v11, v9
	v_cmp_ngt_f32_e32 vcc_lo, 0xc2ce8ed0, v7
	s_delay_alu instid0(VALU_DEP_4)
	v_fma_f32 v11, 0x3fb8aa3b, v2, -v10
	v_rndne_f32_e32 v12, v10
	v_add_f32_e32 v4, v4, v5
	v_cndmask_b32_e32 v8, 0, v8, vcc_lo
	v_cmp_nlt_f32_e32 vcc_lo, 0x42b17218, v7
	v_fmac_f32_e32 v11, 0x32a5705f, v2
	s_delay_alu instid0(VALU_DEP_3) | instskip(SKIP_3) | instid1(VALU_DEP_4)
	v_cndmask_b32_e32 v7, 0x7f800000, v8, vcc_lo
	v_mul_f32_e32 v6, 0x3fb8aa3b, v0
	v_mul_f32_e32 v8, 0x3fb8aa3b, v1
	v_cmp_ngt_f32_e32 vcc_lo, 0xc2ce8ed0, v0
	v_add_f32_e32 v4, v4, v7
	s_delay_alu instid0(VALU_DEP_4) | instskip(SKIP_2) | instid1(VALU_DEP_2)
	v_fma_f32 v5, 0x3fb8aa3b, v0, -v6
	v_rndne_f32_e32 v9, v6
	v_rndne_f32_e32 v7, v8
	v_dual_fmac_f32 v5, 0x32a5705f, v0 :: v_dual_sub_f32 v6, v6, v9
	v_cvt_i32_f32_e32 v9, v9
	s_delay_alu instid0(VALU_DEP_2) | instskip(SKIP_3) | instid1(VALU_DEP_4)
	v_add_f32_e32 v5, v6, v5
	v_fma_f32 v6, 0x3fb8aa3b, v1, -v8
	v_sub_f32_e32 v8, v8, v7
	v_cvt_i32_f32_e32 v7, v7
	v_exp_f32_e32 v5, v5
	s_delay_alu instid0(VALU_DEP_3) | instskip(NEXT) | instid1(VALU_DEP_1)
	v_fmac_f32_e32 v6, 0x32a5705f, v1
	v_add_f32_e32 v6, v8, v6
	v_sub_f32_e32 v8, v10, v12
	v_fma_f32 v10, 0x3fb8aa3b, v3, -v13
	s_waitcnt_depctr 0xfff
	v_ldexp_f32 v5, v5, v9
	v_exp_f32_e32 v6, v6
	v_add_f32_e32 v8, v8, v11
	v_dual_fmac_f32 v10, 0x32a5705f, v3 :: v_dual_sub_f32 v9, v13, v17
	s_delay_alu instid0(VALU_DEP_3) | instskip(SKIP_1) | instid1(VALU_DEP_4)
	v_cndmask_b32_e32 v5, 0, v5, vcc_lo
	v_cmp_nlt_f32_e32 vcc_lo, 0x42b17218, v0
	v_exp_f32_e32 v8, v8
	s_delay_alu instid0(VALU_DEP_3) | instskip(NEXT) | instid1(TRANS32_DEP_2)
	v_add_f32_e32 v9, v9, v10
	v_ldexp_f32 v6, v6, v7
	v_cndmask_b32_e32 v0, 0x7f800000, v5, vcc_lo
	v_cmp_ngt_f32_e32 vcc_lo, 0xc2ce8ed0, v1
	v_cvt_i32_f32_e32 v5, v12
	v_exp_f32_e32 v7, v9
	s_delay_alu instid0(VALU_DEP_3) | instskip(SKIP_4) | instid1(VALU_DEP_4)
	v_add_f32_e32 v0, v4, v0
	v_cndmask_b32_e32 v6, 0, v6, vcc_lo
	v_cmp_nlt_f32_e32 vcc_lo, 0x42b17218, v1
	v_ldexp_f32 v4, v8, v5
	v_cvt_i32_f32_e32 v5, v17
	v_cndmask_b32_e32 v1, 0x7f800000, v6, vcc_lo
	v_cmp_ngt_f32_e32 vcc_lo, 0xc2ce8ed0, v2
	s_delay_alu instid0(TRANS32_DEP_1) | instid1(VALU_DEP_3)
	v_ldexp_f32 v5, v7, v5
	s_delay_alu instid0(VALU_DEP_3) | instskip(SKIP_2) | instid1(VALU_DEP_2)
	v_add_f32_e32 v0, v0, v1
	v_cndmask_b32_e32 v4, 0, v4, vcc_lo
	v_cmp_nlt_f32_e32 vcc_lo, 0x42b17218, v2
	v_cndmask_b32_e32 v1, 0x7f800000, v4, vcc_lo
	v_cmp_ngt_f32_e32 vcc_lo, 0xc2ce8ed0, v3
	s_delay_alu instid0(VALU_DEP_2) | instskip(SKIP_2) | instid1(VALU_DEP_2)
	v_add_f32_e32 v0, v0, v1
	v_cndmask_b32_e32 v2, 0, v5, vcc_lo
	v_cmp_nlt_f32_e32 vcc_lo, 0x42b17218, v3
	v_cndmask_b32_e32 v1, 0x7f800000, v2, vcc_lo
	v_cmp_eq_u32_e32 vcc_lo, 0, v16
	s_delay_alu instid0(VALU_DEP_2) | instskip(NEXT) | instid1(VALU_DEP_1)
	v_add_f32_e32 v0, v0, v1
	v_mov_b32_dpp v1, v0 quad_perm:[1,0,3,2] row_mask:0xf bank_mask:0xf
	s_delay_alu instid0(VALU_DEP_1) | instskip(NEXT) | instid1(VALU_DEP_1)
	v_add_f32_e32 v0, v0, v1
	v_mov_b32_dpp v1, v0 quad_perm:[2,3,0,1] row_mask:0xf bank_mask:0xf
	s_delay_alu instid0(VALU_DEP_1) | instskip(NEXT) | instid1(VALU_DEP_1)
	v_add_f32_e32 v0, v0, v1
	v_mov_b32_dpp v1, v0 row_half_mirror row_mask:0xf bank_mask:0xf
	s_delay_alu instid0(VALU_DEP_1) | instskip(NEXT) | instid1(VALU_DEP_1)
	v_add_f32_e32 v0, v0, v1
	v_mov_b32_dpp v1, v0 row_mirror row_mask:0xf bank_mask:0xf
	s_and_b32 exec_lo, exec_lo, vcc_lo
	s_cbranch_execz .LBB72_21
; %bb.17:
	s_delay_alu instid0(VALU_DEP_1) | instskip(NEXT) | instid1(VALU_DEP_1)
	v_add_f32_e32 v0, v0, v1
	v_add_f32_e32 v0, v14, v0
	s_delay_alu instid0(VALU_DEP_1)
	v_cmp_neq_f32_e32 vcc_lo, 0, v0
	s_and_b32 exec_lo, exec_lo, vcc_lo
	s_cbranch_execz .LBB72_21
; %bb.18:
	s_and_not1_b32 vcc_lo, exec_lo, s3
	s_cbranch_vccnz .LBB72_21
; %bb.19:
	v_div_scale_f32 v2, null, v0, v0, 1.0
	v_div_scale_f32 v4, vcc_lo, 1.0, v0, 1.0
	s_delay_alu instid0(VALU_DEP_2) | instskip(SKIP_2) | instid1(VALU_DEP_1)
	v_rcp_f32_e32 v3, v2
	s_waitcnt_depctr 0xfff
	v_fma_f32 v1, -v2, v3, 1.0
	v_fmac_f32_e32 v3, v1, v3
	v_mul_lo_u32 v1, v15, s7
	s_delay_alu instid0(VALU_DEP_2) | instskip(NEXT) | instid1(VALU_DEP_1)
	v_mul_f32_e32 v5, v4, v3
	v_fma_f32 v6, -v2, v5, v4
	s_delay_alu instid0(VALU_DEP_1) | instskip(NEXT) | instid1(VALU_DEP_1)
	v_fmac_f32_e32 v5, v6, v3
	v_fma_f32 v4, -v2, v5, v4
	v_ashrrev_i32_e32 v2, 31, v1
	s_delay_alu instid0(VALU_DEP_2) | instskip(NEXT) | instid1(VALU_DEP_2)
	v_div_fmas_f32 v5, v4, v3, v5
	v_lshlrev_b64 v[3:4], 2, v[1:2]
	s_delay_alu instid0(VALU_DEP_2) | instskip(NEXT) | instid1(VALU_DEP_2)
	v_div_fixup_f32 v2, v5, v0, 1.0
	v_add_co_u32 v0, vcc_lo, s12, v3
	s_delay_alu instid0(VALU_DEP_3)
	v_add_co_ci_u32_e32 v1, vcc_lo, s13, v4, vcc_lo
.LBB72_20:                              ; =>This Inner Loop Header: Depth=1
	global_load_b32 v3, v[0:1], off
	s_add_i32 s4, s4, -1
	s_delay_alu instid0(SALU_CYCLE_1)
	s_cmp_lg_u32 s4, 0
	s_waitcnt vmcnt(0)
	v_mul_f32_e32 v3, v2, v3
	global_store_b32 v[0:1], v3, off
	v_add_co_u32 v0, vcc_lo, v0, 4
	v_add_co_ci_u32_e32 v1, vcc_lo, 0, v1, vcc_lo
	s_cbranch_scc1 .LBB72_20
.LBB72_21:
	s_nop 0
	s_sendmsg sendmsg(MSG_DEALLOC_VGPRS)
	s_endpgm
	.section	.rodata,"a",@progbits
	.p2align	6, 0x0
	.amdhsa_kernel _ZN4vllm3moe17topkGatingSoftmaxIfLi8ELi128ELi8ELi32ELb0ELi0ELNS0_23SharedExpertScoringFuncE0EEEvPKT_PKbPfiPiS9_iiiiii
		.amdhsa_group_segment_fixed_size 0
		.amdhsa_private_segment_fixed_size 0
		.amdhsa_kernarg_size 72
		.amdhsa_user_sgpr_count 15
		.amdhsa_user_sgpr_dispatch_ptr 0
		.amdhsa_user_sgpr_queue_ptr 0
		.amdhsa_user_sgpr_kernarg_segment_ptr 1
		.amdhsa_user_sgpr_dispatch_id 0
		.amdhsa_user_sgpr_private_segment_size 0
		.amdhsa_wavefront_size32 1
		.amdhsa_uses_dynamic_stack 0
		.amdhsa_enable_private_segment 0
		.amdhsa_system_sgpr_workgroup_id_x 1
		.amdhsa_system_sgpr_workgroup_id_y 0
		.amdhsa_system_sgpr_workgroup_id_z 0
		.amdhsa_system_sgpr_workgroup_info 0
		.amdhsa_system_vgpr_workitem_id 1
		.amdhsa_next_free_vgpr 37
		.amdhsa_next_free_sgpr 19
		.amdhsa_reserve_vcc 1
		.amdhsa_float_round_mode_32 0
		.amdhsa_float_round_mode_16_64 0
		.amdhsa_float_denorm_mode_32 3
		.amdhsa_float_denorm_mode_16_64 3
		.amdhsa_dx10_clamp 1
		.amdhsa_ieee_mode 1
		.amdhsa_fp16_overflow 0
		.amdhsa_workgroup_processor_mode 1
		.amdhsa_memory_ordered 1
		.amdhsa_forward_progress 0
		.amdhsa_shared_vgpr_count 0
		.amdhsa_exception_fp_ieee_invalid_op 0
		.amdhsa_exception_fp_denorm_src 0
		.amdhsa_exception_fp_ieee_div_zero 0
		.amdhsa_exception_fp_ieee_overflow 0
		.amdhsa_exception_fp_ieee_underflow 0
		.amdhsa_exception_fp_ieee_inexact 0
		.amdhsa_exception_int_div_zero 0
	.end_amdhsa_kernel
	.section	.text._ZN4vllm3moe17topkGatingSoftmaxIfLi8ELi128ELi8ELi32ELb0ELi0ELNS0_23SharedExpertScoringFuncE0EEEvPKT_PKbPfiPiS9_iiiiii,"axG",@progbits,_ZN4vllm3moe17topkGatingSoftmaxIfLi8ELi128ELi8ELi32ELb0ELi0ELNS0_23SharedExpertScoringFuncE0EEEvPKT_PKbPfiPiS9_iiiiii,comdat
.Lfunc_end72:
	.size	_ZN4vllm3moe17topkGatingSoftmaxIfLi8ELi128ELi8ELi32ELb0ELi0ELNS0_23SharedExpertScoringFuncE0EEEvPKT_PKbPfiPiS9_iiiiii, .Lfunc_end72-_ZN4vllm3moe17topkGatingSoftmaxIfLi8ELi128ELi8ELi32ELb0ELi0ELNS0_23SharedExpertScoringFuncE0EEEvPKT_PKbPfiPiS9_iiiiii
                                        ; -- End function
	.section	.AMDGPU.csdata,"",@progbits
; Kernel info:
; codeLenInByte = 3676
; NumSgprs: 21
; NumVgprs: 37
; ScratchSize: 0
; MemoryBound: 0
; FloatMode: 240
; IeeeMode: 1
; LDSByteSize: 0 bytes/workgroup (compile time only)
; SGPRBlocks: 2
; VGPRBlocks: 4
; NumSGPRsForWavesPerEU: 21
; NumVGPRsForWavesPerEU: 37
; Occupancy: 16
; WaveLimiterHint : 0
; COMPUTE_PGM_RSRC2:SCRATCH_EN: 0
; COMPUTE_PGM_RSRC2:USER_SGPR: 15
; COMPUTE_PGM_RSRC2:TRAP_HANDLER: 0
; COMPUTE_PGM_RSRC2:TGID_X_EN: 1
; COMPUTE_PGM_RSRC2:TGID_Y_EN: 0
; COMPUTE_PGM_RSRC2:TGID_Z_EN: 0
; COMPUTE_PGM_RSRC2:TIDIG_COMP_CNT: 1
	.section	.text._ZN4vllm3moe17topkGatingSoftmaxIfLi8ELi128ELi8ELi32ELb1ELi1ELNS0_23SharedExpertScoringFuncE1EEEvPKT_PKbPfiPiS9_iiiiii,"axG",@progbits,_ZN4vllm3moe17topkGatingSoftmaxIfLi8ELi128ELi8ELi32ELb1ELi1ELNS0_23SharedExpertScoringFuncE1EEEvPKT_PKbPfiPiS9_iiiiii,comdat
	.protected	_ZN4vllm3moe17topkGatingSoftmaxIfLi8ELi128ELi8ELi32ELb1ELi1ELNS0_23SharedExpertScoringFuncE1EEEvPKT_PKbPfiPiS9_iiiiii ; -- Begin function _ZN4vllm3moe17topkGatingSoftmaxIfLi8ELi128ELi8ELi32ELb1ELi1ELNS0_23SharedExpertScoringFuncE1EEEvPKT_PKbPfiPiS9_iiiiii
	.globl	_ZN4vllm3moe17topkGatingSoftmaxIfLi8ELi128ELi8ELi32ELb1ELi1ELNS0_23SharedExpertScoringFuncE1EEEvPKT_PKbPfiPiS9_iiiiii
	.p2align	8
	.type	_ZN4vllm3moe17topkGatingSoftmaxIfLi8ELi128ELi8ELi32ELb1ELi1ELNS0_23SharedExpertScoringFuncE1EEEvPKT_PKbPfiPiS9_iiiiii,@function
_ZN4vllm3moe17topkGatingSoftmaxIfLi8ELi128ELi8ELi32ELb1ELi1ELNS0_23SharedExpertScoringFuncE1EEEvPKT_PKbPfiPiS9_iiiiii: ; @_ZN4vllm3moe17topkGatingSoftmaxIfLi8ELi128ELi8ELi32ELb1ELi1ELNS0_23SharedExpertScoringFuncE1EEEvPKT_PKbPfiPiS9_iiiiii
; %bb.0:
	s_load_b32 s16, s[0:1], 0x18
	v_bfe_u32 v1, v0, 10, 10
	v_and_b32_e32 v0, 0x3ff, v0
	s_lshl_b32 s18, s15, 4
	s_mov_b32 s2, exec_lo
	s_delay_alu instid0(VALU_DEP_2) | instskip(NEXT) | instid1(VALU_DEP_2)
	v_lshlrev_b32_e32 v25, 1, v1
	v_lshrrev_b32_e32 v26, 4, v0
	s_delay_alu instid0(VALU_DEP_1) | instskip(SKIP_1) | instid1(VALU_DEP_1)
	v_add3_u32 v15, s18, v25, v26
	s_waitcnt lgkmcnt(0)
	v_cmpx_gt_i32_e64 s16, v15
	s_cbranch_execz .LBB73_22
; %bb.1:
	s_clause 0x1
	s_load_b128 s[4:7], s[0:1], 0x0
	s_load_b64 s[12:13], s[0:1], 0x10
	s_waitcnt lgkmcnt(0)
	s_cmp_eq_u64 s[6:7], 0
	s_cbranch_scc1 .LBB73_3
; %bb.2:
	v_ashrrev_i32_e32 v2, 31, v15
	v_add_co_u32 v1, vcc_lo, s6, v15
	s_delay_alu instid0(VALU_DEP_2) | instskip(SKIP_3) | instid1(VALU_DEP_1)
	v_add_co_ci_u32_e32 v2, vcc_lo, s7, v2, vcc_lo
	global_load_u8 v1, v[1:2], off
	s_waitcnt vmcnt(0)
	v_and_b32_e32 v1, 1, v1
	v_cmp_eq_u32_e32 vcc_lo, 1, v1
	s_xor_b32 s2, vcc_lo, -1
	s_delay_alu instid0(SALU_CYCLE_1)
	s_or_not1_b32 s17, s2, exec_lo
	s_branch .LBB73_4
.LBB73_3:
	s_mov_b32 s17, -1
.LBB73_4:
	s_clause 0x1
	s_load_b64 s[14:15], s[0:1], 0x40
	s_load_b128 s[8:11], s[0:1], 0x30
	v_and_b32_e32 v16, 15, v0
	s_delay_alu instid0(VALU_DEP_1) | instskip(SKIP_3) | instid1(VALU_DEP_1)
	v_dual_mov_b32 v14, 0 :: v_dual_lshlrev_b32 v17, 3, v16
	v_cmp_eq_u32_e64 s2, 0, v16
	s_waitcnt lgkmcnt(0)
	v_mul_lo_u32 v1, v15, s15
	v_ashrrev_i32_e32 v2, 31, v1
	s_delay_alu instid0(VALU_DEP_1) | instskip(SKIP_1) | instid1(VALU_DEP_2)
	v_lshlrev_b64 v[0:1], 2, v[1:2]
	v_lshlrev_b32_e32 v2, 5, v16
	v_add_co_u32 v8, vcc_lo, s4, v0
	s_delay_alu instid0(VALU_DEP_3) | instskip(NEXT) | instid1(VALU_DEP_2)
	v_add_co_ci_u32_e32 v9, vcc_lo, s5, v1, vcc_lo
	v_add_co_u32 v4, vcc_lo, v8, v2
	s_delay_alu instid0(VALU_DEP_2)
	v_add_co_ci_u32_e32 v5, vcc_lo, 0, v9, vcc_lo
	s_clause 0x1
	global_load_b128 v[0:3], v[4:5], off offset:16
	global_load_b128 v[4:7], v[4:5], off
	s_and_saveexec_b32 s3, s2
	s_cbranch_execz .LBB73_6
; %bb.5:
	global_load_b32 v8, v[8:9], off offset:512
	s_waitcnt vmcnt(0)
	v_mul_f32_e32 v9, 0xbfb8aa3b, v8
	v_cmp_nlt_f32_e32 vcc_lo, 0x42ce8ed0, v8
	s_delay_alu instid0(VALU_DEP_2) | instskip(SKIP_1) | instid1(VALU_DEP_2)
	v_rndne_f32_e32 v10, v9
	v_fma_f32 v11, 0xbfb8aa3b, v8, -v9
	v_sub_f32_e32 v9, v9, v10
	s_delay_alu instid0(VALU_DEP_2) | instskip(SKIP_1) | instid1(VALU_DEP_2)
	v_fmamk_f32 v11, v8, 0xb2a5705f, v11
	v_cvt_i32_f32_e32 v10, v10
	v_add_f32_e32 v9, v9, v11
	s_delay_alu instid0(VALU_DEP_1) | instskip(SKIP_2) | instid1(VALU_DEP_1)
	v_exp_f32_e32 v9, v9
	s_waitcnt_depctr 0xfff
	v_ldexp_f32 v9, v9, v10
	v_cndmask_b32_e32 v9, 0, v9, vcc_lo
	v_cmp_ngt_f32_e32 vcc_lo, 0xc2b17218, v8
	s_delay_alu instid0(VALU_DEP_2) | instskip(NEXT) | instid1(VALU_DEP_1)
	v_cndmask_b32_e32 v8, 0x7f800000, v9, vcc_lo
	v_add_f32_e32 v10, 1.0, v8
	s_delay_alu instid0(VALU_DEP_1) | instskip(SKIP_1) | instid1(VALU_DEP_2)
	v_div_scale_f32 v11, null, v10, v10, 1.0
	v_div_scale_f32 v13, vcc_lo, 1.0, v10, 1.0
	v_rcp_f32_e32 v12, v11
	s_waitcnt_depctr 0xfff
	v_fma_f32 v8, -v11, v12, 1.0
	s_delay_alu instid0(VALU_DEP_1) | instskip(SKIP_1) | instid1(VALU_DEP_2)
	v_fmac_f32_e32 v12, v8, v12
	v_mad_u64_u32 v[8:9], null, v15, s11, s[8:9]
	v_mul_f32_e32 v18, v13, v12
	s_delay_alu instid0(VALU_DEP_2) | instskip(NEXT) | instid1(VALU_DEP_2)
	v_ashrrev_i32_e32 v9, 31, v8
	v_fma_f32 v19, -v11, v18, v13
	s_delay_alu instid0(VALU_DEP_2) | instskip(NEXT) | instid1(VALU_DEP_2)
	v_lshlrev_b64 v[8:9], 2, v[8:9]
	v_fmac_f32_e32 v18, v19, v12
	s_delay_alu instid0(VALU_DEP_1) | instskip(NEXT) | instid1(VALU_DEP_1)
	v_fma_f32 v11, -v11, v18, v13
	v_div_fmas_f32 v11, v11, v12, v18
	s_delay_alu instid0(VALU_DEP_4) | instskip(SKIP_1) | instid1(VALU_DEP_3)
	v_add_co_u32 v8, vcc_lo, s12, v8
	v_add_co_ci_u32_e32 v9, vcc_lo, s13, v9, vcc_lo
	v_div_fixup_f32 v10, v11, v10, 1.0
	global_store_b32 v[8:9], v10, off
.LBB73_6:
	s_or_b32 exec_lo, exec_lo, s3
	v_or_b32_e32 v18, 1, v17
	s_waitcnt vmcnt(0)
	v_cmp_lt_f32_e32 vcc_lo, v4, v5
	v_or_b32_e32 v19, 2, v17
	v_or_b32_e32 v20, 3, v17
	;; [unrolled: 1-line block ×4, first 2 shown]
	v_dual_cndmask_b32 v8, v17, v18 :: v_dual_cndmask_b32 v9, v4, v5
	v_or_b32_e32 v23, 6, v17
	v_or_b32_e32 v24, 7, v17
	s_delay_alu instid0(VALU_DEP_3) | instskip(NEXT) | instid1(VALU_DEP_4)
	v_cmp_lt_f32_e32 vcc_lo, v9, v6
	v_dual_cndmask_b32 v8, v8, v19 :: v_dual_cndmask_b32 v9, v9, v6
	s_delay_alu instid0(VALU_DEP_1) | instskip(NEXT) | instid1(VALU_DEP_2)
	v_cmp_lt_f32_e32 vcc_lo, v9, v7
	v_dual_cndmask_b32 v8, v8, v20 :: v_dual_cndmask_b32 v9, v9, v7
	s_delay_alu instid0(VALU_DEP_1) | instskip(NEXT) | instid1(VALU_DEP_2)
	;; [unrolled: 3-line block ×6, first 2 shown]
	v_mov_b32_dpp v10, v8 quad_perm:[1,0,3,2] row_mask:0xf bank_mask:0xf
	v_mov_b32_dpp v11, v9 quad_perm:[1,0,3,2] row_mask:0xf bank_mask:0xf
	s_delay_alu instid0(VALU_DEP_2) | instskip(NEXT) | instid1(VALU_DEP_2)
	v_cmp_lt_i32_e32 vcc_lo, v10, v8
	v_cmp_eq_f32_e64 s3, v9, v11
	v_cmp_lt_f32_e64 s4, v9, v11
	s_delay_alu instid0(VALU_DEP_2)
	s_and_b32 s3, s3, vcc_lo
	s_delay_alu instid0(VALU_DEP_1) | instid1(SALU_CYCLE_1)
	s_or_b32 vcc_lo, s4, s3
	v_dual_cndmask_b32 v9, v9, v11 :: v_dual_cndmask_b32 v8, v8, v10
	s_delay_alu instid0(VALU_DEP_1) | instskip(NEXT) | instid1(VALU_DEP_2)
	v_mov_b32_dpp v10, v9 quad_perm:[2,3,0,1] row_mask:0xf bank_mask:0xf
	v_mov_b32_dpp v11, v8 quad_perm:[2,3,0,1] row_mask:0xf bank_mask:0xf
	s_delay_alu instid0(VALU_DEP_2) | instskip(NEXT) | instid1(VALU_DEP_2)
	v_cmp_eq_f32_e32 vcc_lo, v9, v10
	v_cmp_lt_i32_e64 s3, v11, v8
	v_cmp_lt_f32_e64 s4, v9, v10
	s_delay_alu instid0(VALU_DEP_2)
	s_and_b32 s3, vcc_lo, s3
	s_delay_alu instid0(VALU_DEP_1) | instid1(SALU_CYCLE_1)
	s_or_b32 vcc_lo, s4, s3
	v_dual_cndmask_b32 v9, v9, v10 :: v_dual_cndmask_b32 v8, v8, v11
	s_delay_alu instid0(VALU_DEP_1) | instskip(NEXT) | instid1(VALU_DEP_2)
	v_mov_b32_dpp v10, v9 row_half_mirror row_mask:0xf bank_mask:0xf
	v_mov_b32_dpp v11, v8 row_half_mirror row_mask:0xf bank_mask:0xf
	s_delay_alu instid0(VALU_DEP_2) | instskip(NEXT) | instid1(VALU_DEP_2)
	v_cmp_eq_f32_e32 vcc_lo, v9, v10
	v_cmp_lt_i32_e64 s3, v11, v8
	v_cmp_lt_f32_e64 s4, v9, v10
	s_delay_alu instid0(VALU_DEP_2)
	s_and_b32 s3, vcc_lo, s3
	s_delay_alu instid0(VALU_DEP_1) | instid1(SALU_CYCLE_1)
	s_or_b32 vcc_lo, s4, s3
	s_cmp_gt_i32 s8, 0
	v_cndmask_b32_e32 v10, v9, v10, vcc_lo
	v_cndmask_b32_e32 v8, v8, v11, vcc_lo
	s_cselect_b32 s3, -1, 0
	s_delay_alu instid0(SALU_CYCLE_1) | instskip(NEXT) | instid1(VALU_DEP_2)
	s_and_b32 vcc_lo, exec_lo, s3
	v_mov_b32_dpp v12, v10 row_mirror row_mask:0xf bank_mask:0xf
	s_delay_alu instid0(VALU_DEP_2)
	v_mov_b32_dpp v27, v8 row_mirror row_mask:0xf bank_mask:0xf
	s_cbranch_vccz .LBB73_18
; %bb.7:
	s_load_b128 s[4:7], s[0:1], 0x20
	s_delay_alu instid0(VALU_DEP_2) | instskip(NEXT) | instid1(VALU_DEP_2)
	v_cmp_eq_f32_e32 vcc_lo, v10, v12
	v_cmp_lt_i32_e64 s0, v27, v8
	v_cmp_lt_f32_e64 s1, v10, v12
	v_mul_lo_u32 v9, v15, s11
	v_mul_lo_u32 v11, v15, s14
	;; [unrolled: 1-line block ×3, first 2 shown]
	s_and_b32 s0, vcc_lo, s0
	v_mov_b32_e32 v14, 0
	s_or_b32 vcc_lo, s1, s0
	v_dual_cndmask_b32 v8, v8, v27 :: v_dual_cndmask_b32 v27, v10, v12
	s_and_saveexec_b32 s1, s2
	s_cbranch_execz .LBB73_9
; %bb.8:
	s_delay_alu instid0(VALU_DEP_1) | instskip(NEXT) | instid1(VALU_DEP_2)
	v_sub_f32_e32 v34, v27, v27
	v_cmp_le_i32_e32 vcc_lo, s9, v8
	v_cmp_gt_i32_e64 s0, s10, v8
	v_subrev_nc_u32_e32 v35, s9, v8
	v_ashrrev_i32_e32 v14, 31, v13
	v_mul_f32_e32 v10, 0x3fb8aa3b, v34
	s_delay_alu instid0(VALU_DEP_4) | instskip(NEXT) | instid1(SALU_CYCLE_1)
	s_and_b32 s0, vcc_lo, s0
	s_and_b32 vcc_lo, s17, s0
	s_delay_alu instid0(VALU_DEP_1) | instskip(SKIP_2) | instid1(VALU_DEP_3)
	v_rndne_f32_e32 v30, v10
	v_fma_f32 v12, 0x3fb8aa3b, v34, -v10
	v_lshlrev_b64 v[32:33], 2, v[13:14]
	v_sub_f32_e32 v10, v10, v30
	s_delay_alu instid0(VALU_DEP_3) | instskip(NEXT) | instid1(VALU_DEP_1)
	v_fmamk_f32 v12, v34, 0x32a5705f, v12
	v_add_f32_e32 v12, v10, v12
	v_ashrrev_i32_e32 v10, 31, v9
	s_delay_alu instid0(VALU_DEP_2) | instskip(NEXT) | instid1(VALU_DEP_1)
	v_exp_f32_e32 v36, v12
	v_lshlrev_b64 v[28:29], 2, v[9:10]
	v_ashrrev_i32_e32 v12, 31, v11
	v_cvt_i32_f32_e32 v10, v30
	s_delay_alu instid0(VALU_DEP_2) | instskip(SKIP_3) | instid1(TRANS32_DEP_1)
	v_lshlrev_b64 v[30:31], 2, v[11:12]
	v_cndmask_b32_e32 v12, 0x80, v35, vcc_lo
	v_add_co_u32 v28, vcc_lo, s12, v28
	v_add_co_ci_u32_e32 v29, vcc_lo, s13, v29, vcc_lo
	v_ldexp_f32 v10, v36, v10
	v_cmp_ngt_f32_e32 vcc_lo, 0xc2ce8ed0, v34
	s_delay_alu instid0(VALU_DEP_2)
	v_cndmask_b32_e32 v10, 0, v10, vcc_lo
	s_waitcnt lgkmcnt(0)
	v_add_co_u32 v30, vcc_lo, s4, v30
	v_add_co_ci_u32_e32 v31, vcc_lo, s5, v31, vcc_lo
	v_cmp_nlt_f32_e32 vcc_lo, 0x42b17218, v34
	v_cndmask_b32_e32 v14, 0x7f800000, v10, vcc_lo
	v_add_co_u32 v32, vcc_lo, s6, v32
	v_add_co_ci_u32_e32 v33, vcc_lo, s7, v33, vcc_lo
	global_store_b32 v[30:31], v12, off
	global_store_b32 v[28:29], v14, off
	;; [unrolled: 1-line block ×3, first 2 shown]
.LBB73_9:
	s_or_b32 exec_lo, exec_lo, s1
	s_delay_alu instid0(VALU_DEP_1) | instskip(SKIP_1) | instid1(VALU_DEP_1)
	v_ashrrev_i32_e32 v12, 31, v8
	s_mov_b32 s0, exec_lo
	v_lshrrev_b32_e32 v10, 29, v12
	s_delay_alu instid0(VALU_DEP_1) | instskip(NEXT) | instid1(VALU_DEP_1)
	v_add_nc_u32_e32 v10, v8, v10
	v_ashrrev_i32_e32 v10, 3, v10
	s_delay_alu instid0(VALU_DEP_1) | instskip(NEXT) | instid1(VALU_DEP_1)
	v_lshrrev_b32_e32 v28, 28, v10
	v_add_nc_u32_e32 v28, v10, v28
	s_delay_alu instid0(VALU_DEP_1) | instskip(NEXT) | instid1(VALU_DEP_1)
	v_and_b32_e32 v28, -16, v28
	v_sub_nc_u32_e32 v28, v10, v28
	s_delay_alu instid0(VALU_DEP_1)
	v_cmpx_eq_u32_e64 v16, v28
	s_cbranch_execz .LBB73_11
; %bb.10:
	v_lshrrev_b32_e32 v12, 25, v12
	v_lshlrev_b32_e32 v10, 3, v10
	s_delay_alu instid0(VALU_DEP_2) | instskip(NEXT) | instid1(VALU_DEP_2)
	v_add_nc_u32_e32 v12, v8, v12
	v_sub_nc_u32_e32 v8, v8, v10
	s_delay_alu instid0(VALU_DEP_2) | instskip(NEXT) | instid1(VALU_DEP_1)
	v_ashrrev_i32_e32 v10, 7, v12
	v_lshl_add_u32 v8, v10, 3, v8
	s_delay_alu instid0(VALU_DEP_1)
	v_cmp_ne_u32_e32 vcc_lo, 7, v8
	v_cndmask_b32_e32 v3, 0xff800000, v3, vcc_lo
	v_cmp_ne_u32_e32 vcc_lo, 6, v8
	v_cndmask_b32_e32 v2, 0xff800000, v2, vcc_lo
	v_cmp_ne_u32_e32 vcc_lo, 5, v8
	v_cndmask_b32_e32 v1, 0xff800000, v1, vcc_lo
	v_cmp_ne_u32_e32 vcc_lo, 4, v8
	v_cndmask_b32_e32 v0, 0xff800000, v0, vcc_lo
	v_cmp_ne_u32_e32 vcc_lo, 3, v8
	v_cndmask_b32_e32 v7, 0xff800000, v7, vcc_lo
	v_cmp_ne_u32_e32 vcc_lo, 2, v8
	v_cndmask_b32_e32 v6, 0xff800000, v6, vcc_lo
	v_cmp_ne_u32_e32 vcc_lo, 1, v8
	v_cndmask_b32_e32 v5, 0xff800000, v5, vcc_lo
	v_cmp_ne_u32_e32 vcc_lo, 0, v8
	v_cndmask_b32_e32 v4, 0xff800000, v4, vcc_lo
.LBB73_11:
	s_or_b32 exec_lo, exec_lo, s0
	s_cmp_eq_u32 s8, 1
	s_cbranch_scc1 .LBB73_18
; %bb.12:
	s_add_i32 s18, s18, s16
	v_add_nc_u32_e32 v8, 1, v13
	v_add3_u32 v25, s18, v26, v25
	v_add_nc_u32_e32 v10, 1, v11
	v_add_nc_u32_e32 v12, 1, v9
	s_add_i32 s14, s8, -1
	s_branch .LBB73_14
.LBB73_13:                              ;   in Loop: Header=BB73_14 Depth=1
	s_or_b32 exec_lo, exec_lo, s0
	v_add_nc_u32_e32 v25, s16, v25
	v_add_nc_u32_e32 v8, 1, v8
	;; [unrolled: 1-line block ×4, first 2 shown]
	s_add_i32 s14, s14, -1
	s_delay_alu instid0(SALU_CYCLE_1)
	s_cmp_eq_u32 s14, 0
	s_cbranch_scc1 .LBB73_18
.LBB73_14:                              ; =>This Inner Loop Header: Depth=1
	v_cmp_gt_f32_e32 vcc_lo, v5, v4
	v_cndmask_b32_e32 v11, v4, v5, vcc_lo
	v_cndmask_b32_e32 v9, v17, v18, vcc_lo
	s_delay_alu instid0(VALU_DEP_2) | instskip(SKIP_1) | instid1(VALU_DEP_3)
	v_cmp_gt_f32_e32 vcc_lo, v6, v11
	v_cndmask_b32_e32 v11, v11, v6, vcc_lo
	v_cndmask_b32_e32 v9, v9, v19, vcc_lo
	s_delay_alu instid0(VALU_DEP_2) | instskip(SKIP_1) | instid1(VALU_DEP_3)
	;; [unrolled: 4-line block ×5, first 2 shown]
	v_cmp_gt_f32_e32 vcc_lo, v2, v11
	v_cndmask_b32_e32 v11, v11, v2, vcc_lo
	v_cndmask_b32_e32 v9, v9, v23, vcc_lo
	s_delay_alu instid0(VALU_DEP_2) | instskip(NEXT) | instid1(VALU_DEP_2)
	v_cmp_gt_f32_e32 vcc_lo, v3, v11
	v_cndmask_b32_e32 v9, v9, v24, vcc_lo
	v_cndmask_b32_e32 v11, v11, v3, vcc_lo
	s_delay_alu instid0(VALU_DEP_2) | instskip(NEXT) | instid1(VALU_DEP_2)
	v_mov_b32_dpp v13, v9 quad_perm:[1,0,3,2] row_mask:0xf bank_mask:0xf
	v_mov_b32_dpp v26, v11 quad_perm:[1,0,3,2] row_mask:0xf bank_mask:0xf
	s_delay_alu instid0(VALU_DEP_2) | instskip(NEXT) | instid1(VALU_DEP_2)
	v_cmp_lt_i32_e32 vcc_lo, v13, v9
	v_cmp_eq_f32_e64 s0, v11, v26
	v_cmp_lt_f32_e64 s1, v11, v26
	s_delay_alu instid0(VALU_DEP_2)
	s_and_b32 s0, s0, vcc_lo
	s_delay_alu instid0(VALU_DEP_1) | instid1(SALU_CYCLE_1)
	s_or_b32 vcc_lo, s1, s0
	v_cndmask_b32_e32 v11, v11, v26, vcc_lo
	v_cndmask_b32_e32 v9, v9, v13, vcc_lo
	s_delay_alu instid0(VALU_DEP_2) | instskip(NEXT) | instid1(VALU_DEP_2)
	v_mov_b32_dpp v13, v11 quad_perm:[2,3,0,1] row_mask:0xf bank_mask:0xf
	v_mov_b32_dpp v26, v9 quad_perm:[2,3,0,1] row_mask:0xf bank_mask:0xf
	s_delay_alu instid0(VALU_DEP_2) | instskip(NEXT) | instid1(VALU_DEP_2)
	v_cmp_eq_f32_e32 vcc_lo, v11, v13
	v_cmp_lt_i32_e64 s0, v26, v9
	v_cmp_lt_f32_e64 s1, v11, v13
	s_delay_alu instid0(VALU_DEP_2)
	s_and_b32 s0, vcc_lo, s0
	s_delay_alu instid0(VALU_DEP_1) | instid1(SALU_CYCLE_1)
	s_or_b32 vcc_lo, s1, s0
	v_cndmask_b32_e32 v11, v11, v13, vcc_lo
	v_cndmask_b32_e32 v13, v9, v26, vcc_lo
	s_delay_alu instid0(VALU_DEP_2) | instskip(NEXT) | instid1(VALU_DEP_2)
	v_mov_b32_dpp v9, v11 row_half_mirror row_mask:0xf bank_mask:0xf
	v_mov_b32_dpp v26, v13 row_half_mirror row_mask:0xf bank_mask:0xf
	s_delay_alu instid0(VALU_DEP_2) | instskip(NEXT) | instid1(VALU_DEP_2)
	v_cmp_eq_f32_e32 vcc_lo, v11, v9
	v_cmp_lt_i32_e64 s0, v26, v13
	v_cmp_lt_f32_e64 s1, v11, v9
	s_delay_alu instid0(VALU_DEP_2)
	s_and_b32 s0, vcc_lo, s0
	s_delay_alu instid0(VALU_DEP_1) | instid1(SALU_CYCLE_1)
	s_or_b32 vcc_lo, s1, s0
	v_cndmask_b32_e32 v9, v11, v9, vcc_lo
	v_cndmask_b32_e32 v13, v13, v26, vcc_lo
	s_delay_alu instid0(VALU_DEP_2) | instskip(NEXT) | instid1(VALU_DEP_2)
	v_mov_b32_dpp v11, v9 row_mirror row_mask:0xf bank_mask:0xf
	v_mov_b32_dpp v26, v13 row_mirror row_mask:0xf bank_mask:0xf
	s_delay_alu instid0(VALU_DEP_2) | instskip(NEXT) | instid1(VALU_DEP_2)
	v_cmp_eq_f32_e32 vcc_lo, v9, v11
	v_cmp_lt_i32_e64 s0, v26, v13
	v_cmp_lt_f32_e64 s1, v9, v11
	s_delay_alu instid0(VALU_DEP_2)
	s_and_b32 s0, vcc_lo, s0
	s_delay_alu instid0(VALU_DEP_1) | instid1(SALU_CYCLE_1)
	s_or_b32 vcc_lo, s1, s0
	v_cndmask_b32_e32 v26, v13, v26, vcc_lo
	s_and_saveexec_b32 s1, s2
	s_cbranch_execz .LBB73_16
; %bb.15:                               ;   in Loop: Header=BB73_14 Depth=1
	v_cndmask_b32_e32 v9, v9, v11, vcc_lo
	s_delay_alu instid0(VALU_DEP_2) | instskip(SKIP_4) | instid1(VALU_DEP_4)
	v_cmp_le_i32_e32 vcc_lo, s9, v26
	v_cmp_gt_i32_e64 s0, s10, v26
	v_ashrrev_i32_e32 v13, 31, v12
	v_subrev_nc_u32_e32 v35, s9, v26
	v_sub_f32_e32 v34, v9, v27
	s_and_b32 s0, vcc_lo, s0
	s_delay_alu instid0(SALU_CYCLE_1) | instskip(NEXT) | instid1(VALU_DEP_1)
	s_and_b32 vcc_lo, s17, s0
	v_mul_f32_e32 v9, 0x3fb8aa3b, v34
	s_delay_alu instid0(VALU_DEP_1) | instskip(SKIP_1) | instid1(VALU_DEP_2)
	v_fma_f32 v11, 0x3fb8aa3b, v34, -v9
	v_rndne_f32_e32 v28, v9
	v_fmac_f32_e32 v11, 0x32a5705f, v34
	s_delay_alu instid0(VALU_DEP_2) | instskip(SKIP_2) | instid1(VALU_DEP_3)
	v_sub_f32_e32 v9, v9, v28
	v_cvt_i32_f32_e32 v33, v28
	v_lshlrev_b64 v[28:29], 2, v[12:13]
	v_add_f32_e32 v9, v9, v11
	v_ashrrev_i32_e32 v11, 31, v10
	s_delay_alu instid0(VALU_DEP_2) | instskip(SKIP_1) | instid1(VALU_DEP_2)
	v_exp_f32_e32 v32, v9
	v_ashrrev_i32_e32 v9, 31, v8
	v_lshlrev_b64 v[30:31], 2, v[10:11]
	s_waitcnt_depctr 0xfff
	v_ldexp_f32 v11, v32, v33
	v_lshlrev_b64 v[32:33], 2, v[8:9]
	v_cndmask_b32_e32 v9, 0x80, v35, vcc_lo
	v_cmp_ngt_f32_e32 vcc_lo, 0xc2ce8ed0, v34
	s_delay_alu instid0(VALU_DEP_4) | instskip(SKIP_3) | instid1(VALU_DEP_4)
	v_cndmask_b32_e32 v11, 0, v11, vcc_lo
	v_add_co_u32 v28, vcc_lo, s12, v28
	v_add_co_ci_u32_e32 v29, vcc_lo, s13, v29, vcc_lo
	v_cmp_nlt_f32_e32 vcc_lo, 0x42b17218, v34
	v_cndmask_b32_e32 v11, 0x7f800000, v11, vcc_lo
	s_waitcnt lgkmcnt(0)
	v_add_co_u32 v30, vcc_lo, s4, v30
	v_add_co_ci_u32_e32 v31, vcc_lo, s5, v31, vcc_lo
	s_delay_alu instid0(VALU_DEP_3)
	v_add_f32_e32 v14, v14, v11
	v_add_co_u32 v32, vcc_lo, s6, v32
	v_add_co_ci_u32_e32 v33, vcc_lo, s7, v33, vcc_lo
	global_store_b32 v[28:29], v11, off
	global_store_b32 v[30:31], v9, off
	;; [unrolled: 1-line block ×3, first 2 shown]
.LBB73_16:                              ;   in Loop: Header=BB73_14 Depth=1
	s_or_b32 exec_lo, exec_lo, s1
	s_delay_alu instid0(VALU_DEP_1) | instskip(SKIP_1) | instid1(VALU_DEP_1)
	v_ashrrev_i32_e32 v11, 31, v26
	s_mov_b32 s0, exec_lo
	v_lshrrev_b32_e32 v9, 29, v11
	s_delay_alu instid0(VALU_DEP_1) | instskip(NEXT) | instid1(VALU_DEP_1)
	v_add_nc_u32_e32 v9, v26, v9
	v_ashrrev_i32_e32 v9, 3, v9
	s_delay_alu instid0(VALU_DEP_1) | instskip(NEXT) | instid1(VALU_DEP_1)
	v_lshrrev_b32_e32 v13, 28, v9
	v_add_nc_u32_e32 v13, v9, v13
	s_delay_alu instid0(VALU_DEP_1) | instskip(NEXT) | instid1(VALU_DEP_1)
	v_and_b32_e32 v13, -16, v13
	v_sub_nc_u32_e32 v13, v9, v13
	s_delay_alu instid0(VALU_DEP_1)
	v_cmpx_eq_u32_e64 v16, v13
	s_cbranch_execz .LBB73_13
; %bb.17:                               ;   in Loop: Header=BB73_14 Depth=1
	v_lshrrev_b32_e32 v11, 25, v11
	v_lshlrev_b32_e32 v9, 3, v9
	s_delay_alu instid0(VALU_DEP_2) | instskip(NEXT) | instid1(VALU_DEP_2)
	v_add_nc_u32_e32 v11, v26, v11
	v_sub_nc_u32_e32 v9, v26, v9
	s_delay_alu instid0(VALU_DEP_2) | instskip(NEXT) | instid1(VALU_DEP_1)
	v_ashrrev_i32_e32 v11, 7, v11
	v_lshl_add_u32 v9, v11, 3, v9
	s_delay_alu instid0(VALU_DEP_1)
	v_cmp_ne_u32_e32 vcc_lo, 7, v9
	v_cndmask_b32_e32 v3, 0xff800000, v3, vcc_lo
	v_cmp_ne_u32_e32 vcc_lo, 6, v9
	v_cndmask_b32_e32 v2, 0xff800000, v2, vcc_lo
	;; [unrolled: 2-line block ×8, first 2 shown]
	s_branch .LBB73_13
.LBB73_18:
	v_cmp_neq_f32_e32 vcc_lo, 0, v14
	s_and_b32 s0, s2, vcc_lo
	s_delay_alu instid0(SALU_CYCLE_1)
	s_and_b32 exec_lo, exec_lo, s0
	s_cbranch_execz .LBB73_22
; %bb.19:
	s_and_not1_b32 vcc_lo, exec_lo, s3
	s_cbranch_vccnz .LBB73_22
; %bb.20:
	v_div_scale_f32 v1, null, v14, v14, 1.0
	v_div_scale_f32 v3, vcc_lo, 1.0, v14, 1.0
	s_delay_alu instid0(VALU_DEP_2) | instskip(SKIP_2) | instid1(VALU_DEP_1)
	v_rcp_f32_e32 v2, v1
	s_waitcnt_depctr 0xfff
	v_fma_f32 v0, -v1, v2, 1.0
	v_fmac_f32_e32 v2, v0, v2
	v_mul_lo_u32 v0, v15, s11
	s_delay_alu instid0(VALU_DEP_2) | instskip(NEXT) | instid1(VALU_DEP_1)
	v_mul_f32_e32 v4, v3, v2
	v_fma_f32 v5, -v1, v4, v3
	s_delay_alu instid0(VALU_DEP_1) | instskip(NEXT) | instid1(VALU_DEP_1)
	v_fmac_f32_e32 v4, v5, v2
	v_fma_f32 v3, -v1, v4, v3
	v_ashrrev_i32_e32 v1, 31, v0
	s_delay_alu instid0(VALU_DEP_2) | instskip(NEXT) | instid1(VALU_DEP_2)
	v_div_fmas_f32 v2, v3, v2, v4
	v_lshlrev_b64 v[0:1], 2, v[0:1]
	s_delay_alu instid0(VALU_DEP_2) | instskip(NEXT) | instid1(VALU_DEP_2)
	v_div_fixup_f32 v2, v2, v14, 1.0
	v_add_co_u32 v0, vcc_lo, s12, v0
	s_delay_alu instid0(VALU_DEP_3)
	v_add_co_ci_u32_e32 v1, vcc_lo, s13, v1, vcc_lo
.LBB73_21:                              ; =>This Inner Loop Header: Depth=1
	global_load_b32 v3, v[0:1], off
	s_add_i32 s8, s8, -1
	s_delay_alu instid0(SALU_CYCLE_1)
	s_cmp_lg_u32 s8, 0
	s_waitcnt vmcnt(0)
	v_mul_f32_e32 v3, v2, v3
	global_store_b32 v[0:1], v3, off
	v_add_co_u32 v0, vcc_lo, v0, 4
	v_add_co_ci_u32_e32 v1, vcc_lo, 0, v1, vcc_lo
	s_cbranch_scc1 .LBB73_21
.LBB73_22:
	s_nop 0
	s_sendmsg sendmsg(MSG_DEALLOC_VGPRS)
	s_endpgm
	.section	.rodata,"a",@progbits
	.p2align	6, 0x0
	.amdhsa_kernel _ZN4vllm3moe17topkGatingSoftmaxIfLi8ELi128ELi8ELi32ELb1ELi1ELNS0_23SharedExpertScoringFuncE1EEEvPKT_PKbPfiPiS9_iiiiii
		.amdhsa_group_segment_fixed_size 0
		.amdhsa_private_segment_fixed_size 0
		.amdhsa_kernarg_size 72
		.amdhsa_user_sgpr_count 15
		.amdhsa_user_sgpr_dispatch_ptr 0
		.amdhsa_user_sgpr_queue_ptr 0
		.amdhsa_user_sgpr_kernarg_segment_ptr 1
		.amdhsa_user_sgpr_dispatch_id 0
		.amdhsa_user_sgpr_private_segment_size 0
		.amdhsa_wavefront_size32 1
		.amdhsa_uses_dynamic_stack 0
		.amdhsa_enable_private_segment 0
		.amdhsa_system_sgpr_workgroup_id_x 1
		.amdhsa_system_sgpr_workgroup_id_y 0
		.amdhsa_system_sgpr_workgroup_id_z 0
		.amdhsa_system_sgpr_workgroup_info 0
		.amdhsa_system_vgpr_workitem_id 1
		.amdhsa_next_free_vgpr 37
		.amdhsa_next_free_sgpr 19
		.amdhsa_reserve_vcc 1
		.amdhsa_float_round_mode_32 0
		.amdhsa_float_round_mode_16_64 0
		.amdhsa_float_denorm_mode_32 3
		.amdhsa_float_denorm_mode_16_64 3
		.amdhsa_dx10_clamp 1
		.amdhsa_ieee_mode 1
		.amdhsa_fp16_overflow 0
		.amdhsa_workgroup_processor_mode 1
		.amdhsa_memory_ordered 1
		.amdhsa_forward_progress 0
		.amdhsa_shared_vgpr_count 0
		.amdhsa_exception_fp_ieee_invalid_op 0
		.amdhsa_exception_fp_denorm_src 0
		.amdhsa_exception_fp_ieee_div_zero 0
		.amdhsa_exception_fp_ieee_overflow 0
		.amdhsa_exception_fp_ieee_underflow 0
		.amdhsa_exception_fp_ieee_inexact 0
		.amdhsa_exception_int_div_zero 0
	.end_amdhsa_kernel
	.section	.text._ZN4vllm3moe17topkGatingSoftmaxIfLi8ELi128ELi8ELi32ELb1ELi1ELNS0_23SharedExpertScoringFuncE1EEEvPKT_PKbPfiPiS9_iiiiii,"axG",@progbits,_ZN4vllm3moe17topkGatingSoftmaxIfLi8ELi128ELi8ELi32ELb1ELi1ELNS0_23SharedExpertScoringFuncE1EEEvPKT_PKbPfiPiS9_iiiiii,comdat
.Lfunc_end73:
	.size	_ZN4vllm3moe17topkGatingSoftmaxIfLi8ELi128ELi8ELi32ELb1ELi1ELNS0_23SharedExpertScoringFuncE1EEEvPKT_PKbPfiPiS9_iiiiii, .Lfunc_end73-_ZN4vllm3moe17topkGatingSoftmaxIfLi8ELi128ELi8ELi32ELb1ELi1ELNS0_23SharedExpertScoringFuncE1EEEvPKT_PKbPfiPiS9_iiiiii
                                        ; -- End function
	.section	.AMDGPU.csdata,"",@progbits
; Kernel info:
; codeLenInByte = 2648
; NumSgprs: 21
; NumVgprs: 37
; ScratchSize: 0
; MemoryBound: 0
; FloatMode: 240
; IeeeMode: 1
; LDSByteSize: 0 bytes/workgroup (compile time only)
; SGPRBlocks: 2
; VGPRBlocks: 4
; NumSGPRsForWavesPerEU: 21
; NumVGPRsForWavesPerEU: 37
; Occupancy: 16
; WaveLimiterHint : 0
; COMPUTE_PGM_RSRC2:SCRATCH_EN: 0
; COMPUTE_PGM_RSRC2:USER_SGPR: 15
; COMPUTE_PGM_RSRC2:TRAP_HANDLER: 0
; COMPUTE_PGM_RSRC2:TGID_X_EN: 1
; COMPUTE_PGM_RSRC2:TGID_Y_EN: 0
; COMPUTE_PGM_RSRC2:TGID_Z_EN: 0
; COMPUTE_PGM_RSRC2:TIDIG_COMP_CNT: 1
	.section	.text._ZN4vllm3moe17topkGatingSoftmaxIfLi8ELi128ELi8ELi32ELb0ELi1ELNS0_23SharedExpertScoringFuncE1EEEvPKT_PKbPfiPiS9_iiiiii,"axG",@progbits,_ZN4vllm3moe17topkGatingSoftmaxIfLi8ELi128ELi8ELi32ELb0ELi1ELNS0_23SharedExpertScoringFuncE1EEEvPKT_PKbPfiPiS9_iiiiii,comdat
	.protected	_ZN4vllm3moe17topkGatingSoftmaxIfLi8ELi128ELi8ELi32ELb0ELi1ELNS0_23SharedExpertScoringFuncE1EEEvPKT_PKbPfiPiS9_iiiiii ; -- Begin function _ZN4vllm3moe17topkGatingSoftmaxIfLi8ELi128ELi8ELi32ELb0ELi1ELNS0_23SharedExpertScoringFuncE1EEEvPKT_PKbPfiPiS9_iiiiii
	.globl	_ZN4vllm3moe17topkGatingSoftmaxIfLi8ELi128ELi8ELi32ELb0ELi1ELNS0_23SharedExpertScoringFuncE1EEEvPKT_PKbPfiPiS9_iiiiii
	.p2align	8
	.type	_ZN4vllm3moe17topkGatingSoftmaxIfLi8ELi128ELi8ELi32ELb0ELi1ELNS0_23SharedExpertScoringFuncE1EEEvPKT_PKbPfiPiS9_iiiiii,@function
_ZN4vllm3moe17topkGatingSoftmaxIfLi8ELi128ELi8ELi32ELb0ELi1ELNS0_23SharedExpertScoringFuncE1EEEvPKT_PKbPfiPiS9_iiiiii: ; @_ZN4vllm3moe17topkGatingSoftmaxIfLi8ELi128ELi8ELi32ELb0ELi1ELNS0_23SharedExpertScoringFuncE1EEEvPKT_PKbPfiPiS9_iiiiii
; %bb.0:
	s_load_b32 s16, s[0:1], 0x18
	v_bfe_u32 v1, v0, 10, 10
	v_and_b32_e32 v0, 0x3ff, v0
	s_lshl_b32 s18, s15, 4
	s_mov_b32 s2, exec_lo
	s_delay_alu instid0(VALU_DEP_2) | instskip(NEXT) | instid1(VALU_DEP_2)
	v_lshlrev_b32_e32 v26, 1, v1
	v_lshrrev_b32_e32 v27, 4, v0
	s_delay_alu instid0(VALU_DEP_1) | instskip(SKIP_1) | instid1(VALU_DEP_1)
	v_add3_u32 v15, s18, v26, v27
	s_waitcnt lgkmcnt(0)
	v_cmpx_gt_i32_e64 s16, v15
	s_cbranch_execz .LBB74_23
; %bb.1:
	s_clause 0x1
	s_load_b128 s[4:7], s[0:1], 0x0
	s_load_b64 s[12:13], s[0:1], 0x10
	s_waitcnt lgkmcnt(0)
	s_cmp_eq_u64 s[6:7], 0
	s_cbranch_scc1 .LBB74_3
; %bb.2:
	v_ashrrev_i32_e32 v2, 31, v15
	v_add_co_u32 v1, vcc_lo, s6, v15
	s_delay_alu instid0(VALU_DEP_2) | instskip(SKIP_3) | instid1(VALU_DEP_1)
	v_add_co_ci_u32_e32 v2, vcc_lo, s7, v2, vcc_lo
	global_load_u8 v1, v[1:2], off
	s_waitcnt vmcnt(0)
	v_and_b32_e32 v1, 1, v1
	v_cmp_eq_u32_e32 vcc_lo, 1, v1
	s_xor_b32 s2, vcc_lo, -1
	s_delay_alu instid0(SALU_CYCLE_1)
	s_or_not1_b32 s17, s2, exec_lo
	s_branch .LBB74_4
.LBB74_3:
	s_mov_b32 s17, -1
.LBB74_4:
	s_clause 0x1
	s_load_b64 s[14:15], s[0:1], 0x40
	s_load_b128 s[8:11], s[0:1], 0x30
	v_dual_mov_b32 v14, 0 :: v_dual_and_b32 v17, 15, v0
	s_delay_alu instid0(VALU_DEP_1) | instskip(SKIP_3) | instid1(VALU_DEP_1)
	v_lshlrev_b32_e32 v18, 3, v17
	v_cmp_eq_u32_e64 s2, 0, v17
	s_waitcnt lgkmcnt(0)
	v_mul_lo_u32 v1, v15, s15
	v_ashrrev_i32_e32 v2, 31, v1
	s_delay_alu instid0(VALU_DEP_1) | instskip(SKIP_1) | instid1(VALU_DEP_2)
	v_lshlrev_b64 v[0:1], 2, v[1:2]
	v_lshlrev_b32_e32 v2, 5, v17
	v_add_co_u32 v8, vcc_lo, s4, v0
	s_delay_alu instid0(VALU_DEP_3) | instskip(NEXT) | instid1(VALU_DEP_2)
	v_add_co_ci_u32_e32 v9, vcc_lo, s5, v1, vcc_lo
	v_add_co_u32 v4, vcc_lo, v8, v2
	s_delay_alu instid0(VALU_DEP_2)
	v_add_co_ci_u32_e32 v5, vcc_lo, 0, v9, vcc_lo
	s_clause 0x1
	global_load_b128 v[0:3], v[4:5], off offset:16
	global_load_b128 v[4:7], v[4:5], off
	s_and_saveexec_b32 s3, s2
	s_cbranch_execz .LBB74_6
; %bb.5:
	global_load_b32 v8, v[8:9], off offset:512
	s_waitcnt vmcnt(0)
	v_mul_f32_e32 v9, 0xbfb8aa3b, v8
	v_cmp_nlt_f32_e32 vcc_lo, 0x42ce8ed0, v8
	s_delay_alu instid0(VALU_DEP_2) | instskip(SKIP_1) | instid1(VALU_DEP_2)
	v_rndne_f32_e32 v10, v9
	v_fma_f32 v11, 0xbfb8aa3b, v8, -v9
	v_sub_f32_e32 v9, v9, v10
	s_delay_alu instid0(VALU_DEP_2) | instskip(SKIP_1) | instid1(VALU_DEP_2)
	v_fmamk_f32 v11, v8, 0xb2a5705f, v11
	v_cvt_i32_f32_e32 v10, v10
	v_add_f32_e32 v9, v9, v11
	s_delay_alu instid0(VALU_DEP_1) | instskip(SKIP_2) | instid1(VALU_DEP_1)
	v_exp_f32_e32 v9, v9
	s_waitcnt_depctr 0xfff
	v_ldexp_f32 v9, v9, v10
	v_cndmask_b32_e32 v9, 0, v9, vcc_lo
	v_cmp_ngt_f32_e32 vcc_lo, 0xc2b17218, v8
	s_delay_alu instid0(VALU_DEP_2) | instskip(NEXT) | instid1(VALU_DEP_1)
	v_cndmask_b32_e32 v8, 0x7f800000, v9, vcc_lo
	v_add_f32_e32 v10, 1.0, v8
	s_delay_alu instid0(VALU_DEP_1) | instskip(SKIP_1) | instid1(VALU_DEP_2)
	v_div_scale_f32 v11, null, v10, v10, 1.0
	v_div_scale_f32 v13, vcc_lo, 1.0, v10, 1.0
	v_rcp_f32_e32 v12, v11
	s_waitcnt_depctr 0xfff
	v_fma_f32 v8, -v11, v12, 1.0
	s_delay_alu instid0(VALU_DEP_1) | instskip(SKIP_1) | instid1(VALU_DEP_2)
	v_fmac_f32_e32 v12, v8, v12
	v_mad_u64_u32 v[8:9], null, v15, s11, s[8:9]
	v_mul_f32_e32 v16, v13, v12
	s_delay_alu instid0(VALU_DEP_2) | instskip(NEXT) | instid1(VALU_DEP_2)
	v_ashrrev_i32_e32 v9, 31, v8
	v_fma_f32 v19, -v11, v16, v13
	s_delay_alu instid0(VALU_DEP_2) | instskip(NEXT) | instid1(VALU_DEP_2)
	v_lshlrev_b64 v[8:9], 2, v[8:9]
	v_fmac_f32_e32 v16, v19, v12
	s_delay_alu instid0(VALU_DEP_1) | instskip(NEXT) | instid1(VALU_DEP_1)
	v_fma_f32 v11, -v11, v16, v13
	v_div_fmas_f32 v11, v11, v12, v16
	s_delay_alu instid0(VALU_DEP_4) | instskip(SKIP_1) | instid1(VALU_DEP_3)
	v_add_co_u32 v8, vcc_lo, s12, v8
	v_add_co_ci_u32_e32 v9, vcc_lo, s13, v9, vcc_lo
	v_div_fixup_f32 v10, v11, v10, 1.0
	global_store_b32 v[8:9], v10, off
.LBB74_6:
	s_or_b32 exec_lo, exec_lo, s3
	v_or_b32_e32 v19, 1, v18
	s_waitcnt vmcnt(0)
	v_cmp_lt_f32_e32 vcc_lo, v4, v5
	v_or_b32_e32 v20, 2, v18
	v_or_b32_e32 v21, 3, v18
	;; [unrolled: 1-line block ×4, first 2 shown]
	v_dual_cndmask_b32 v8, v18, v19 :: v_dual_cndmask_b32 v9, v4, v5
	v_or_b32_e32 v24, 6, v18
	v_or_b32_e32 v25, 7, v18
	s_delay_alu instid0(VALU_DEP_3) | instskip(NEXT) | instid1(VALU_DEP_4)
	v_cmp_lt_f32_e32 vcc_lo, v9, v6
	v_dual_cndmask_b32 v8, v8, v20 :: v_dual_cndmask_b32 v9, v9, v6
	s_delay_alu instid0(VALU_DEP_1) | instskip(NEXT) | instid1(VALU_DEP_2)
	v_cmp_lt_f32_e32 vcc_lo, v9, v7
	v_dual_cndmask_b32 v8, v8, v21 :: v_dual_cndmask_b32 v9, v9, v7
	s_delay_alu instid0(VALU_DEP_1) | instskip(NEXT) | instid1(VALU_DEP_2)
	;; [unrolled: 3-line block ×6, first 2 shown]
	v_mov_b32_dpp v11, v8 quad_perm:[1,0,3,2] row_mask:0xf bank_mask:0xf
	v_mov_b32_dpp v10, v9 quad_perm:[1,0,3,2] row_mask:0xf bank_mask:0xf
	s_delay_alu instid0(VALU_DEP_2) | instskip(NEXT) | instid1(VALU_DEP_2)
	v_cmp_lt_i32_e64 s3, v11, v8
	v_cmp_eq_f32_e32 vcc_lo, v9, v10
	v_cmp_lt_f32_e64 s4, v9, v10
	s_delay_alu instid0(VALU_DEP_3)
	s_and_b32 s3, vcc_lo, s3
	s_delay_alu instid0(VALU_DEP_1) | instid1(SALU_CYCLE_1)
	s_or_b32 vcc_lo, s4, s3
	v_dual_cndmask_b32 v9, v9, v10 :: v_dual_cndmask_b32 v8, v8, v11
	s_delay_alu instid0(VALU_DEP_1) | instskip(NEXT) | instid1(VALU_DEP_2)
	v_mov_b32_dpp v10, v9 quad_perm:[2,3,0,1] row_mask:0xf bank_mask:0xf
	v_mov_b32_dpp v11, v8 quad_perm:[2,3,0,1] row_mask:0xf bank_mask:0xf
	s_delay_alu instid0(VALU_DEP_2) | instskip(NEXT) | instid1(VALU_DEP_2)
	v_cmp_eq_f32_e32 vcc_lo, v9, v10
	v_cmp_lt_i32_e64 s3, v11, v8
	v_cmp_lt_f32_e64 s4, v9, v10
	s_delay_alu instid0(VALU_DEP_2)
	s_and_b32 s3, vcc_lo, s3
	s_delay_alu instid0(VALU_DEP_1) | instid1(SALU_CYCLE_1)
	s_or_b32 vcc_lo, s4, s3
	v_dual_cndmask_b32 v9, v9, v10 :: v_dual_cndmask_b32 v8, v8, v11
	s_delay_alu instid0(VALU_DEP_1) | instskip(NEXT) | instid1(VALU_DEP_2)
	v_mov_b32_dpp v10, v9 row_half_mirror row_mask:0xf bank_mask:0xf
	v_mov_b32_dpp v11, v8 row_half_mirror row_mask:0xf bank_mask:0xf
	s_delay_alu instid0(VALU_DEP_2) | instskip(NEXT) | instid1(VALU_DEP_2)
	v_cmp_eq_f32_e32 vcc_lo, v9, v10
	v_cmp_lt_i32_e64 s3, v11, v8
	v_cmp_lt_f32_e64 s4, v9, v10
	s_delay_alu instid0(VALU_DEP_2)
	s_and_b32 s3, vcc_lo, s3
	s_delay_alu instid0(VALU_DEP_1) | instid1(SALU_CYCLE_1)
	s_or_b32 vcc_lo, s4, s3
	v_dual_cndmask_b32 v9, v9, v10 :: v_dual_cndmask_b32 v8, v8, v11
	s_delay_alu instid0(VALU_DEP_1) | instskip(NEXT) | instid1(VALU_DEP_2)
	v_mov_b32_dpp v11, v9 row_mirror row_mask:0xf bank_mask:0xf
	v_mov_b32_dpp v10, v8 row_mirror row_mask:0xf bank_mask:0xf
	s_delay_alu instid0(VALU_DEP_2) | instskip(NEXT) | instid1(VALU_DEP_2)
	v_cmp_eq_f32_e32 vcc_lo, v9, v11
	v_cmp_lt_i32_e64 s3, v10, v8
	v_cmp_lt_f32_e64 s4, v9, v11
	s_delay_alu instid0(VALU_DEP_2)
	s_and_b32 s3, vcc_lo, s3
	s_delay_alu instid0(VALU_DEP_1) | instid1(SALU_CYCLE_1)
	s_or_b32 s3, s4, s3
	s_cmp_gt_i32 s8, 0
	v_cndmask_b32_e64 v16, v9, v11, s3
	s_cselect_b32 s15, -1, 0
	s_delay_alu instid0(SALU_CYCLE_1)
	s_and_b32 vcc_lo, exec_lo, s15
	s_cbranch_vccz .LBB74_18
; %bb.7:
	s_load_b128 s[4:7], s[0:1], 0x20
	v_mul_lo_u32 v9, v15, s11
	v_mul_lo_u32 v11, v15, s14
	v_mul_lo_u32 v13, v15, s8
	v_cndmask_b32_e64 v8, v8, v10, s3
	v_mov_b32_e32 v14, 0
	s_and_saveexec_b32 s1, s2
	s_cbranch_execz .LBB74_9
; %bb.8:
	v_sub_f32_e32 v34, v16, v16
	v_cmp_le_i32_e32 vcc_lo, s9, v8
	v_cmp_gt_i32_e64 s0, s10, v8
	v_subrev_nc_u32_e32 v35, s9, v8
	v_ashrrev_i32_e32 v14, 31, v13
	v_mul_f32_e32 v10, 0x3fb8aa3b, v34
	s_delay_alu instid0(VALU_DEP_4) | instskip(NEXT) | instid1(SALU_CYCLE_1)
	s_and_b32 s0, vcc_lo, s0
	s_and_b32 vcc_lo, s17, s0
	s_delay_alu instid0(VALU_DEP_1) | instskip(SKIP_2) | instid1(VALU_DEP_3)
	v_rndne_f32_e32 v30, v10
	v_fma_f32 v12, 0x3fb8aa3b, v34, -v10
	v_lshlrev_b64 v[32:33], 2, v[13:14]
	v_sub_f32_e32 v10, v10, v30
	s_delay_alu instid0(VALU_DEP_3) | instskip(NEXT) | instid1(VALU_DEP_1)
	v_fmamk_f32 v12, v34, 0x32a5705f, v12
	v_add_f32_e32 v12, v10, v12
	v_ashrrev_i32_e32 v10, 31, v9
	s_delay_alu instid0(VALU_DEP_2) | instskip(NEXT) | instid1(VALU_DEP_1)
	v_exp_f32_e32 v36, v12
	v_lshlrev_b64 v[28:29], 2, v[9:10]
	v_ashrrev_i32_e32 v12, 31, v11
	v_cvt_i32_f32_e32 v10, v30
	s_delay_alu instid0(VALU_DEP_2) | instskip(SKIP_3) | instid1(TRANS32_DEP_1)
	v_lshlrev_b64 v[30:31], 2, v[11:12]
	v_cndmask_b32_e32 v12, 0x80, v35, vcc_lo
	v_add_co_u32 v28, vcc_lo, s12, v28
	v_add_co_ci_u32_e32 v29, vcc_lo, s13, v29, vcc_lo
	v_ldexp_f32 v10, v36, v10
	v_cmp_ngt_f32_e32 vcc_lo, 0xc2ce8ed0, v34
	s_delay_alu instid0(VALU_DEP_2)
	v_cndmask_b32_e32 v10, 0, v10, vcc_lo
	s_waitcnt lgkmcnt(0)
	v_add_co_u32 v30, vcc_lo, s4, v30
	v_add_co_ci_u32_e32 v31, vcc_lo, s5, v31, vcc_lo
	v_cmp_nlt_f32_e32 vcc_lo, 0x42b17218, v34
	v_cndmask_b32_e32 v14, 0x7f800000, v10, vcc_lo
	v_add_co_u32 v32, vcc_lo, s6, v32
	v_add_co_ci_u32_e32 v33, vcc_lo, s7, v33, vcc_lo
	global_store_b32 v[30:31], v12, off
	global_store_b32 v[28:29], v14, off
	global_store_b32 v[32:33], v15, off
.LBB74_9:
	s_or_b32 exec_lo, exec_lo, s1
	v_ashrrev_i32_e32 v12, 31, v8
	s_mov_b32 s0, exec_lo
	s_delay_alu instid0(VALU_DEP_1) | instskip(NEXT) | instid1(VALU_DEP_1)
	v_lshrrev_b32_e32 v10, 29, v12
	v_add_nc_u32_e32 v10, v8, v10
	s_delay_alu instid0(VALU_DEP_1) | instskip(NEXT) | instid1(VALU_DEP_1)
	v_ashrrev_i32_e32 v10, 3, v10
	v_lshrrev_b32_e32 v28, 28, v10
	s_delay_alu instid0(VALU_DEP_1) | instskip(NEXT) | instid1(VALU_DEP_1)
	v_add_nc_u32_e32 v28, v10, v28
	v_and_b32_e32 v28, -16, v28
	s_delay_alu instid0(VALU_DEP_1) | instskip(NEXT) | instid1(VALU_DEP_1)
	v_sub_nc_u32_e32 v28, v10, v28
	v_cmpx_eq_u32_e64 v17, v28
	s_cbranch_execz .LBB74_11
; %bb.10:
	v_lshrrev_b32_e32 v12, 25, v12
	v_lshlrev_b32_e32 v10, 3, v10
	s_delay_alu instid0(VALU_DEP_2) | instskip(NEXT) | instid1(VALU_DEP_2)
	v_add_nc_u32_e32 v12, v8, v12
	v_sub_nc_u32_e32 v8, v8, v10
	s_delay_alu instid0(VALU_DEP_2) | instskip(NEXT) | instid1(VALU_DEP_1)
	v_ashrrev_i32_e32 v10, 7, v12
	v_lshl_add_u32 v8, v10, 3, v8
	s_delay_alu instid0(VALU_DEP_1)
	v_cmp_ne_u32_e32 vcc_lo, 7, v8
	v_cndmask_b32_e32 v3, 0xff800000, v3, vcc_lo
	v_cmp_ne_u32_e32 vcc_lo, 6, v8
	v_cndmask_b32_e32 v2, 0xff800000, v2, vcc_lo
	;; [unrolled: 2-line block ×8, first 2 shown]
.LBB74_11:
	s_or_b32 exec_lo, exec_lo, s0
	s_cmp_eq_u32 s8, 1
	s_cbranch_scc1 .LBB74_18
; %bb.12:
	s_add_i32 s18, s18, s16
	v_add_nc_u32_e32 v8, 1, v13
	v_add3_u32 v26, s18, v27, v26
	v_add_nc_u32_e32 v10, 1, v11
	v_add_nc_u32_e32 v12, 1, v9
	s_add_i32 s3, s8, -1
	s_branch .LBB74_14
.LBB74_13:                              ;   in Loop: Header=BB74_14 Depth=1
	s_or_b32 exec_lo, exec_lo, s0
	v_add_nc_u32_e32 v26, s16, v26
	v_add_nc_u32_e32 v8, 1, v8
	;; [unrolled: 1-line block ×4, first 2 shown]
	s_add_i32 s3, s3, -1
	s_delay_alu instid0(SALU_CYCLE_1)
	s_cmp_eq_u32 s3, 0
	s_cbranch_scc1 .LBB74_18
.LBB74_14:                              ; =>This Inner Loop Header: Depth=1
	v_cmp_gt_f32_e32 vcc_lo, v5, v4
	v_cndmask_b32_e32 v11, v4, v5, vcc_lo
	v_cndmask_b32_e32 v9, v18, v19, vcc_lo
	s_delay_alu instid0(VALU_DEP_2) | instskip(SKIP_1) | instid1(VALU_DEP_3)
	v_cmp_gt_f32_e32 vcc_lo, v6, v11
	v_cndmask_b32_e32 v11, v11, v6, vcc_lo
	v_cndmask_b32_e32 v9, v9, v20, vcc_lo
	s_delay_alu instid0(VALU_DEP_2) | instskip(SKIP_1) | instid1(VALU_DEP_3)
	;; [unrolled: 4-line block ×5, first 2 shown]
	v_cmp_gt_f32_e32 vcc_lo, v2, v11
	v_cndmask_b32_e32 v11, v11, v2, vcc_lo
	v_cndmask_b32_e32 v9, v9, v24, vcc_lo
	s_delay_alu instid0(VALU_DEP_2) | instskip(NEXT) | instid1(VALU_DEP_2)
	v_cmp_gt_f32_e32 vcc_lo, v3, v11
	v_cndmask_b32_e32 v9, v9, v25, vcc_lo
	v_cndmask_b32_e32 v11, v11, v3, vcc_lo
	s_delay_alu instid0(VALU_DEP_2) | instskip(NEXT) | instid1(VALU_DEP_2)
	v_mov_b32_dpp v13, v9 quad_perm:[1,0,3,2] row_mask:0xf bank_mask:0xf
	v_mov_b32_dpp v27, v11 quad_perm:[1,0,3,2] row_mask:0xf bank_mask:0xf
	s_delay_alu instid0(VALU_DEP_2) | instskip(NEXT) | instid1(VALU_DEP_2)
	v_cmp_lt_i32_e32 vcc_lo, v13, v9
	v_cmp_eq_f32_e64 s0, v11, v27
	v_cmp_lt_f32_e64 s1, v11, v27
	s_delay_alu instid0(VALU_DEP_2)
	s_and_b32 s0, s0, vcc_lo
	s_delay_alu instid0(VALU_DEP_1) | instid1(SALU_CYCLE_1)
	s_or_b32 vcc_lo, s1, s0
	v_cndmask_b32_e32 v11, v11, v27, vcc_lo
	v_cndmask_b32_e32 v9, v9, v13, vcc_lo
	s_delay_alu instid0(VALU_DEP_2) | instskip(NEXT) | instid1(VALU_DEP_2)
	v_mov_b32_dpp v13, v11 quad_perm:[2,3,0,1] row_mask:0xf bank_mask:0xf
	v_mov_b32_dpp v27, v9 quad_perm:[2,3,0,1] row_mask:0xf bank_mask:0xf
	s_delay_alu instid0(VALU_DEP_2) | instskip(NEXT) | instid1(VALU_DEP_2)
	v_cmp_eq_f32_e32 vcc_lo, v11, v13
	v_cmp_lt_i32_e64 s0, v27, v9
	v_cmp_lt_f32_e64 s1, v11, v13
	s_delay_alu instid0(VALU_DEP_2)
	s_and_b32 s0, vcc_lo, s0
	s_delay_alu instid0(VALU_DEP_1) | instid1(SALU_CYCLE_1)
	s_or_b32 vcc_lo, s1, s0
	v_cndmask_b32_e32 v11, v11, v13, vcc_lo
	v_cndmask_b32_e32 v13, v9, v27, vcc_lo
	s_delay_alu instid0(VALU_DEP_2) | instskip(NEXT) | instid1(VALU_DEP_2)
	v_mov_b32_dpp v9, v11 row_half_mirror row_mask:0xf bank_mask:0xf
	v_mov_b32_dpp v27, v13 row_half_mirror row_mask:0xf bank_mask:0xf
	s_delay_alu instid0(VALU_DEP_2) | instskip(NEXT) | instid1(VALU_DEP_2)
	v_cmp_eq_f32_e32 vcc_lo, v11, v9
	v_cmp_lt_i32_e64 s0, v27, v13
	v_cmp_lt_f32_e64 s1, v11, v9
	s_delay_alu instid0(VALU_DEP_2)
	s_and_b32 s0, vcc_lo, s0
	s_delay_alu instid0(VALU_DEP_1) | instid1(SALU_CYCLE_1)
	s_or_b32 vcc_lo, s1, s0
	v_cndmask_b32_e32 v9, v11, v9, vcc_lo
	v_cndmask_b32_e32 v13, v13, v27, vcc_lo
	s_delay_alu instid0(VALU_DEP_2) | instskip(NEXT) | instid1(VALU_DEP_2)
	v_mov_b32_dpp v11, v9 row_mirror row_mask:0xf bank_mask:0xf
	v_mov_b32_dpp v27, v13 row_mirror row_mask:0xf bank_mask:0xf
	s_delay_alu instid0(VALU_DEP_2) | instskip(NEXT) | instid1(VALU_DEP_2)
	v_cmp_eq_f32_e32 vcc_lo, v9, v11
	v_cmp_lt_i32_e64 s0, v27, v13
	v_cmp_lt_f32_e64 s1, v9, v11
	s_delay_alu instid0(VALU_DEP_2)
	s_and_b32 s0, vcc_lo, s0
	s_delay_alu instid0(VALU_DEP_1) | instid1(SALU_CYCLE_1)
	s_or_b32 vcc_lo, s1, s0
	v_cndmask_b32_e32 v27, v13, v27, vcc_lo
	s_and_saveexec_b32 s1, s2
	s_cbranch_execz .LBB74_16
; %bb.15:                               ;   in Loop: Header=BB74_14 Depth=1
	v_cndmask_b32_e32 v9, v9, v11, vcc_lo
	s_delay_alu instid0(VALU_DEP_2) | instskip(SKIP_3) | instid1(VALU_DEP_3)
	v_cmp_le_i32_e32 vcc_lo, s9, v27
	v_cmp_gt_i32_e64 s0, s10, v27
	v_subrev_nc_u32_e32 v35, s9, v27
	v_ashrrev_i32_e32 v13, 31, v12
	s_and_b32 s0, vcc_lo, s0
	s_delay_alu instid0(SALU_CYCLE_1) | instskip(SKIP_1) | instid1(VALU_DEP_1)
	s_and_b32 vcc_lo, s17, s0
	v_sub_f32_e32 v34, v9, v16
	v_mul_f32_e32 v9, 0x3fb8aa3b, v34
	s_delay_alu instid0(VALU_DEP_1) | instskip(SKIP_1) | instid1(VALU_DEP_2)
	v_fma_f32 v11, 0x3fb8aa3b, v34, -v9
	v_rndne_f32_e32 v28, v9
	v_fmac_f32_e32 v11, 0x32a5705f, v34
	s_delay_alu instid0(VALU_DEP_2) | instskip(SKIP_2) | instid1(VALU_DEP_3)
	v_sub_f32_e32 v9, v9, v28
	v_cvt_i32_f32_e32 v33, v28
	v_lshlrev_b64 v[28:29], 2, v[12:13]
	v_add_f32_e32 v9, v9, v11
	v_ashrrev_i32_e32 v11, 31, v10
	s_delay_alu instid0(VALU_DEP_2) | instskip(SKIP_1) | instid1(VALU_DEP_2)
	v_exp_f32_e32 v32, v9
	v_ashrrev_i32_e32 v9, 31, v8
	v_lshlrev_b64 v[30:31], 2, v[10:11]
	s_waitcnt_depctr 0xfff
	v_ldexp_f32 v11, v32, v33
	v_lshlrev_b64 v[32:33], 2, v[8:9]
	v_cndmask_b32_e32 v9, 0x80, v35, vcc_lo
	v_cmp_ngt_f32_e32 vcc_lo, 0xc2ce8ed0, v34
	s_delay_alu instid0(VALU_DEP_4) | instskip(SKIP_3) | instid1(VALU_DEP_4)
	v_cndmask_b32_e32 v11, 0, v11, vcc_lo
	v_add_co_u32 v28, vcc_lo, s12, v28
	v_add_co_ci_u32_e32 v29, vcc_lo, s13, v29, vcc_lo
	v_cmp_nlt_f32_e32 vcc_lo, 0x42b17218, v34
	v_cndmask_b32_e32 v11, 0x7f800000, v11, vcc_lo
	s_waitcnt lgkmcnt(0)
	v_add_co_u32 v30, vcc_lo, s4, v30
	v_add_co_ci_u32_e32 v31, vcc_lo, s5, v31, vcc_lo
	s_delay_alu instid0(VALU_DEP_3)
	v_add_f32_e32 v14, v14, v11
	v_add_co_u32 v32, vcc_lo, s6, v32
	v_add_co_ci_u32_e32 v33, vcc_lo, s7, v33, vcc_lo
	global_store_b32 v[28:29], v11, off
	global_store_b32 v[30:31], v9, off
	;; [unrolled: 1-line block ×3, first 2 shown]
.LBB74_16:                              ;   in Loop: Header=BB74_14 Depth=1
	s_or_b32 exec_lo, exec_lo, s1
	s_delay_alu instid0(VALU_DEP_1) | instskip(SKIP_1) | instid1(VALU_DEP_1)
	v_ashrrev_i32_e32 v11, 31, v27
	s_mov_b32 s0, exec_lo
	v_lshrrev_b32_e32 v9, 29, v11
	s_delay_alu instid0(VALU_DEP_1) | instskip(NEXT) | instid1(VALU_DEP_1)
	v_add_nc_u32_e32 v9, v27, v9
	v_ashrrev_i32_e32 v9, 3, v9
	s_delay_alu instid0(VALU_DEP_1) | instskip(NEXT) | instid1(VALU_DEP_1)
	v_lshrrev_b32_e32 v13, 28, v9
	v_add_nc_u32_e32 v13, v9, v13
	s_delay_alu instid0(VALU_DEP_1) | instskip(NEXT) | instid1(VALU_DEP_1)
	v_and_b32_e32 v13, -16, v13
	v_sub_nc_u32_e32 v13, v9, v13
	s_delay_alu instid0(VALU_DEP_1)
	v_cmpx_eq_u32_e64 v17, v13
	s_cbranch_execz .LBB74_13
; %bb.17:                               ;   in Loop: Header=BB74_14 Depth=1
	v_lshrrev_b32_e32 v11, 25, v11
	v_lshlrev_b32_e32 v9, 3, v9
	s_delay_alu instid0(VALU_DEP_2) | instskip(NEXT) | instid1(VALU_DEP_2)
	v_add_nc_u32_e32 v11, v27, v11
	v_sub_nc_u32_e32 v9, v27, v9
	s_delay_alu instid0(VALU_DEP_2) | instskip(NEXT) | instid1(VALU_DEP_1)
	v_ashrrev_i32_e32 v11, 7, v11
	v_lshl_add_u32 v9, v11, 3, v9
	s_delay_alu instid0(VALU_DEP_1)
	v_cmp_ne_u32_e32 vcc_lo, 7, v9
	v_cndmask_b32_e32 v3, 0xff800000, v3, vcc_lo
	v_cmp_ne_u32_e32 vcc_lo, 6, v9
	v_cndmask_b32_e32 v2, 0xff800000, v2, vcc_lo
	;; [unrolled: 2-line block ×8, first 2 shown]
	s_branch .LBB74_13
.LBB74_18:
	s_delay_alu instid0(VALU_DEP_1)
	v_sub_f32_e32 v7, v7, v16
	v_sub_f32_e32 v6, v6, v16
	;; [unrolled: 1-line block ×5, first 2 shown]
	v_mul_f32_e32 v11, 0x3fb8aa3b, v7
	v_dual_sub_f32 v5, v5, v16 :: v_dual_mul_f32 v10, 0x3fb8aa3b, v6
	v_sub_f32_e32 v4, v4, v16
	s_delay_alu instid0(VALU_DEP_3) | instskip(NEXT) | instid1(VALU_DEP_3)
	v_rndne_f32_e32 v22, v11
	v_mul_f32_e32 v9, 0x3fb8aa3b, v5
	s_delay_alu instid0(VALU_DEP_4) | instskip(SKIP_2) | instid1(VALU_DEP_4)
	v_fma_f32 v19, 0x3fb8aa3b, v6, -v10
	v_rndne_f32_e32 v20, v10
	v_cmp_ngt_f32_e32 vcc_lo, 0xc2ce8ed0, v4
	v_rndne_f32_e32 v18, v9
	v_mul_f32_e32 v8, 0x3fb8aa3b, v4
	v_fma_f32 v17, 0x3fb8aa3b, v5, -v9
	v_dual_fmac_f32 v19, 0x32a5705f, v6 :: v_dual_sub_f32 v10, v10, v20
	s_delay_alu instid0(VALU_DEP_4) | instskip(NEXT) | instid1(VALU_DEP_4)
	v_sub_f32_e32 v9, v9, v18
	v_fma_f32 v12, 0x3fb8aa3b, v4, -v8
	v_rndne_f32_e32 v13, v8
	s_delay_alu instid0(VALU_DEP_4) | instskip(NEXT) | instid1(VALU_DEP_3)
	v_dual_fmac_f32 v17, 0x32a5705f, v5 :: v_dual_add_f32 v10, v10, v19
	v_fmac_f32_e32 v12, 0x32a5705f, v4
	s_delay_alu instid0(VALU_DEP_3) | instskip(NEXT) | instid1(VALU_DEP_3)
	v_sub_f32_e32 v8, v8, v13
	v_add_f32_e32 v9, v9, v17
	v_fma_f32 v21, 0x3fb8aa3b, v7, -v11
	v_sub_f32_e32 v11, v11, v22
	v_exp_f32_e32 v10, v10
	v_add_f32_e32 v8, v8, v12
	v_exp_f32_e32 v9, v9
	v_cvt_i32_f32_e32 v12, v13
	v_cvt_i32_f32_e32 v13, v18
	s_delay_alu instid0(VALU_DEP_3)
	v_exp_f32_e32 v8, v8
	s_waitcnt_depctr 0xfff
	v_ldexp_f32 v9, v9, v13
	v_mul_f32_e32 v13, 0x3fb8aa3b, v3
	v_ldexp_f32 v8, v8, v12
	v_fmac_f32_e32 v21, 0x32a5705f, v7
	v_cvt_i32_f32_e32 v12, v20
	s_delay_alu instid0(VALU_DEP_3) | instskip(SKIP_1) | instid1(VALU_DEP_3)
	v_cndmask_b32_e32 v8, 0, v8, vcc_lo
	v_cmp_ngt_f32_e32 vcc_lo, 0xc2ce8ed0, v5
	v_ldexp_f32 v10, v10, v12
	v_cndmask_b32_e32 v9, 0, v9, vcc_lo
	v_cmp_nlt_f32_e32 vcc_lo, 0x42b17218, v4
	v_dual_add_f32 v11, v11, v21 :: v_dual_cndmask_b32 v4, 0x7f800000, v8
	v_cmp_nlt_f32_e32 vcc_lo, 0x42b17218, v5
	s_delay_alu instid0(VALU_DEP_2)
	v_exp_f32_e32 v11, v11
	v_cndmask_b32_e32 v5, 0x7f800000, v9, vcc_lo
	v_cmp_ngt_f32_e32 vcc_lo, 0xc2ce8ed0, v6
	v_cvt_i32_f32_e32 v9, v22
	v_cndmask_b32_e32 v8, 0, v10, vcc_lo
	v_cmp_nlt_f32_e32 vcc_lo, 0x42b17218, v6
	v_add_f32_e32 v4, v4, v5
	v_mul_f32_e32 v6, 0x3fb8aa3b, v0
	s_delay_alu instid0(VALU_DEP_4) | instskip(NEXT) | instid1(TRANS32_DEP_1)
	v_cndmask_b32_e32 v5, 0x7f800000, v8, vcc_lo
	v_ldexp_f32 v8, v11, v9
	s_delay_alu instid0(VALU_DEP_3) | instskip(SKIP_1) | instid1(VALU_DEP_4)
	v_rndne_f32_e32 v9, v6
	v_cmp_ngt_f32_e32 vcc_lo, 0xc2ce8ed0, v7
	v_add_f32_e32 v4, v4, v5
	v_fma_f32 v5, 0x3fb8aa3b, v0, -v6
	s_delay_alu instid0(VALU_DEP_4) | instskip(SKIP_1) | instid1(VALU_DEP_3)
	v_sub_f32_e32 v6, v6, v9
	v_cvt_i32_f32_e32 v9, v9
	v_fmac_f32_e32 v5, 0x32a5705f, v0
	v_cndmask_b32_e32 v8, 0, v8, vcc_lo
	v_cmp_nlt_f32_e32 vcc_lo, 0x42b17218, v7
	s_delay_alu instid0(VALU_DEP_3) | instskip(NEXT) | instid1(VALU_DEP_3)
	v_add_f32_e32 v5, v6, v5
	v_cndmask_b32_e32 v7, 0x7f800000, v8, vcc_lo
	v_cmp_ngt_f32_e32 vcc_lo, 0xc2ce8ed0, v0
	s_delay_alu instid0(VALU_DEP_3)
	v_exp_f32_e32 v5, v5
	s_waitcnt_depctr 0xfff
	v_ldexp_f32 v5, v5, v9
	v_sub_f32_e32 v2, v2, v16
	v_rndne_f32_e32 v16, v13
	v_mul_f32_e32 v8, 0x3fb8aa3b, v1
	s_delay_alu instid0(VALU_DEP_3) | instskip(NEXT) | instid1(VALU_DEP_3)
	v_dual_cndmask_b32 v5, 0, v5 :: v_dual_mul_f32 v10, 0x3fb8aa3b, v2
	v_sub_f32_e32 v9, v13, v16
	s_delay_alu instid0(VALU_DEP_3) | instskip(SKIP_1) | instid1(VALU_DEP_4)
	v_fma_f32 v6, 0x3fb8aa3b, v1, -v8
	v_cmp_nlt_f32_e32 vcc_lo, 0x42b17218, v0
	v_fma_f32 v11, 0x3fb8aa3b, v2, -v10
	v_add_f32_e32 v4, v4, v7
	v_rndne_f32_e32 v7, v8
	v_fmac_f32_e32 v6, 0x32a5705f, v1
	v_rndne_f32_e32 v12, v10
	v_fmac_f32_e32 v11, 0x32a5705f, v2
	v_cndmask_b32_e32 v0, 0x7f800000, v5, vcc_lo
	v_sub_f32_e32 v8, v8, v7
	v_cvt_i32_f32_e32 v7, v7
	v_cmp_ngt_f32_e32 vcc_lo, 0xc2ce8ed0, v1
	v_cvt_i32_f32_e32 v5, v12
	v_add_f32_e32 v0, v4, v0
	v_add_f32_e32 v6, v8, v6
	s_delay_alu instid0(VALU_DEP_1) | instskip(SKIP_2) | instid1(VALU_DEP_1)
	v_exp_f32_e32 v6, v6
	s_waitcnt_depctr 0xfff
	v_ldexp_f32 v6, v6, v7
	v_cndmask_b32_e32 v6, 0, v6, vcc_lo
	v_cmp_nlt_f32_e32 vcc_lo, 0x42b17218, v1
	v_sub_f32_e32 v8, v10, v12
	v_fma_f32 v10, 0x3fb8aa3b, v3, -v13
	s_delay_alu instid0(VALU_DEP_2) | instskip(NEXT) | instid1(VALU_DEP_2)
	v_dual_cndmask_b32 v1, 0x7f800000, v6 :: v_dual_add_f32 v8, v8, v11
	v_fmac_f32_e32 v10, 0x32a5705f, v3
	v_cmp_ngt_f32_e32 vcc_lo, 0xc2ce8ed0, v2
	s_delay_alu instid0(VALU_DEP_3) | instskip(NEXT) | instid1(VALU_DEP_4)
	v_add_f32_e32 v0, v0, v1
	v_exp_f32_e32 v8, v8
	s_delay_alu instid0(VALU_DEP_3) | instskip(NEXT) | instid1(VALU_DEP_1)
	v_add_f32_e32 v9, v9, v10
	v_exp_f32_e32 v7, v9
	s_waitcnt_depctr 0xfff
	v_ldexp_f32 v4, v8, v5
	v_cvt_i32_f32_e32 v5, v16
	s_delay_alu instid0(VALU_DEP_2) | instskip(SKIP_1) | instid1(VALU_DEP_3)
	v_cndmask_b32_e32 v4, 0, v4, vcc_lo
	v_cmp_nlt_f32_e32 vcc_lo, 0x42b17218, v2
	v_ldexp_f32 v5, v7, v5
	s_delay_alu instid0(VALU_DEP_3) | instskip(SKIP_1) | instid1(VALU_DEP_2)
	v_cndmask_b32_e32 v1, 0x7f800000, v4, vcc_lo
	v_cmp_ngt_f32_e32 vcc_lo, 0xc2ce8ed0, v3
	v_add_f32_e32 v0, v0, v1
	s_delay_alu instid0(VALU_DEP_4) | instskip(SKIP_1) | instid1(VALU_DEP_2)
	v_cndmask_b32_e32 v2, 0, v5, vcc_lo
	v_cmp_nlt_f32_e32 vcc_lo, 0x42b17218, v3
	v_cndmask_b32_e32 v1, 0x7f800000, v2, vcc_lo
	s_delay_alu instid0(VALU_DEP_1) | instskip(NEXT) | instid1(VALU_DEP_1)
	v_add_f32_e32 v0, v0, v1
	v_mov_b32_dpp v1, v0 quad_perm:[1,0,3,2] row_mask:0xf bank_mask:0xf
	s_delay_alu instid0(VALU_DEP_1) | instskip(NEXT) | instid1(VALU_DEP_1)
	v_add_f32_e32 v0, v0, v1
	v_mov_b32_dpp v1, v0 quad_perm:[2,3,0,1] row_mask:0xf bank_mask:0xf
	s_delay_alu instid0(VALU_DEP_1) | instskip(NEXT) | instid1(VALU_DEP_1)
	v_add_f32_e32 v0, v0, v1
	v_mov_b32_dpp v1, v0 row_half_mirror row_mask:0xf bank_mask:0xf
	s_delay_alu instid0(VALU_DEP_1) | instskip(NEXT) | instid1(VALU_DEP_1)
	v_add_f32_e32 v0, v0, v1
	v_mov_b32_dpp v1, v0 row_mirror row_mask:0xf bank_mask:0xf
	s_and_b32 exec_lo, exec_lo, s2
	s_cbranch_execz .LBB74_23
; %bb.19:
	s_delay_alu instid0(VALU_DEP_1) | instskip(NEXT) | instid1(VALU_DEP_1)
	v_add_f32_e32 v0, v0, v1
	v_add_f32_e32 v0, v14, v0
	s_delay_alu instid0(VALU_DEP_1)
	v_cmp_neq_f32_e32 vcc_lo, 0, v0
	s_and_b32 exec_lo, exec_lo, vcc_lo
	s_cbranch_execz .LBB74_23
; %bb.20:
	s_and_not1_b32 vcc_lo, exec_lo, s15
	s_cbranch_vccnz .LBB74_23
; %bb.21:
	v_div_scale_f32 v2, null, v0, v0, 1.0
	v_div_scale_f32 v4, vcc_lo, 1.0, v0, 1.0
	s_delay_alu instid0(VALU_DEP_2) | instskip(SKIP_2) | instid1(VALU_DEP_1)
	v_rcp_f32_e32 v3, v2
	s_waitcnt_depctr 0xfff
	v_fma_f32 v1, -v2, v3, 1.0
	v_fmac_f32_e32 v3, v1, v3
	v_mul_lo_u32 v1, v15, s11
	s_delay_alu instid0(VALU_DEP_2) | instskip(NEXT) | instid1(VALU_DEP_1)
	v_mul_f32_e32 v5, v4, v3
	v_fma_f32 v6, -v2, v5, v4
	s_delay_alu instid0(VALU_DEP_1) | instskip(NEXT) | instid1(VALU_DEP_1)
	v_fmac_f32_e32 v5, v6, v3
	v_fma_f32 v4, -v2, v5, v4
	v_ashrrev_i32_e32 v2, 31, v1
	s_delay_alu instid0(VALU_DEP_2) | instskip(NEXT) | instid1(VALU_DEP_2)
	v_div_fmas_f32 v5, v4, v3, v5
	v_lshlrev_b64 v[3:4], 2, v[1:2]
	s_delay_alu instid0(VALU_DEP_2) | instskip(NEXT) | instid1(VALU_DEP_2)
	v_div_fixup_f32 v2, v5, v0, 1.0
	v_add_co_u32 v0, vcc_lo, s12, v3
	s_delay_alu instid0(VALU_DEP_3)
	v_add_co_ci_u32_e32 v1, vcc_lo, s13, v4, vcc_lo
.LBB74_22:                              ; =>This Inner Loop Header: Depth=1
	global_load_b32 v3, v[0:1], off
	s_add_i32 s8, s8, -1
	s_delay_alu instid0(SALU_CYCLE_1)
	s_cmp_lg_u32 s8, 0
	s_waitcnt vmcnt(0)
	v_mul_f32_e32 v3, v2, v3
	global_store_b32 v[0:1], v3, off
	v_add_co_u32 v0, vcc_lo, v0, 4
	v_add_co_ci_u32_e32 v1, vcc_lo, 0, v1, vcc_lo
	s_cbranch_scc1 .LBB74_22
.LBB74_23:
	s_nop 0
	s_sendmsg sendmsg(MSG_DEALLOC_VGPRS)
	s_endpgm
	.section	.rodata,"a",@progbits
	.p2align	6, 0x0
	.amdhsa_kernel _ZN4vllm3moe17topkGatingSoftmaxIfLi8ELi128ELi8ELi32ELb0ELi1ELNS0_23SharedExpertScoringFuncE1EEEvPKT_PKbPfiPiS9_iiiiii
		.amdhsa_group_segment_fixed_size 0
		.amdhsa_private_segment_fixed_size 0
		.amdhsa_kernarg_size 72
		.amdhsa_user_sgpr_count 15
		.amdhsa_user_sgpr_dispatch_ptr 0
		.amdhsa_user_sgpr_queue_ptr 0
		.amdhsa_user_sgpr_kernarg_segment_ptr 1
		.amdhsa_user_sgpr_dispatch_id 0
		.amdhsa_user_sgpr_private_segment_size 0
		.amdhsa_wavefront_size32 1
		.amdhsa_uses_dynamic_stack 0
		.amdhsa_enable_private_segment 0
		.amdhsa_system_sgpr_workgroup_id_x 1
		.amdhsa_system_sgpr_workgroup_id_y 0
		.amdhsa_system_sgpr_workgroup_id_z 0
		.amdhsa_system_sgpr_workgroup_info 0
		.amdhsa_system_vgpr_workitem_id 1
		.amdhsa_next_free_vgpr 37
		.amdhsa_next_free_sgpr 19
		.amdhsa_reserve_vcc 1
		.amdhsa_float_round_mode_32 0
		.amdhsa_float_round_mode_16_64 0
		.amdhsa_float_denorm_mode_32 3
		.amdhsa_float_denorm_mode_16_64 3
		.amdhsa_dx10_clamp 1
		.amdhsa_ieee_mode 1
		.amdhsa_fp16_overflow 0
		.amdhsa_workgroup_processor_mode 1
		.amdhsa_memory_ordered 1
		.amdhsa_forward_progress 0
		.amdhsa_shared_vgpr_count 0
		.amdhsa_exception_fp_ieee_invalid_op 0
		.amdhsa_exception_fp_denorm_src 0
		.amdhsa_exception_fp_ieee_div_zero 0
		.amdhsa_exception_fp_ieee_overflow 0
		.amdhsa_exception_fp_ieee_underflow 0
		.amdhsa_exception_fp_ieee_inexact 0
		.amdhsa_exception_int_div_zero 0
	.end_amdhsa_kernel
	.section	.text._ZN4vllm3moe17topkGatingSoftmaxIfLi8ELi128ELi8ELi32ELb0ELi1ELNS0_23SharedExpertScoringFuncE1EEEvPKT_PKbPfiPiS9_iiiiii,"axG",@progbits,_ZN4vllm3moe17topkGatingSoftmaxIfLi8ELi128ELi8ELi32ELb0ELi1ELNS0_23SharedExpertScoringFuncE1EEEvPKT_PKbPfiPiS9_iiiiii,comdat
.Lfunc_end74:
	.size	_ZN4vllm3moe17topkGatingSoftmaxIfLi8ELi128ELi8ELi32ELb0ELi1ELNS0_23SharedExpertScoringFuncE1EEEvPKT_PKbPfiPiS9_iiiiii, .Lfunc_end74-_ZN4vllm3moe17topkGatingSoftmaxIfLi8ELi128ELi8ELi32ELb0ELi1ELNS0_23SharedExpertScoringFuncE1EEEvPKT_PKbPfiPiS9_iiiiii
                                        ; -- End function
	.section	.AMDGPU.csdata,"",@progbits
; Kernel info:
; codeLenInByte = 3572
; NumSgprs: 21
; NumVgprs: 37
; ScratchSize: 0
; MemoryBound: 0
; FloatMode: 240
; IeeeMode: 1
; LDSByteSize: 0 bytes/workgroup (compile time only)
; SGPRBlocks: 2
; VGPRBlocks: 4
; NumSGPRsForWavesPerEU: 21
; NumVGPRsForWavesPerEU: 37
; Occupancy: 16
; WaveLimiterHint : 0
; COMPUTE_PGM_RSRC2:SCRATCH_EN: 0
; COMPUTE_PGM_RSRC2:USER_SGPR: 15
; COMPUTE_PGM_RSRC2:TRAP_HANDLER: 0
; COMPUTE_PGM_RSRC2:TGID_X_EN: 1
; COMPUTE_PGM_RSRC2:TGID_Y_EN: 0
; COMPUTE_PGM_RSRC2:TGID_Z_EN: 0
; COMPUTE_PGM_RSRC2:TIDIG_COMP_CNT: 1
	.section	.text._ZN4vllm3moe17topkGatingSoftmaxIfLi8ELi128ELi8ELi32ELb1ELi2ELNS0_23SharedExpertScoringFuncE1EEEvPKT_PKbPfiPiS9_iiiiii,"axG",@progbits,_ZN4vllm3moe17topkGatingSoftmaxIfLi8ELi128ELi8ELi32ELb1ELi2ELNS0_23SharedExpertScoringFuncE1EEEvPKT_PKbPfiPiS9_iiiiii,comdat
	.protected	_ZN4vllm3moe17topkGatingSoftmaxIfLi8ELi128ELi8ELi32ELb1ELi2ELNS0_23SharedExpertScoringFuncE1EEEvPKT_PKbPfiPiS9_iiiiii ; -- Begin function _ZN4vllm3moe17topkGatingSoftmaxIfLi8ELi128ELi8ELi32ELb1ELi2ELNS0_23SharedExpertScoringFuncE1EEEvPKT_PKbPfiPiS9_iiiiii
	.globl	_ZN4vllm3moe17topkGatingSoftmaxIfLi8ELi128ELi8ELi32ELb1ELi2ELNS0_23SharedExpertScoringFuncE1EEEvPKT_PKbPfiPiS9_iiiiii
	.p2align	8
	.type	_ZN4vllm3moe17topkGatingSoftmaxIfLi8ELi128ELi8ELi32ELb1ELi2ELNS0_23SharedExpertScoringFuncE1EEEvPKT_PKbPfiPiS9_iiiiii,@function
_ZN4vllm3moe17topkGatingSoftmaxIfLi8ELi128ELi8ELi32ELb1ELi2ELNS0_23SharedExpertScoringFuncE1EEEvPKT_PKbPfiPiS9_iiiiii: ; @_ZN4vllm3moe17topkGatingSoftmaxIfLi8ELi128ELi8ELi32ELb1ELi2ELNS0_23SharedExpertScoringFuncE1EEEvPKT_PKbPfiPiS9_iiiiii
; %bb.0:
	s_load_b32 s16, s[0:1], 0x18
	v_bfe_u32 v1, v0, 10, 10
	v_and_b32_e32 v0, 0x3ff, v0
	s_lshl_b32 s18, s15, 4
	s_mov_b32 s2, exec_lo
	s_delay_alu instid0(VALU_DEP_2) | instskip(NEXT) | instid1(VALU_DEP_2)
	v_lshlrev_b32_e32 v25, 1, v1
	v_lshrrev_b32_e32 v26, 4, v0
	s_delay_alu instid0(VALU_DEP_1) | instskip(SKIP_1) | instid1(VALU_DEP_1)
	v_add3_u32 v15, s18, v25, v26
	s_waitcnt lgkmcnt(0)
	v_cmpx_gt_i32_e64 s16, v15
	s_cbranch_execz .LBB75_22
; %bb.1:
	s_clause 0x1
	s_load_b128 s[4:7], s[0:1], 0x0
	s_load_b64 s[12:13], s[0:1], 0x10
	s_waitcnt lgkmcnt(0)
	s_cmp_eq_u64 s[6:7], 0
	s_cbranch_scc1 .LBB75_3
; %bb.2:
	v_ashrrev_i32_e32 v2, 31, v15
	v_add_co_u32 v1, vcc_lo, s6, v15
	s_delay_alu instid0(VALU_DEP_2) | instskip(SKIP_3) | instid1(VALU_DEP_1)
	v_add_co_ci_u32_e32 v2, vcc_lo, s7, v2, vcc_lo
	global_load_u8 v1, v[1:2], off
	s_waitcnt vmcnt(0)
	v_and_b32_e32 v1, 1, v1
	v_cmp_eq_u32_e32 vcc_lo, 1, v1
	s_xor_b32 s2, vcc_lo, -1
	s_delay_alu instid0(SALU_CYCLE_1)
	s_or_not1_b32 s17, s2, exec_lo
	s_branch .LBB75_4
.LBB75_3:
	s_mov_b32 s17, -1
.LBB75_4:
	s_load_b64 s[14:15], s[0:1], 0x40
	v_and_b32_e32 v16, 15, v0
	s_mov_b32 s2, exec_lo
	s_delay_alu instid0(VALU_DEP_1) | instskip(SKIP_2) | instid1(VALU_DEP_1)
	v_dual_mov_b32 v14, 0 :: v_dual_lshlrev_b32 v17, 3, v16
	s_waitcnt lgkmcnt(0)
	v_mul_lo_u32 v1, v15, s15
	v_ashrrev_i32_e32 v2, 31, v1
	s_delay_alu instid0(VALU_DEP_1) | instskip(SKIP_1) | instid1(VALU_DEP_2)
	v_lshlrev_b64 v[0:1], 2, v[1:2]
	v_lshlrev_b32_e32 v2, 5, v16
	v_add_co_u32 v8, vcc_lo, s4, v0
	s_delay_alu instid0(VALU_DEP_3) | instskip(SKIP_1) | instid1(VALU_DEP_2)
	v_add_co_ci_u32_e32 v9, vcc_lo, s5, v1, vcc_lo
	s_load_b128 s[4:7], s[0:1], 0x30
	v_add_co_u32 v4, vcc_lo, v8, v2
	s_delay_alu instid0(VALU_DEP_2)
	v_add_co_ci_u32_e32 v5, vcc_lo, 0, v9, vcc_lo
	s_clause 0x1
	global_load_b128 v[0:3], v[4:5], off offset:16
	global_load_b128 v[4:7], v[4:5], off
	v_cmpx_gt_u32_e32 2, v16
	s_cbranch_execz .LBB75_6
; %bb.5:
	v_lshlrev_b32_e32 v10, 2, v16
	s_delay_alu instid0(VALU_DEP_1)
	v_add_co_u32 v8, vcc_lo, v8, v10
	v_add_co_ci_u32_e32 v9, vcc_lo, 0, v9, vcc_lo
	global_load_b32 v8, v[8:9], off offset:512
	s_waitcnt vmcnt(0)
	v_mul_f32_e32 v9, 0xbfb8aa3b, v8
	v_cmp_nlt_f32_e32 vcc_lo, 0x42ce8ed0, v8
	s_delay_alu instid0(VALU_DEP_2) | instskip(SKIP_1) | instid1(VALU_DEP_1)
	v_fma_f32 v10, 0xbfb8aa3b, v8, -v9
	v_rndne_f32_e32 v11, v9
	v_dual_fmamk_f32 v10, v8, 0xb2a5705f, v10 :: v_dual_sub_f32 v9, v9, v11
	s_delay_alu instid0(VALU_DEP_1) | instskip(SKIP_1) | instid1(VALU_DEP_2)
	v_add_f32_e32 v9, v9, v10
	v_cvt_i32_f32_e32 v10, v11
	v_exp_f32_e32 v9, v9
	s_waitcnt_depctr 0xfff
	v_ldexp_f32 v9, v9, v10
	s_delay_alu instid0(VALU_DEP_1) | instskip(SKIP_1) | instid1(VALU_DEP_2)
	v_cndmask_b32_e32 v9, 0, v9, vcc_lo
	v_cmp_ngt_f32_e32 vcc_lo, 0xc2b17218, v8
	v_cndmask_b32_e32 v8, 0x7f800000, v9, vcc_lo
	s_delay_alu instid0(VALU_DEP_1) | instskip(NEXT) | instid1(VALU_DEP_1)
	v_add_f32_e32 v10, 1.0, v8
	v_div_scale_f32 v9, null, v10, v10, 1.0
	v_div_scale_f32 v12, vcc_lo, 1.0, v10, 1.0
	s_delay_alu instid0(VALU_DEP_2) | instskip(SKIP_2) | instid1(VALU_DEP_1)
	v_rcp_f32_e32 v11, v9
	s_waitcnt_depctr 0xfff
	v_fma_f32 v8, -v9, v11, 1.0
	v_fmac_f32_e32 v11, v8, v11
	s_waitcnt lgkmcnt(0)
	v_mul_lo_u32 v8, v15, s7
	s_delay_alu instid0(VALU_DEP_2) | instskip(NEXT) | instid1(VALU_DEP_2)
	v_mul_f32_e32 v13, v12, v11
	v_add3_u32 v8, v8, s4, v16
	s_delay_alu instid0(VALU_DEP_2) | instskip(NEXT) | instid1(VALU_DEP_1)
	v_fma_f32 v18, -v9, v13, v12
	v_fmac_f32_e32 v13, v18, v11
	s_delay_alu instid0(VALU_DEP_1) | instskip(NEXT) | instid1(VALU_DEP_4)
	v_fma_f32 v12, -v9, v13, v12
	v_ashrrev_i32_e32 v9, 31, v8
	s_delay_alu instid0(VALU_DEP_2) | instskip(NEXT) | instid1(VALU_DEP_2)
	v_div_fmas_f32 v11, v12, v11, v13
	v_lshlrev_b64 v[8:9], 2, v[8:9]
	s_delay_alu instid0(VALU_DEP_2) | instskip(NEXT) | instid1(VALU_DEP_2)
	v_div_fixup_f32 v10, v11, v10, 1.0
	v_add_co_u32 v8, vcc_lo, s12, v8
	s_delay_alu instid0(VALU_DEP_3)
	v_add_co_ci_u32_e32 v9, vcc_lo, s13, v9, vcc_lo
	global_store_b32 v[8:9], v10, off
.LBB75_6:
	s_or_b32 exec_lo, exec_lo, s2
	v_or_b32_e32 v18, 1, v17
	s_waitcnt vmcnt(0)
	v_cmp_lt_f32_e32 vcc_lo, v4, v5
	v_or_b32_e32 v19, 2, v17
	v_or_b32_e32 v20, 3, v17
	;; [unrolled: 1-line block ×4, first 2 shown]
	v_dual_cndmask_b32 v8, v17, v18 :: v_dual_cndmask_b32 v9, v4, v5
	v_or_b32_e32 v23, 6, v17
	v_or_b32_e32 v24, 7, v17
	s_delay_alu instid0(VALU_DEP_3) | instskip(NEXT) | instid1(VALU_DEP_4)
	v_cmp_lt_f32_e32 vcc_lo, v9, v6
	v_dual_cndmask_b32 v8, v8, v19 :: v_dual_cndmask_b32 v9, v9, v6
	s_delay_alu instid0(VALU_DEP_1) | instskip(NEXT) | instid1(VALU_DEP_2)
	v_cmp_lt_f32_e32 vcc_lo, v9, v7
	v_dual_cndmask_b32 v8, v8, v20 :: v_dual_cndmask_b32 v9, v9, v7
	s_delay_alu instid0(VALU_DEP_1) | instskip(NEXT) | instid1(VALU_DEP_2)
	;; [unrolled: 3-line block ×6, first 2 shown]
	v_mov_b32_dpp v10, v8 quad_perm:[1,0,3,2] row_mask:0xf bank_mask:0xf
	v_mov_b32_dpp v11, v9 quad_perm:[1,0,3,2] row_mask:0xf bank_mask:0xf
	s_delay_alu instid0(VALU_DEP_2) | instskip(NEXT) | instid1(VALU_DEP_2)
	v_cmp_lt_i32_e32 vcc_lo, v10, v8
	v_cmp_eq_f32_e64 s2, v9, v11
	v_cmp_lt_f32_e64 s3, v9, v11
	s_delay_alu instid0(VALU_DEP_2)
	s_and_b32 s2, s2, vcc_lo
	s_delay_alu instid0(VALU_DEP_1) | instid1(SALU_CYCLE_1)
	s_or_b32 vcc_lo, s3, s2
	v_dual_cndmask_b32 v9, v9, v11 :: v_dual_cndmask_b32 v8, v8, v10
	s_delay_alu instid0(VALU_DEP_1) | instskip(NEXT) | instid1(VALU_DEP_2)
	v_mov_b32_dpp v10, v9 quad_perm:[2,3,0,1] row_mask:0xf bank_mask:0xf
	v_mov_b32_dpp v11, v8 quad_perm:[2,3,0,1] row_mask:0xf bank_mask:0xf
	s_delay_alu instid0(VALU_DEP_2) | instskip(NEXT) | instid1(VALU_DEP_2)
	v_cmp_eq_f32_e32 vcc_lo, v9, v10
	v_cmp_lt_i32_e64 s2, v11, v8
	v_cmp_lt_f32_e64 s3, v9, v10
	s_delay_alu instid0(VALU_DEP_2)
	s_and_b32 s2, vcc_lo, s2
	s_delay_alu instid0(VALU_DEP_1) | instid1(SALU_CYCLE_1)
	s_or_b32 vcc_lo, s3, s2
	v_dual_cndmask_b32 v9, v9, v10 :: v_dual_cndmask_b32 v8, v8, v11
	s_delay_alu instid0(VALU_DEP_1) | instskip(NEXT) | instid1(VALU_DEP_2)
	v_mov_b32_dpp v10, v9 row_half_mirror row_mask:0xf bank_mask:0xf
	v_mov_b32_dpp v11, v8 row_half_mirror row_mask:0xf bank_mask:0xf
	s_delay_alu instid0(VALU_DEP_2) | instskip(NEXT) | instid1(VALU_DEP_2)
	v_cmp_eq_f32_e32 vcc_lo, v9, v10
	v_cmp_lt_i32_e64 s2, v11, v8
	v_cmp_lt_f32_e64 s3, v9, v10
	s_delay_alu instid0(VALU_DEP_2)
	s_and_b32 s2, vcc_lo, s2
	s_delay_alu instid0(VALU_DEP_1) | instid1(SALU_CYCLE_1)
	s_or_b32 vcc_lo, s3, s2
	s_waitcnt lgkmcnt(0)
	s_cmp_gt_i32 s4, 0
	v_cndmask_b32_e32 v10, v9, v10, vcc_lo
	v_cndmask_b32_e32 v8, v8, v11, vcc_lo
	v_cmp_eq_u32_e32 vcc_lo, 0, v16
	s_cselect_b32 s3, -1, 0
	s_cmp_lt_i32 s4, 1
	v_mov_b32_dpp v12, v10 row_mirror row_mask:0xf bank_mask:0xf
	v_mov_b32_dpp v27, v8 row_mirror row_mask:0xf bank_mask:0xf
	s_cbranch_scc1 .LBB75_18
; %bb.7:
	s_load_b128 s[8:11], s[0:1], 0x20
	s_delay_alu instid0(VALU_DEP_2) | instskip(NEXT) | instid1(VALU_DEP_2)
	v_cmp_eq_f32_e64 s0, v10, v12
	v_cmp_lt_i32_e64 s1, v27, v8
	v_cmp_lt_f32_e64 s2, v10, v12
	v_mul_lo_u32 v9, v15, s7
	v_mul_lo_u32 v11, v15, s14
	;; [unrolled: 1-line block ×3, first 2 shown]
	s_and_b32 s0, s0, s1
	v_mov_b32_e32 v14, 0
	s_or_b32 s0, s2, s0
	s_delay_alu instid0(SALU_CYCLE_1)
	v_cndmask_b32_e64 v8, v8, v27, s0
	v_cndmask_b32_e64 v27, v10, v12, s0
	s_and_saveexec_b32 s2, vcc_lo
	s_cbranch_execz .LBB75_9
; %bb.8:
	s_delay_alu instid0(VALU_DEP_1)
	v_sub_f32_e32 v34, v27, v27
	v_cmp_le_i32_e64 s0, s5, v8
	v_cmp_gt_i32_e64 s1, s6, v8
	v_subrev_nc_u32_e32 v35, s5, v8
	v_ashrrev_i32_e32 v14, 31, v13
	v_mul_f32_e32 v10, 0x3fb8aa3b, v34
	s_delay_alu instid0(VALU_DEP_4) | instskip(NEXT) | instid1(SALU_CYCLE_1)
	s_and_b32 s0, s0, s1
	s_and_b32 s0, s17, s0
	s_delay_alu instid0(VALU_DEP_1) | instskip(SKIP_2) | instid1(VALU_DEP_3)
	v_rndne_f32_e32 v30, v10
	v_fma_f32 v12, 0x3fb8aa3b, v34, -v10
	v_lshlrev_b64 v[32:33], 2, v[13:14]
	v_sub_f32_e32 v10, v10, v30
	s_delay_alu instid0(VALU_DEP_3) | instskip(NEXT) | instid1(VALU_DEP_1)
	v_fmamk_f32 v12, v34, 0x32a5705f, v12
	v_add_f32_e32 v12, v10, v12
	v_ashrrev_i32_e32 v10, 31, v9
	s_delay_alu instid0(VALU_DEP_2) | instskip(NEXT) | instid1(VALU_DEP_1)
	v_exp_f32_e32 v36, v12
	v_lshlrev_b64 v[28:29], 2, v[9:10]
	v_ashrrev_i32_e32 v12, 31, v11
	v_cvt_i32_f32_e32 v10, v30
	s_delay_alu instid0(VALU_DEP_2) | instskip(SKIP_2) | instid1(VALU_DEP_1)
	v_lshlrev_b64 v[30:31], 2, v[11:12]
	v_cndmask_b32_e64 v12, 0x80, v35, s0
	v_add_co_u32 v28, s0, s12, v28
	v_add_co_ci_u32_e64 v29, s0, s13, v29, s0
	s_delay_alu instid0(TRANS32_DEP_1) | instskip(SKIP_1) | instid1(VALU_DEP_1)
	v_ldexp_f32 v10, v36, v10
	v_cmp_ngt_f32_e64 s0, 0xc2ce8ed0, v34
	v_cndmask_b32_e64 v10, 0, v10, s0
	s_waitcnt lgkmcnt(0)
	v_add_co_u32 v30, s0, s8, v30
	s_delay_alu instid0(VALU_DEP_1) | instskip(SKIP_1) | instid1(VALU_DEP_1)
	v_add_co_ci_u32_e64 v31, s0, s9, v31, s0
	v_cmp_nlt_f32_e64 s0, 0x42b17218, v34
	v_cndmask_b32_e64 v14, 0x7f800000, v10, s0
	v_add_co_u32 v32, s0, s10, v32
	s_delay_alu instid0(VALU_DEP_1)
	v_add_co_ci_u32_e64 v33, s0, s11, v33, s0
	global_store_b32 v[30:31], v12, off
	global_store_b32 v[28:29], v14, off
	;; [unrolled: 1-line block ×3, first 2 shown]
.LBB75_9:
	s_or_b32 exec_lo, exec_lo, s2
	v_ashrrev_i32_e32 v12, 31, v8
	s_mov_b32 s1, exec_lo
	s_delay_alu instid0(VALU_DEP_1) | instskip(NEXT) | instid1(VALU_DEP_1)
	v_lshrrev_b32_e32 v10, 29, v12
	v_add_nc_u32_e32 v10, v8, v10
	s_delay_alu instid0(VALU_DEP_1) | instskip(NEXT) | instid1(VALU_DEP_1)
	v_ashrrev_i32_e32 v10, 3, v10
	v_lshrrev_b32_e32 v28, 28, v10
	s_delay_alu instid0(VALU_DEP_1) | instskip(NEXT) | instid1(VALU_DEP_1)
	v_add_nc_u32_e32 v28, v10, v28
	v_and_b32_e32 v28, -16, v28
	s_delay_alu instid0(VALU_DEP_1) | instskip(NEXT) | instid1(VALU_DEP_1)
	v_sub_nc_u32_e32 v28, v10, v28
	v_cmpx_eq_u32_e64 v16, v28
	s_cbranch_execz .LBB75_11
; %bb.10:
	v_lshrrev_b32_e32 v12, 25, v12
	v_lshlrev_b32_e32 v10, 3, v10
	s_delay_alu instid0(VALU_DEP_2) | instskip(NEXT) | instid1(VALU_DEP_2)
	v_add_nc_u32_e32 v12, v8, v12
	v_sub_nc_u32_e32 v8, v8, v10
	s_delay_alu instid0(VALU_DEP_2) | instskip(NEXT) | instid1(VALU_DEP_1)
	v_ashrrev_i32_e32 v10, 7, v12
	v_lshl_add_u32 v8, v10, 3, v8
	s_delay_alu instid0(VALU_DEP_1) | instskip(NEXT) | instid1(VALU_DEP_1)
	v_cmp_ne_u32_e64 s0, 7, v8
	v_cndmask_b32_e64 v3, 0xff800000, v3, s0
	v_cmp_ne_u32_e64 s0, 6, v8
	s_delay_alu instid0(VALU_DEP_1) | instskip(SKIP_1) | instid1(VALU_DEP_1)
	v_cndmask_b32_e64 v2, 0xff800000, v2, s0
	v_cmp_ne_u32_e64 s0, 5, v8
	v_cndmask_b32_e64 v1, 0xff800000, v1, s0
	v_cmp_ne_u32_e64 s0, 4, v8
	s_delay_alu instid0(VALU_DEP_1) | instskip(SKIP_1) | instid1(VALU_DEP_1)
	v_cndmask_b32_e64 v0, 0xff800000, v0, s0
	v_cmp_ne_u32_e64 s0, 3, v8
	v_cndmask_b32_e64 v7, 0xff800000, v7, s0
	v_cmp_ne_u32_e64 s0, 2, v8
	s_delay_alu instid0(VALU_DEP_1) | instskip(SKIP_1) | instid1(VALU_DEP_1)
	v_cndmask_b32_e64 v6, 0xff800000, v6, s0
	v_cmp_ne_u32_e64 s0, 1, v8
	v_cndmask_b32_e64 v5, 0xff800000, v5, s0
	v_cmp_ne_u32_e64 s0, 0, v8
	s_delay_alu instid0(VALU_DEP_1)
	v_cndmask_b32_e64 v4, 0xff800000, v4, s0
.LBB75_11:
	s_or_b32 exec_lo, exec_lo, s1
	s_cmp_eq_u32 s4, 1
	s_cbranch_scc1 .LBB75_18
; %bb.12:
	s_add_i32 s18, s18, s16
	v_add_nc_u32_e32 v8, 1, v13
	v_add3_u32 v25, s18, v26, v25
	v_add_nc_u32_e32 v10, 1, v11
	v_add_nc_u32_e32 v12, 1, v9
	s_add_i32 s14, s4, -1
	s_branch .LBB75_14
.LBB75_13:                              ;   in Loop: Header=BB75_14 Depth=1
	s_or_b32 exec_lo, exec_lo, s1
	v_add_nc_u32_e32 v25, s16, v25
	v_add_nc_u32_e32 v8, 1, v8
	;; [unrolled: 1-line block ×4, first 2 shown]
	s_add_i32 s14, s14, -1
	s_delay_alu instid0(SALU_CYCLE_1)
	s_cmp_eq_u32 s14, 0
	s_cbranch_scc1 .LBB75_18
.LBB75_14:                              ; =>This Inner Loop Header: Depth=1
	v_cmp_gt_f32_e64 s0, v5, v4
	s_delay_alu instid0(VALU_DEP_1) | instskip(SKIP_1) | instid1(VALU_DEP_2)
	v_cndmask_b32_e64 v11, v4, v5, s0
	v_cndmask_b32_e64 v9, v17, v18, s0
	v_cmp_gt_f32_e64 s0, v6, v11
	s_delay_alu instid0(VALU_DEP_1) | instskip(NEXT) | instid1(VALU_DEP_3)
	v_cndmask_b32_e64 v11, v11, v6, s0
	v_cndmask_b32_e64 v9, v9, v19, s0
	s_delay_alu instid0(VALU_DEP_2) | instskip(NEXT) | instid1(VALU_DEP_1)
	v_cmp_gt_f32_e64 s0, v7, v11
	v_cndmask_b32_e64 v11, v11, v7, s0
	s_delay_alu instid0(VALU_DEP_3) | instskip(NEXT) | instid1(VALU_DEP_2)
	v_cndmask_b32_e64 v9, v9, v20, s0
	v_cmp_gt_f32_e64 s0, v0, v11
	s_delay_alu instid0(VALU_DEP_1) | instskip(NEXT) | instid1(VALU_DEP_3)
	v_cndmask_b32_e64 v11, v11, v0, s0
	v_cndmask_b32_e64 v9, v9, v21, s0
	s_delay_alu instid0(VALU_DEP_2) | instskip(NEXT) | instid1(VALU_DEP_1)
	v_cmp_gt_f32_e64 s0, v1, v11
	v_cndmask_b32_e64 v11, v11, v1, s0
	s_delay_alu instid0(VALU_DEP_3) | instskip(NEXT) | instid1(VALU_DEP_2)
	v_cndmask_b32_e64 v9, v9, v22, s0
	v_cmp_gt_f32_e64 s0, v2, v11
	s_delay_alu instid0(VALU_DEP_1) | instskip(NEXT) | instid1(VALU_DEP_3)
	v_cndmask_b32_e64 v11, v11, v2, s0
	v_cndmask_b32_e64 v9, v9, v23, s0
	s_delay_alu instid0(VALU_DEP_2) | instskip(NEXT) | instid1(VALU_DEP_1)
	v_cmp_gt_f32_e64 s0, v3, v11
	v_cndmask_b32_e64 v9, v9, v24, s0
	v_cndmask_b32_e64 v11, v11, v3, s0
	s_delay_alu instid0(VALU_DEP_2) | instskip(NEXT) | instid1(VALU_DEP_2)
	v_mov_b32_dpp v13, v9 quad_perm:[1,0,3,2] row_mask:0xf bank_mask:0xf
	v_mov_b32_dpp v26, v11 quad_perm:[1,0,3,2] row_mask:0xf bank_mask:0xf
	s_delay_alu instid0(VALU_DEP_2) | instskip(NEXT) | instid1(VALU_DEP_2)
	v_cmp_lt_i32_e64 s0, v13, v9
	v_cmp_eq_f32_e64 s1, v11, v26
	v_cmp_lt_f32_e64 s2, v11, v26
	s_delay_alu instid0(VALU_DEP_2)
	s_and_b32 s0, s1, s0
	s_delay_alu instid0(VALU_DEP_1) | instid1(SALU_CYCLE_1)
	s_or_b32 s0, s2, s0
	s_delay_alu instid0(SALU_CYCLE_1) | instskip(SKIP_1) | instid1(VALU_DEP_2)
	v_cndmask_b32_e64 v11, v11, v26, s0
	v_cndmask_b32_e64 v9, v9, v13, s0
	v_mov_b32_dpp v13, v11 quad_perm:[2,3,0,1] row_mask:0xf bank_mask:0xf
	s_delay_alu instid0(VALU_DEP_2) | instskip(NEXT) | instid1(VALU_DEP_2)
	v_mov_b32_dpp v26, v9 quad_perm:[2,3,0,1] row_mask:0xf bank_mask:0xf
	v_cmp_eq_f32_e64 s0, v11, v13
	s_delay_alu instid0(VALU_DEP_2) | instskip(SKIP_1) | instid1(VALU_DEP_2)
	v_cmp_lt_i32_e64 s1, v26, v9
	v_cmp_lt_f32_e64 s2, v11, v13
	s_and_b32 s0, s0, s1
	s_delay_alu instid0(VALU_DEP_1) | instid1(SALU_CYCLE_1)
	s_or_b32 s0, s2, s0
	s_delay_alu instid0(SALU_CYCLE_1) | instskip(SKIP_1) | instid1(VALU_DEP_2)
	v_cndmask_b32_e64 v11, v11, v13, s0
	v_cndmask_b32_e64 v13, v9, v26, s0
	v_mov_b32_dpp v9, v11 row_half_mirror row_mask:0xf bank_mask:0xf
	s_delay_alu instid0(VALU_DEP_2) | instskip(NEXT) | instid1(VALU_DEP_2)
	v_mov_b32_dpp v26, v13 row_half_mirror row_mask:0xf bank_mask:0xf
	v_cmp_eq_f32_e64 s0, v11, v9
	s_delay_alu instid0(VALU_DEP_2) | instskip(SKIP_1) | instid1(VALU_DEP_2)
	v_cmp_lt_i32_e64 s1, v26, v13
	v_cmp_lt_f32_e64 s2, v11, v9
	s_and_b32 s0, s0, s1
	s_delay_alu instid0(VALU_DEP_1) | instid1(SALU_CYCLE_1)
	s_or_b32 s0, s2, s0
	s_delay_alu instid0(SALU_CYCLE_1) | instskip(SKIP_1) | instid1(VALU_DEP_2)
	v_cndmask_b32_e64 v9, v11, v9, s0
	v_cndmask_b32_e64 v13, v13, v26, s0
	v_mov_b32_dpp v11, v9 row_mirror row_mask:0xf bank_mask:0xf
	s_delay_alu instid0(VALU_DEP_2) | instskip(NEXT) | instid1(VALU_DEP_2)
	v_mov_b32_dpp v26, v13 row_mirror row_mask:0xf bank_mask:0xf
	v_cmp_eq_f32_e64 s0, v9, v11
	s_delay_alu instid0(VALU_DEP_2) | instskip(SKIP_1) | instid1(VALU_DEP_2)
	v_cmp_lt_i32_e64 s1, v26, v13
	v_cmp_lt_f32_e64 s2, v9, v11
	s_and_b32 s0, s0, s1
	s_delay_alu instid0(VALU_DEP_1) | instid1(SALU_CYCLE_1)
	s_or_b32 s0, s2, s0
	s_delay_alu instid0(SALU_CYCLE_1)
	v_cndmask_b32_e64 v26, v13, v26, s0
	s_and_saveexec_b32 s2, vcc_lo
	s_cbranch_execz .LBB75_16
; %bb.15:                               ;   in Loop: Header=BB75_14 Depth=1
	v_cndmask_b32_e64 v9, v9, v11, s0
	s_delay_alu instid0(VALU_DEP_2) | instskip(SKIP_4) | instid1(VALU_DEP_4)
	v_cmp_le_i32_e64 s0, s5, v26
	v_cmp_gt_i32_e64 s1, s6, v26
	v_ashrrev_i32_e32 v13, 31, v12
	v_subrev_nc_u32_e32 v35, s5, v26
	v_sub_f32_e32 v34, v9, v27
	s_and_b32 s0, s0, s1
	s_delay_alu instid0(SALU_CYCLE_1) | instskip(NEXT) | instid1(VALU_DEP_1)
	s_and_b32 s0, s17, s0
	v_mul_f32_e32 v9, 0x3fb8aa3b, v34
	s_delay_alu instid0(VALU_DEP_1) | instskip(SKIP_1) | instid1(VALU_DEP_2)
	v_fma_f32 v11, 0x3fb8aa3b, v34, -v9
	v_rndne_f32_e32 v28, v9
	v_fmac_f32_e32 v11, 0x32a5705f, v34
	s_delay_alu instid0(VALU_DEP_2) | instskip(SKIP_2) | instid1(VALU_DEP_3)
	v_sub_f32_e32 v9, v9, v28
	v_cvt_i32_f32_e32 v33, v28
	v_lshlrev_b64 v[28:29], 2, v[12:13]
	v_add_f32_e32 v9, v9, v11
	v_ashrrev_i32_e32 v11, 31, v10
	s_delay_alu instid0(VALU_DEP_2) | instskip(SKIP_1) | instid1(VALU_DEP_2)
	v_exp_f32_e32 v32, v9
	v_ashrrev_i32_e32 v9, 31, v8
	v_lshlrev_b64 v[30:31], 2, v[10:11]
	s_waitcnt_depctr 0xfff
	v_ldexp_f32 v11, v32, v33
	v_lshlrev_b64 v[32:33], 2, v[8:9]
	v_cndmask_b32_e64 v9, 0x80, v35, s0
	v_cmp_ngt_f32_e64 s0, 0xc2ce8ed0, v34
	s_delay_alu instid0(VALU_DEP_1) | instskip(SKIP_1) | instid1(VALU_DEP_1)
	v_cndmask_b32_e64 v11, 0, v11, s0
	v_add_co_u32 v28, s0, s12, v28
	v_add_co_ci_u32_e64 v29, s0, s13, v29, s0
	v_cmp_nlt_f32_e64 s0, 0x42b17218, v34
	s_delay_alu instid0(VALU_DEP_1) | instskip(SKIP_2) | instid1(VALU_DEP_1)
	v_cndmask_b32_e64 v11, 0x7f800000, v11, s0
	s_waitcnt lgkmcnt(0)
	v_add_co_u32 v30, s0, s8, v30
	v_add_co_ci_u32_e64 v31, s0, s9, v31, s0
	s_delay_alu instid0(VALU_DEP_3) | instskip(SKIP_1) | instid1(VALU_DEP_1)
	v_add_f32_e32 v14, v14, v11
	v_add_co_u32 v32, s0, s10, v32
	v_add_co_ci_u32_e64 v33, s0, s11, v33, s0
	global_store_b32 v[28:29], v11, off
	global_store_b32 v[30:31], v9, off
	;; [unrolled: 1-line block ×3, first 2 shown]
.LBB75_16:                              ;   in Loop: Header=BB75_14 Depth=1
	s_or_b32 exec_lo, exec_lo, s2
	s_delay_alu instid0(VALU_DEP_1) | instskip(SKIP_1) | instid1(VALU_DEP_1)
	v_ashrrev_i32_e32 v11, 31, v26
	s_mov_b32 s1, exec_lo
	v_lshrrev_b32_e32 v9, 29, v11
	s_delay_alu instid0(VALU_DEP_1) | instskip(NEXT) | instid1(VALU_DEP_1)
	v_add_nc_u32_e32 v9, v26, v9
	v_ashrrev_i32_e32 v9, 3, v9
	s_delay_alu instid0(VALU_DEP_1) | instskip(NEXT) | instid1(VALU_DEP_1)
	v_lshrrev_b32_e32 v13, 28, v9
	v_add_nc_u32_e32 v13, v9, v13
	s_delay_alu instid0(VALU_DEP_1) | instskip(NEXT) | instid1(VALU_DEP_1)
	v_and_b32_e32 v13, -16, v13
	v_sub_nc_u32_e32 v13, v9, v13
	s_delay_alu instid0(VALU_DEP_1)
	v_cmpx_eq_u32_e64 v16, v13
	s_cbranch_execz .LBB75_13
; %bb.17:                               ;   in Loop: Header=BB75_14 Depth=1
	v_lshrrev_b32_e32 v11, 25, v11
	v_lshlrev_b32_e32 v9, 3, v9
	s_delay_alu instid0(VALU_DEP_2) | instskip(NEXT) | instid1(VALU_DEP_2)
	v_add_nc_u32_e32 v11, v26, v11
	v_sub_nc_u32_e32 v9, v26, v9
	s_delay_alu instid0(VALU_DEP_2) | instskip(NEXT) | instid1(VALU_DEP_1)
	v_ashrrev_i32_e32 v11, 7, v11
	v_lshl_add_u32 v9, v11, 3, v9
	s_delay_alu instid0(VALU_DEP_1) | instskip(NEXT) | instid1(VALU_DEP_1)
	v_cmp_ne_u32_e64 s0, 7, v9
	v_cndmask_b32_e64 v3, 0xff800000, v3, s0
	v_cmp_ne_u32_e64 s0, 6, v9
	s_delay_alu instid0(VALU_DEP_1) | instskip(SKIP_1) | instid1(VALU_DEP_1)
	v_cndmask_b32_e64 v2, 0xff800000, v2, s0
	v_cmp_ne_u32_e64 s0, 5, v9
	v_cndmask_b32_e64 v1, 0xff800000, v1, s0
	v_cmp_ne_u32_e64 s0, 4, v9
	s_delay_alu instid0(VALU_DEP_1) | instskip(SKIP_1) | instid1(VALU_DEP_1)
	v_cndmask_b32_e64 v0, 0xff800000, v0, s0
	;; [unrolled: 5-line block ×3, first 2 shown]
	v_cmp_ne_u32_e64 s0, 1, v9
	v_cndmask_b32_e64 v5, 0xff800000, v5, s0
	v_cmp_ne_u32_e64 s0, 0, v9
	s_delay_alu instid0(VALU_DEP_1)
	v_cndmask_b32_e64 v4, 0xff800000, v4, s0
	s_branch .LBB75_13
.LBB75_18:
	v_cmp_eq_u32_e32 vcc_lo, 0, v16
	v_cmp_neq_f32_e64 s0, 0, v14
	s_delay_alu instid0(VALU_DEP_1) | instskip(NEXT) | instid1(SALU_CYCLE_1)
	s_and_b32 s0, vcc_lo, s0
	s_and_b32 exec_lo, exec_lo, s0
	s_cbranch_execz .LBB75_22
; %bb.19:
	s_and_not1_b32 vcc_lo, exec_lo, s3
	s_cbranch_vccnz .LBB75_22
; %bb.20:
	v_div_scale_f32 v1, null, v14, v14, 1.0
	v_div_scale_f32 v3, vcc_lo, 1.0, v14, 1.0
	s_delay_alu instid0(VALU_DEP_2) | instskip(SKIP_2) | instid1(VALU_DEP_1)
	v_rcp_f32_e32 v2, v1
	s_waitcnt_depctr 0xfff
	v_fma_f32 v0, -v1, v2, 1.0
	v_fmac_f32_e32 v2, v0, v2
	v_mul_lo_u32 v0, v15, s7
	s_delay_alu instid0(VALU_DEP_2) | instskip(NEXT) | instid1(VALU_DEP_1)
	v_mul_f32_e32 v4, v3, v2
	v_fma_f32 v5, -v1, v4, v3
	s_delay_alu instid0(VALU_DEP_1) | instskip(NEXT) | instid1(VALU_DEP_1)
	v_fmac_f32_e32 v4, v5, v2
	v_fma_f32 v3, -v1, v4, v3
	v_ashrrev_i32_e32 v1, 31, v0
	s_delay_alu instid0(VALU_DEP_2) | instskip(NEXT) | instid1(VALU_DEP_2)
	v_div_fmas_f32 v2, v3, v2, v4
	v_lshlrev_b64 v[0:1], 2, v[0:1]
	s_delay_alu instid0(VALU_DEP_2) | instskip(NEXT) | instid1(VALU_DEP_2)
	v_div_fixup_f32 v2, v2, v14, 1.0
	v_add_co_u32 v0, vcc_lo, s12, v0
	s_delay_alu instid0(VALU_DEP_3)
	v_add_co_ci_u32_e32 v1, vcc_lo, s13, v1, vcc_lo
.LBB75_21:                              ; =>This Inner Loop Header: Depth=1
	global_load_b32 v3, v[0:1], off
	s_add_i32 s4, s4, -1
	s_delay_alu instid0(SALU_CYCLE_1)
	s_cmp_lg_u32 s4, 0
	s_waitcnt vmcnt(0)
	v_mul_f32_e32 v3, v2, v3
	global_store_b32 v[0:1], v3, off
	v_add_co_u32 v0, vcc_lo, v0, 4
	v_add_co_ci_u32_e32 v1, vcc_lo, 0, v1, vcc_lo
	s_cbranch_scc1 .LBB75_21
.LBB75_22:
	s_nop 0
	s_sendmsg sendmsg(MSG_DEALLOC_VGPRS)
	s_endpgm
	.section	.rodata,"a",@progbits
	.p2align	6, 0x0
	.amdhsa_kernel _ZN4vllm3moe17topkGatingSoftmaxIfLi8ELi128ELi8ELi32ELb1ELi2ELNS0_23SharedExpertScoringFuncE1EEEvPKT_PKbPfiPiS9_iiiiii
		.amdhsa_group_segment_fixed_size 0
		.amdhsa_private_segment_fixed_size 0
		.amdhsa_kernarg_size 72
		.amdhsa_user_sgpr_count 15
		.amdhsa_user_sgpr_dispatch_ptr 0
		.amdhsa_user_sgpr_queue_ptr 0
		.amdhsa_user_sgpr_kernarg_segment_ptr 1
		.amdhsa_user_sgpr_dispatch_id 0
		.amdhsa_user_sgpr_private_segment_size 0
		.amdhsa_wavefront_size32 1
		.amdhsa_uses_dynamic_stack 0
		.amdhsa_enable_private_segment 0
		.amdhsa_system_sgpr_workgroup_id_x 1
		.amdhsa_system_sgpr_workgroup_id_y 0
		.amdhsa_system_sgpr_workgroup_id_z 0
		.amdhsa_system_sgpr_workgroup_info 0
		.amdhsa_system_vgpr_workitem_id 1
		.amdhsa_next_free_vgpr 37
		.amdhsa_next_free_sgpr 19
		.amdhsa_reserve_vcc 1
		.amdhsa_float_round_mode_32 0
		.amdhsa_float_round_mode_16_64 0
		.amdhsa_float_denorm_mode_32 3
		.amdhsa_float_denorm_mode_16_64 3
		.amdhsa_dx10_clamp 1
		.amdhsa_ieee_mode 1
		.amdhsa_fp16_overflow 0
		.amdhsa_workgroup_processor_mode 1
		.amdhsa_memory_ordered 1
		.amdhsa_forward_progress 0
		.amdhsa_shared_vgpr_count 0
		.amdhsa_exception_fp_ieee_invalid_op 0
		.amdhsa_exception_fp_denorm_src 0
		.amdhsa_exception_fp_ieee_div_zero 0
		.amdhsa_exception_fp_ieee_overflow 0
		.amdhsa_exception_fp_ieee_underflow 0
		.amdhsa_exception_fp_ieee_inexact 0
		.amdhsa_exception_int_div_zero 0
	.end_amdhsa_kernel
	.section	.text._ZN4vllm3moe17topkGatingSoftmaxIfLi8ELi128ELi8ELi32ELb1ELi2ELNS0_23SharedExpertScoringFuncE1EEEvPKT_PKbPfiPiS9_iiiiii,"axG",@progbits,_ZN4vllm3moe17topkGatingSoftmaxIfLi8ELi128ELi8ELi32ELb1ELi2ELNS0_23SharedExpertScoringFuncE1EEEvPKT_PKbPfiPiS9_iiiiii,comdat
.Lfunc_end75:
	.size	_ZN4vllm3moe17topkGatingSoftmaxIfLi8ELi128ELi8ELi32ELb1ELi2ELNS0_23SharedExpertScoringFuncE1EEEvPKT_PKbPfiPiS9_iiiiii, .Lfunc_end75-_ZN4vllm3moe17topkGatingSoftmaxIfLi8ELi128ELi8ELi32ELb1ELi2ELNS0_23SharedExpertScoringFuncE1EEEvPKT_PKbPfiPiS9_iiiiii
                                        ; -- End function
	.section	.AMDGPU.csdata,"",@progbits
; Kernel info:
; codeLenInByte = 3088
; NumSgprs: 21
; NumVgprs: 37
; ScratchSize: 0
; MemoryBound: 0
; FloatMode: 240
; IeeeMode: 1
; LDSByteSize: 0 bytes/workgroup (compile time only)
; SGPRBlocks: 2
; VGPRBlocks: 4
; NumSGPRsForWavesPerEU: 21
; NumVGPRsForWavesPerEU: 37
; Occupancy: 16
; WaveLimiterHint : 0
; COMPUTE_PGM_RSRC2:SCRATCH_EN: 0
; COMPUTE_PGM_RSRC2:USER_SGPR: 15
; COMPUTE_PGM_RSRC2:TRAP_HANDLER: 0
; COMPUTE_PGM_RSRC2:TGID_X_EN: 1
; COMPUTE_PGM_RSRC2:TGID_Y_EN: 0
; COMPUTE_PGM_RSRC2:TGID_Z_EN: 0
; COMPUTE_PGM_RSRC2:TIDIG_COMP_CNT: 1
	.section	.text._ZN4vllm3moe17topkGatingSoftmaxIfLi8ELi128ELi8ELi32ELb0ELi2ELNS0_23SharedExpertScoringFuncE1EEEvPKT_PKbPfiPiS9_iiiiii,"axG",@progbits,_ZN4vllm3moe17topkGatingSoftmaxIfLi8ELi128ELi8ELi32ELb0ELi2ELNS0_23SharedExpertScoringFuncE1EEEvPKT_PKbPfiPiS9_iiiiii,comdat
	.protected	_ZN4vllm3moe17topkGatingSoftmaxIfLi8ELi128ELi8ELi32ELb0ELi2ELNS0_23SharedExpertScoringFuncE1EEEvPKT_PKbPfiPiS9_iiiiii ; -- Begin function _ZN4vllm3moe17topkGatingSoftmaxIfLi8ELi128ELi8ELi32ELb0ELi2ELNS0_23SharedExpertScoringFuncE1EEEvPKT_PKbPfiPiS9_iiiiii
	.globl	_ZN4vllm3moe17topkGatingSoftmaxIfLi8ELi128ELi8ELi32ELb0ELi2ELNS0_23SharedExpertScoringFuncE1EEEvPKT_PKbPfiPiS9_iiiiii
	.p2align	8
	.type	_ZN4vllm3moe17topkGatingSoftmaxIfLi8ELi128ELi8ELi32ELb0ELi2ELNS0_23SharedExpertScoringFuncE1EEEvPKT_PKbPfiPiS9_iiiiii,@function
_ZN4vllm3moe17topkGatingSoftmaxIfLi8ELi128ELi8ELi32ELb0ELi2ELNS0_23SharedExpertScoringFuncE1EEEvPKT_PKbPfiPiS9_iiiiii: ; @_ZN4vllm3moe17topkGatingSoftmaxIfLi8ELi128ELi8ELi32ELb0ELi2ELNS0_23SharedExpertScoringFuncE1EEEvPKT_PKbPfiPiS9_iiiiii
; %bb.0:
	s_load_b32 s16, s[0:1], 0x18
	v_bfe_u32 v1, v0, 10, 10
	v_and_b32_e32 v0, 0x3ff, v0
	s_lshl_b32 s18, s15, 4
	s_mov_b32 s2, exec_lo
	s_delay_alu instid0(VALU_DEP_2) | instskip(NEXT) | instid1(VALU_DEP_2)
	v_lshlrev_b32_e32 v26, 1, v1
	v_lshrrev_b32_e32 v27, 4, v0
	s_delay_alu instid0(VALU_DEP_1) | instskip(SKIP_1) | instid1(VALU_DEP_1)
	v_add3_u32 v15, s18, v26, v27
	s_waitcnt lgkmcnt(0)
	v_cmpx_gt_i32_e64 s16, v15
	s_cbranch_execz .LBB76_23
; %bb.1:
	s_clause 0x1
	s_load_b128 s[4:7], s[0:1], 0x0
	s_load_b64 s[12:13], s[0:1], 0x10
	s_waitcnt lgkmcnt(0)
	s_cmp_eq_u64 s[6:7], 0
	s_cbranch_scc1 .LBB76_3
; %bb.2:
	v_ashrrev_i32_e32 v2, 31, v15
	v_add_co_u32 v1, vcc_lo, s6, v15
	s_delay_alu instid0(VALU_DEP_2) | instskip(SKIP_3) | instid1(VALU_DEP_1)
	v_add_co_ci_u32_e32 v2, vcc_lo, s7, v2, vcc_lo
	global_load_u8 v1, v[1:2], off
	s_waitcnt vmcnt(0)
	v_and_b32_e32 v1, 1, v1
	v_cmp_eq_u32_e32 vcc_lo, 1, v1
	s_xor_b32 s2, vcc_lo, -1
	s_delay_alu instid0(SALU_CYCLE_1)
	s_or_not1_b32 s17, s2, exec_lo
	s_branch .LBB76_4
.LBB76_3:
	s_mov_b32 s17, -1
.LBB76_4:
	s_load_b64 s[14:15], s[0:1], 0x40
	v_and_b32_e32 v16, 15, v0
	v_mov_b32_e32 v14, 0
	s_mov_b32 s2, exec_lo
	s_delay_alu instid0(VALU_DEP_2) | instskip(SKIP_2) | instid1(VALU_DEP_1)
	v_lshlrev_b32_e32 v18, 3, v16
	s_waitcnt lgkmcnt(0)
	v_mul_lo_u32 v1, v15, s15
	v_ashrrev_i32_e32 v2, 31, v1
	s_delay_alu instid0(VALU_DEP_1) | instskip(SKIP_1) | instid1(VALU_DEP_2)
	v_lshlrev_b64 v[0:1], 2, v[1:2]
	v_lshlrev_b32_e32 v2, 5, v16
	v_add_co_u32 v8, vcc_lo, s4, v0
	s_delay_alu instid0(VALU_DEP_3) | instskip(SKIP_1) | instid1(VALU_DEP_2)
	v_add_co_ci_u32_e32 v9, vcc_lo, s5, v1, vcc_lo
	s_load_b128 s[4:7], s[0:1], 0x30
	v_add_co_u32 v4, vcc_lo, v8, v2
	s_delay_alu instid0(VALU_DEP_2)
	v_add_co_ci_u32_e32 v5, vcc_lo, 0, v9, vcc_lo
	s_clause 0x1
	global_load_b128 v[0:3], v[4:5], off offset:16
	global_load_b128 v[4:7], v[4:5], off
	v_cmpx_gt_u32_e32 2, v16
	s_cbranch_execz .LBB76_6
; %bb.5:
	v_lshlrev_b32_e32 v10, 2, v16
	s_delay_alu instid0(VALU_DEP_1)
	v_add_co_u32 v8, vcc_lo, v8, v10
	v_add_co_ci_u32_e32 v9, vcc_lo, 0, v9, vcc_lo
	global_load_b32 v8, v[8:9], off offset:512
	s_waitcnt vmcnt(0)
	v_mul_f32_e32 v9, 0xbfb8aa3b, v8
	v_cmp_nlt_f32_e32 vcc_lo, 0x42ce8ed0, v8
	s_delay_alu instid0(VALU_DEP_2) | instskip(SKIP_1) | instid1(VALU_DEP_1)
	v_fma_f32 v10, 0xbfb8aa3b, v8, -v9
	v_rndne_f32_e32 v11, v9
	v_dual_fmamk_f32 v10, v8, 0xb2a5705f, v10 :: v_dual_sub_f32 v9, v9, v11
	s_delay_alu instid0(VALU_DEP_1) | instskip(SKIP_1) | instid1(VALU_DEP_2)
	v_add_f32_e32 v9, v9, v10
	v_cvt_i32_f32_e32 v10, v11
	v_exp_f32_e32 v9, v9
	s_waitcnt_depctr 0xfff
	v_ldexp_f32 v9, v9, v10
	s_delay_alu instid0(VALU_DEP_1) | instskip(SKIP_1) | instid1(VALU_DEP_2)
	v_cndmask_b32_e32 v9, 0, v9, vcc_lo
	v_cmp_ngt_f32_e32 vcc_lo, 0xc2b17218, v8
	v_cndmask_b32_e32 v8, 0x7f800000, v9, vcc_lo
	s_delay_alu instid0(VALU_DEP_1) | instskip(NEXT) | instid1(VALU_DEP_1)
	v_add_f32_e32 v10, 1.0, v8
	v_div_scale_f32 v9, null, v10, v10, 1.0
	v_div_scale_f32 v12, vcc_lo, 1.0, v10, 1.0
	s_delay_alu instid0(VALU_DEP_2) | instskip(SKIP_2) | instid1(VALU_DEP_1)
	v_rcp_f32_e32 v11, v9
	s_waitcnt_depctr 0xfff
	v_fma_f32 v8, -v9, v11, 1.0
	v_fmac_f32_e32 v11, v8, v11
	s_waitcnt lgkmcnt(0)
	v_mul_lo_u32 v8, v15, s7
	s_delay_alu instid0(VALU_DEP_2) | instskip(NEXT) | instid1(VALU_DEP_2)
	v_mul_f32_e32 v13, v12, v11
	v_add3_u32 v8, v8, s4, v16
	s_delay_alu instid0(VALU_DEP_2) | instskip(NEXT) | instid1(VALU_DEP_1)
	v_fma_f32 v17, -v9, v13, v12
	v_fmac_f32_e32 v13, v17, v11
	s_delay_alu instid0(VALU_DEP_1) | instskip(NEXT) | instid1(VALU_DEP_4)
	v_fma_f32 v12, -v9, v13, v12
	v_ashrrev_i32_e32 v9, 31, v8
	s_delay_alu instid0(VALU_DEP_2) | instskip(NEXT) | instid1(VALU_DEP_2)
	v_div_fmas_f32 v11, v12, v11, v13
	v_lshlrev_b64 v[8:9], 2, v[8:9]
	s_delay_alu instid0(VALU_DEP_2) | instskip(NEXT) | instid1(VALU_DEP_2)
	v_div_fixup_f32 v10, v11, v10, 1.0
	v_add_co_u32 v8, vcc_lo, s12, v8
	s_delay_alu instid0(VALU_DEP_3)
	v_add_co_ci_u32_e32 v9, vcc_lo, s13, v9, vcc_lo
	global_store_b32 v[8:9], v10, off
.LBB76_6:
	s_or_b32 exec_lo, exec_lo, s2
	v_or_b32_e32 v19, 1, v18
	s_waitcnt vmcnt(0)
	v_cmp_lt_f32_e32 vcc_lo, v4, v5
	v_or_b32_e32 v20, 2, v18
	v_or_b32_e32 v21, 3, v18
	;; [unrolled: 1-line block ×4, first 2 shown]
	v_dual_cndmask_b32 v8, v18, v19 :: v_dual_cndmask_b32 v9, v4, v5
	v_or_b32_e32 v24, 6, v18
	v_or_b32_e32 v25, 7, v18
	s_delay_alu instid0(VALU_DEP_3) | instskip(NEXT) | instid1(VALU_DEP_4)
	v_cmp_lt_f32_e32 vcc_lo, v9, v6
	v_dual_cndmask_b32 v8, v8, v20 :: v_dual_cndmask_b32 v9, v9, v6
	s_delay_alu instid0(VALU_DEP_1) | instskip(NEXT) | instid1(VALU_DEP_2)
	v_cmp_lt_f32_e32 vcc_lo, v9, v7
	v_dual_cndmask_b32 v8, v8, v21 :: v_dual_cndmask_b32 v9, v9, v7
	s_delay_alu instid0(VALU_DEP_1) | instskip(NEXT) | instid1(VALU_DEP_2)
	;; [unrolled: 3-line block ×6, first 2 shown]
	v_mov_b32_dpp v10, v8 quad_perm:[1,0,3,2] row_mask:0xf bank_mask:0xf
	v_mov_b32_dpp v11, v9 quad_perm:[1,0,3,2] row_mask:0xf bank_mask:0xf
	s_delay_alu instid0(VALU_DEP_2) | instskip(NEXT) | instid1(VALU_DEP_2)
	v_cmp_lt_i32_e32 vcc_lo, v10, v8
	v_cmp_eq_f32_e64 s2, v9, v11
	v_cmp_lt_f32_e64 s3, v9, v11
	s_delay_alu instid0(VALU_DEP_2)
	s_and_b32 s2, s2, vcc_lo
	s_delay_alu instid0(VALU_DEP_1) | instid1(SALU_CYCLE_1)
	s_or_b32 vcc_lo, s3, s2
	v_dual_cndmask_b32 v9, v9, v11 :: v_dual_cndmask_b32 v8, v8, v10
	s_delay_alu instid0(VALU_DEP_1) | instskip(NEXT) | instid1(VALU_DEP_2)
	v_mov_b32_dpp v10, v9 quad_perm:[2,3,0,1] row_mask:0xf bank_mask:0xf
	v_mov_b32_dpp v11, v8 quad_perm:[2,3,0,1] row_mask:0xf bank_mask:0xf
	s_delay_alu instid0(VALU_DEP_2) | instskip(NEXT) | instid1(VALU_DEP_2)
	v_cmp_eq_f32_e32 vcc_lo, v9, v10
	v_cmp_lt_i32_e64 s2, v11, v8
	v_cmp_lt_f32_e64 s3, v9, v10
	s_delay_alu instid0(VALU_DEP_2)
	s_and_b32 s2, vcc_lo, s2
	s_delay_alu instid0(VALU_DEP_1) | instid1(SALU_CYCLE_1)
	s_or_b32 vcc_lo, s3, s2
	v_dual_cndmask_b32 v9, v9, v10 :: v_dual_cndmask_b32 v8, v8, v11
	s_delay_alu instid0(VALU_DEP_1) | instskip(NEXT) | instid1(VALU_DEP_2)
	v_mov_b32_dpp v10, v9 row_half_mirror row_mask:0xf bank_mask:0xf
	v_mov_b32_dpp v11, v8 row_half_mirror row_mask:0xf bank_mask:0xf
	s_delay_alu instid0(VALU_DEP_2) | instskip(NEXT) | instid1(VALU_DEP_2)
	v_cmp_eq_f32_e32 vcc_lo, v9, v10
	v_cmp_lt_i32_e64 s2, v11, v8
	v_cmp_lt_f32_e64 s3, v9, v10
	s_delay_alu instid0(VALU_DEP_2)
	s_and_b32 s2, vcc_lo, s2
	s_delay_alu instid0(VALU_DEP_1) | instid1(SALU_CYCLE_1)
	s_or_b32 vcc_lo, s3, s2
	v_dual_cndmask_b32 v9, v9, v10 :: v_dual_cndmask_b32 v8, v8, v11
	s_delay_alu instid0(VALU_DEP_1) | instskip(NEXT) | instid1(VALU_DEP_2)
	v_mov_b32_dpp v11, v9 row_mirror row_mask:0xf bank_mask:0xf
	v_mov_b32_dpp v10, v8 row_mirror row_mask:0xf bank_mask:0xf
	s_delay_alu instid0(VALU_DEP_2) | instskip(NEXT) | instid1(VALU_DEP_2)
	v_cmp_eq_f32_e32 vcc_lo, v9, v11
	v_cmp_lt_i32_e64 s2, v10, v8
	v_cmp_lt_f32_e64 s3, v9, v11
	s_delay_alu instid0(VALU_DEP_2) | instskip(SKIP_1) | instid1(VALU_DEP_2)
	s_and_b32 s2, vcc_lo, s2
	v_cmp_eq_u32_e32 vcc_lo, 0, v16
	s_or_b32 s2, s3, s2
	s_waitcnt lgkmcnt(0)
	s_cmp_gt_i32 s4, 0
	v_cndmask_b32_e64 v17, v9, v11, s2
	s_cselect_b32 s3, -1, 0
	s_cmp_lt_i32 s4, 1
	s_cbranch_scc1 .LBB76_18
; %bb.7:
	s_load_b128 s[8:11], s[0:1], 0x20
	v_mul_lo_u32 v9, v15, s7
	v_mul_lo_u32 v11, v15, s14
	;; [unrolled: 1-line block ×3, first 2 shown]
	v_cndmask_b32_e64 v8, v8, v10, s2
	v_mov_b32_e32 v14, 0
	s_and_saveexec_b32 s2, vcc_lo
	s_cbranch_execz .LBB76_9
; %bb.8:
	v_sub_f32_e32 v34, v17, v17
	v_cmp_le_i32_e64 s0, s5, v8
	v_cmp_gt_i32_e64 s1, s6, v8
	v_subrev_nc_u32_e32 v35, s5, v8
	v_ashrrev_i32_e32 v14, 31, v13
	v_mul_f32_e32 v10, 0x3fb8aa3b, v34
	s_delay_alu instid0(VALU_DEP_4) | instskip(NEXT) | instid1(SALU_CYCLE_1)
	s_and_b32 s0, s0, s1
	s_and_b32 s0, s17, s0
	s_delay_alu instid0(VALU_DEP_1) | instskip(SKIP_2) | instid1(VALU_DEP_3)
	v_rndne_f32_e32 v30, v10
	v_fma_f32 v12, 0x3fb8aa3b, v34, -v10
	v_lshlrev_b64 v[32:33], 2, v[13:14]
	v_sub_f32_e32 v10, v10, v30
	s_delay_alu instid0(VALU_DEP_3) | instskip(NEXT) | instid1(VALU_DEP_1)
	v_fmamk_f32 v12, v34, 0x32a5705f, v12
	v_add_f32_e32 v12, v10, v12
	v_ashrrev_i32_e32 v10, 31, v9
	s_delay_alu instid0(VALU_DEP_2) | instskip(NEXT) | instid1(VALU_DEP_1)
	v_exp_f32_e32 v36, v12
	v_lshlrev_b64 v[28:29], 2, v[9:10]
	v_ashrrev_i32_e32 v12, 31, v11
	v_cvt_i32_f32_e32 v10, v30
	s_delay_alu instid0(VALU_DEP_2) | instskip(SKIP_2) | instid1(VALU_DEP_1)
	v_lshlrev_b64 v[30:31], 2, v[11:12]
	v_cndmask_b32_e64 v12, 0x80, v35, s0
	v_add_co_u32 v28, s0, s12, v28
	v_add_co_ci_u32_e64 v29, s0, s13, v29, s0
	s_delay_alu instid0(TRANS32_DEP_1) | instskip(SKIP_1) | instid1(VALU_DEP_1)
	v_ldexp_f32 v10, v36, v10
	v_cmp_ngt_f32_e64 s0, 0xc2ce8ed0, v34
	v_cndmask_b32_e64 v10, 0, v10, s0
	s_waitcnt lgkmcnt(0)
	v_add_co_u32 v30, s0, s8, v30
	s_delay_alu instid0(VALU_DEP_1) | instskip(SKIP_1) | instid1(VALU_DEP_1)
	v_add_co_ci_u32_e64 v31, s0, s9, v31, s0
	v_cmp_nlt_f32_e64 s0, 0x42b17218, v34
	v_cndmask_b32_e64 v14, 0x7f800000, v10, s0
	v_add_co_u32 v32, s0, s10, v32
	s_delay_alu instid0(VALU_DEP_1)
	v_add_co_ci_u32_e64 v33, s0, s11, v33, s0
	global_store_b32 v[30:31], v12, off
	global_store_b32 v[28:29], v14, off
	;; [unrolled: 1-line block ×3, first 2 shown]
.LBB76_9:
	s_or_b32 exec_lo, exec_lo, s2
	v_ashrrev_i32_e32 v12, 31, v8
	s_mov_b32 s1, exec_lo
	s_delay_alu instid0(VALU_DEP_1) | instskip(NEXT) | instid1(VALU_DEP_1)
	v_lshrrev_b32_e32 v10, 29, v12
	v_add_nc_u32_e32 v10, v8, v10
	s_delay_alu instid0(VALU_DEP_1) | instskip(NEXT) | instid1(VALU_DEP_1)
	v_ashrrev_i32_e32 v10, 3, v10
	v_lshrrev_b32_e32 v28, 28, v10
	s_delay_alu instid0(VALU_DEP_1) | instskip(NEXT) | instid1(VALU_DEP_1)
	v_add_nc_u32_e32 v28, v10, v28
	v_and_b32_e32 v28, -16, v28
	s_delay_alu instid0(VALU_DEP_1) | instskip(NEXT) | instid1(VALU_DEP_1)
	v_sub_nc_u32_e32 v28, v10, v28
	v_cmpx_eq_u32_e64 v16, v28
	s_cbranch_execz .LBB76_11
; %bb.10:
	v_lshrrev_b32_e32 v12, 25, v12
	v_lshlrev_b32_e32 v10, 3, v10
	s_delay_alu instid0(VALU_DEP_2) | instskip(NEXT) | instid1(VALU_DEP_2)
	v_add_nc_u32_e32 v12, v8, v12
	v_sub_nc_u32_e32 v8, v8, v10
	s_delay_alu instid0(VALU_DEP_2) | instskip(NEXT) | instid1(VALU_DEP_1)
	v_ashrrev_i32_e32 v10, 7, v12
	v_lshl_add_u32 v8, v10, 3, v8
	s_delay_alu instid0(VALU_DEP_1) | instskip(NEXT) | instid1(VALU_DEP_1)
	v_cmp_ne_u32_e64 s0, 7, v8
	v_cndmask_b32_e64 v3, 0xff800000, v3, s0
	v_cmp_ne_u32_e64 s0, 6, v8
	s_delay_alu instid0(VALU_DEP_1) | instskip(SKIP_1) | instid1(VALU_DEP_1)
	v_cndmask_b32_e64 v2, 0xff800000, v2, s0
	v_cmp_ne_u32_e64 s0, 5, v8
	v_cndmask_b32_e64 v1, 0xff800000, v1, s0
	v_cmp_ne_u32_e64 s0, 4, v8
	s_delay_alu instid0(VALU_DEP_1) | instskip(SKIP_1) | instid1(VALU_DEP_1)
	v_cndmask_b32_e64 v0, 0xff800000, v0, s0
	;; [unrolled: 5-line block ×3, first 2 shown]
	v_cmp_ne_u32_e64 s0, 1, v8
	v_cndmask_b32_e64 v5, 0xff800000, v5, s0
	v_cmp_ne_u32_e64 s0, 0, v8
	s_delay_alu instid0(VALU_DEP_1)
	v_cndmask_b32_e64 v4, 0xff800000, v4, s0
.LBB76_11:
	s_or_b32 exec_lo, exec_lo, s1
	s_cmp_eq_u32 s4, 1
	s_cbranch_scc1 .LBB76_18
; %bb.12:
	s_add_i32 s18, s18, s16
	v_add_nc_u32_e32 v8, 1, v13
	v_add3_u32 v26, s18, v27, v26
	v_add_nc_u32_e32 v10, 1, v11
	v_add_nc_u32_e32 v12, 1, v9
	s_add_i32 s14, s4, -1
	s_branch .LBB76_14
.LBB76_13:                              ;   in Loop: Header=BB76_14 Depth=1
	s_or_b32 exec_lo, exec_lo, s1
	v_add_nc_u32_e32 v26, s16, v26
	v_add_nc_u32_e32 v8, 1, v8
	;; [unrolled: 1-line block ×4, first 2 shown]
	s_add_i32 s14, s14, -1
	s_delay_alu instid0(SALU_CYCLE_1)
	s_cmp_eq_u32 s14, 0
	s_cbranch_scc1 .LBB76_18
.LBB76_14:                              ; =>This Inner Loop Header: Depth=1
	v_cmp_gt_f32_e64 s0, v5, v4
	s_delay_alu instid0(VALU_DEP_1) | instskip(SKIP_1) | instid1(VALU_DEP_2)
	v_cndmask_b32_e64 v11, v4, v5, s0
	v_cndmask_b32_e64 v9, v18, v19, s0
	v_cmp_gt_f32_e64 s0, v6, v11
	s_delay_alu instid0(VALU_DEP_1) | instskip(NEXT) | instid1(VALU_DEP_3)
	v_cndmask_b32_e64 v11, v11, v6, s0
	v_cndmask_b32_e64 v9, v9, v20, s0
	s_delay_alu instid0(VALU_DEP_2) | instskip(NEXT) | instid1(VALU_DEP_1)
	v_cmp_gt_f32_e64 s0, v7, v11
	v_cndmask_b32_e64 v11, v11, v7, s0
	s_delay_alu instid0(VALU_DEP_3) | instskip(NEXT) | instid1(VALU_DEP_2)
	v_cndmask_b32_e64 v9, v9, v21, s0
	v_cmp_gt_f32_e64 s0, v0, v11
	s_delay_alu instid0(VALU_DEP_1) | instskip(NEXT) | instid1(VALU_DEP_3)
	v_cndmask_b32_e64 v11, v11, v0, s0
	v_cndmask_b32_e64 v9, v9, v22, s0
	s_delay_alu instid0(VALU_DEP_2) | instskip(NEXT) | instid1(VALU_DEP_1)
	v_cmp_gt_f32_e64 s0, v1, v11
	v_cndmask_b32_e64 v11, v11, v1, s0
	s_delay_alu instid0(VALU_DEP_3) | instskip(NEXT) | instid1(VALU_DEP_2)
	v_cndmask_b32_e64 v9, v9, v23, s0
	v_cmp_gt_f32_e64 s0, v2, v11
	s_delay_alu instid0(VALU_DEP_1) | instskip(NEXT) | instid1(VALU_DEP_3)
	v_cndmask_b32_e64 v11, v11, v2, s0
	v_cndmask_b32_e64 v9, v9, v24, s0
	s_delay_alu instid0(VALU_DEP_2) | instskip(NEXT) | instid1(VALU_DEP_1)
	v_cmp_gt_f32_e64 s0, v3, v11
	v_cndmask_b32_e64 v9, v9, v25, s0
	v_cndmask_b32_e64 v11, v11, v3, s0
	s_delay_alu instid0(VALU_DEP_2) | instskip(NEXT) | instid1(VALU_DEP_2)
	v_mov_b32_dpp v13, v9 quad_perm:[1,0,3,2] row_mask:0xf bank_mask:0xf
	v_mov_b32_dpp v27, v11 quad_perm:[1,0,3,2] row_mask:0xf bank_mask:0xf
	s_delay_alu instid0(VALU_DEP_2) | instskip(NEXT) | instid1(VALU_DEP_2)
	v_cmp_lt_i32_e64 s0, v13, v9
	v_cmp_eq_f32_e64 s1, v11, v27
	v_cmp_lt_f32_e64 s2, v11, v27
	s_delay_alu instid0(VALU_DEP_2)
	s_and_b32 s0, s1, s0
	s_delay_alu instid0(VALU_DEP_1) | instid1(SALU_CYCLE_1)
	s_or_b32 s0, s2, s0
	s_delay_alu instid0(SALU_CYCLE_1) | instskip(SKIP_1) | instid1(VALU_DEP_2)
	v_cndmask_b32_e64 v11, v11, v27, s0
	v_cndmask_b32_e64 v9, v9, v13, s0
	v_mov_b32_dpp v13, v11 quad_perm:[2,3,0,1] row_mask:0xf bank_mask:0xf
	s_delay_alu instid0(VALU_DEP_2) | instskip(NEXT) | instid1(VALU_DEP_2)
	v_mov_b32_dpp v27, v9 quad_perm:[2,3,0,1] row_mask:0xf bank_mask:0xf
	v_cmp_eq_f32_e64 s0, v11, v13
	s_delay_alu instid0(VALU_DEP_2) | instskip(SKIP_1) | instid1(VALU_DEP_2)
	v_cmp_lt_i32_e64 s1, v27, v9
	v_cmp_lt_f32_e64 s2, v11, v13
	s_and_b32 s0, s0, s1
	s_delay_alu instid0(VALU_DEP_1) | instid1(SALU_CYCLE_1)
	s_or_b32 s0, s2, s0
	s_delay_alu instid0(SALU_CYCLE_1) | instskip(SKIP_1) | instid1(VALU_DEP_2)
	v_cndmask_b32_e64 v11, v11, v13, s0
	v_cndmask_b32_e64 v13, v9, v27, s0
	v_mov_b32_dpp v9, v11 row_half_mirror row_mask:0xf bank_mask:0xf
	s_delay_alu instid0(VALU_DEP_2) | instskip(NEXT) | instid1(VALU_DEP_2)
	v_mov_b32_dpp v27, v13 row_half_mirror row_mask:0xf bank_mask:0xf
	v_cmp_eq_f32_e64 s0, v11, v9
	s_delay_alu instid0(VALU_DEP_2) | instskip(SKIP_1) | instid1(VALU_DEP_2)
	v_cmp_lt_i32_e64 s1, v27, v13
	v_cmp_lt_f32_e64 s2, v11, v9
	s_and_b32 s0, s0, s1
	s_delay_alu instid0(VALU_DEP_1) | instid1(SALU_CYCLE_1)
	s_or_b32 s0, s2, s0
	s_delay_alu instid0(SALU_CYCLE_1) | instskip(SKIP_1) | instid1(VALU_DEP_2)
	v_cndmask_b32_e64 v9, v11, v9, s0
	v_cndmask_b32_e64 v13, v13, v27, s0
	v_mov_b32_dpp v11, v9 row_mirror row_mask:0xf bank_mask:0xf
	s_delay_alu instid0(VALU_DEP_2) | instskip(NEXT) | instid1(VALU_DEP_2)
	v_mov_b32_dpp v27, v13 row_mirror row_mask:0xf bank_mask:0xf
	v_cmp_eq_f32_e64 s0, v9, v11
	s_delay_alu instid0(VALU_DEP_2) | instskip(SKIP_1) | instid1(VALU_DEP_2)
	v_cmp_lt_i32_e64 s1, v27, v13
	v_cmp_lt_f32_e64 s2, v9, v11
	s_and_b32 s0, s0, s1
	s_delay_alu instid0(VALU_DEP_1) | instid1(SALU_CYCLE_1)
	s_or_b32 s0, s2, s0
	s_delay_alu instid0(SALU_CYCLE_1)
	v_cndmask_b32_e64 v27, v13, v27, s0
	s_and_saveexec_b32 s2, vcc_lo
	s_cbranch_execz .LBB76_16
; %bb.15:                               ;   in Loop: Header=BB76_14 Depth=1
	v_cndmask_b32_e64 v9, v9, v11, s0
	s_delay_alu instid0(VALU_DEP_2) | instskip(SKIP_4) | instid1(VALU_DEP_4)
	v_cmp_le_i32_e64 s0, s5, v27
	v_cmp_gt_i32_e64 s1, s6, v27
	v_ashrrev_i32_e32 v13, 31, v12
	v_subrev_nc_u32_e32 v35, s5, v27
	v_sub_f32_e32 v34, v9, v17
	s_and_b32 s0, s0, s1
	s_delay_alu instid0(SALU_CYCLE_1) | instskip(NEXT) | instid1(VALU_DEP_1)
	s_and_b32 s0, s17, s0
	v_mul_f32_e32 v9, 0x3fb8aa3b, v34
	s_delay_alu instid0(VALU_DEP_1) | instskip(SKIP_1) | instid1(VALU_DEP_2)
	v_fma_f32 v11, 0x3fb8aa3b, v34, -v9
	v_rndne_f32_e32 v28, v9
	v_fmac_f32_e32 v11, 0x32a5705f, v34
	s_delay_alu instid0(VALU_DEP_2) | instskip(SKIP_2) | instid1(VALU_DEP_3)
	v_sub_f32_e32 v9, v9, v28
	v_cvt_i32_f32_e32 v33, v28
	v_lshlrev_b64 v[28:29], 2, v[12:13]
	v_add_f32_e32 v9, v9, v11
	v_ashrrev_i32_e32 v11, 31, v10
	s_delay_alu instid0(VALU_DEP_2) | instskip(SKIP_1) | instid1(VALU_DEP_2)
	v_exp_f32_e32 v32, v9
	v_ashrrev_i32_e32 v9, 31, v8
	v_lshlrev_b64 v[30:31], 2, v[10:11]
	s_waitcnt_depctr 0xfff
	v_ldexp_f32 v11, v32, v33
	v_lshlrev_b64 v[32:33], 2, v[8:9]
	v_cndmask_b32_e64 v9, 0x80, v35, s0
	v_cmp_ngt_f32_e64 s0, 0xc2ce8ed0, v34
	s_delay_alu instid0(VALU_DEP_1) | instskip(SKIP_1) | instid1(VALU_DEP_1)
	v_cndmask_b32_e64 v11, 0, v11, s0
	v_add_co_u32 v28, s0, s12, v28
	v_add_co_ci_u32_e64 v29, s0, s13, v29, s0
	v_cmp_nlt_f32_e64 s0, 0x42b17218, v34
	s_delay_alu instid0(VALU_DEP_1) | instskip(SKIP_2) | instid1(VALU_DEP_1)
	v_cndmask_b32_e64 v11, 0x7f800000, v11, s0
	s_waitcnt lgkmcnt(0)
	v_add_co_u32 v30, s0, s8, v30
	v_add_co_ci_u32_e64 v31, s0, s9, v31, s0
	s_delay_alu instid0(VALU_DEP_3) | instskip(SKIP_1) | instid1(VALU_DEP_1)
	v_add_f32_e32 v14, v14, v11
	v_add_co_u32 v32, s0, s10, v32
	v_add_co_ci_u32_e64 v33, s0, s11, v33, s0
	global_store_b32 v[28:29], v11, off
	global_store_b32 v[30:31], v9, off
	;; [unrolled: 1-line block ×3, first 2 shown]
.LBB76_16:                              ;   in Loop: Header=BB76_14 Depth=1
	s_or_b32 exec_lo, exec_lo, s2
	s_delay_alu instid0(VALU_DEP_1) | instskip(SKIP_1) | instid1(VALU_DEP_1)
	v_ashrrev_i32_e32 v11, 31, v27
	s_mov_b32 s1, exec_lo
	v_lshrrev_b32_e32 v9, 29, v11
	s_delay_alu instid0(VALU_DEP_1) | instskip(NEXT) | instid1(VALU_DEP_1)
	v_add_nc_u32_e32 v9, v27, v9
	v_ashrrev_i32_e32 v9, 3, v9
	s_delay_alu instid0(VALU_DEP_1) | instskip(NEXT) | instid1(VALU_DEP_1)
	v_lshrrev_b32_e32 v13, 28, v9
	v_add_nc_u32_e32 v13, v9, v13
	s_delay_alu instid0(VALU_DEP_1) | instskip(NEXT) | instid1(VALU_DEP_1)
	v_and_b32_e32 v13, -16, v13
	v_sub_nc_u32_e32 v13, v9, v13
	s_delay_alu instid0(VALU_DEP_1)
	v_cmpx_eq_u32_e64 v16, v13
	s_cbranch_execz .LBB76_13
; %bb.17:                               ;   in Loop: Header=BB76_14 Depth=1
	v_lshrrev_b32_e32 v11, 25, v11
	v_lshlrev_b32_e32 v9, 3, v9
	s_delay_alu instid0(VALU_DEP_2) | instskip(NEXT) | instid1(VALU_DEP_2)
	v_add_nc_u32_e32 v11, v27, v11
	v_sub_nc_u32_e32 v9, v27, v9
	s_delay_alu instid0(VALU_DEP_2) | instskip(NEXT) | instid1(VALU_DEP_1)
	v_ashrrev_i32_e32 v11, 7, v11
	v_lshl_add_u32 v9, v11, 3, v9
	s_delay_alu instid0(VALU_DEP_1) | instskip(NEXT) | instid1(VALU_DEP_1)
	v_cmp_ne_u32_e64 s0, 7, v9
	v_cndmask_b32_e64 v3, 0xff800000, v3, s0
	v_cmp_ne_u32_e64 s0, 6, v9
	s_delay_alu instid0(VALU_DEP_1) | instskip(SKIP_1) | instid1(VALU_DEP_1)
	v_cndmask_b32_e64 v2, 0xff800000, v2, s0
	v_cmp_ne_u32_e64 s0, 5, v9
	v_cndmask_b32_e64 v1, 0xff800000, v1, s0
	v_cmp_ne_u32_e64 s0, 4, v9
	s_delay_alu instid0(VALU_DEP_1) | instskip(SKIP_1) | instid1(VALU_DEP_1)
	v_cndmask_b32_e64 v0, 0xff800000, v0, s0
	;; [unrolled: 5-line block ×3, first 2 shown]
	v_cmp_ne_u32_e64 s0, 1, v9
	v_cndmask_b32_e64 v5, 0xff800000, v5, s0
	v_cmp_ne_u32_e64 s0, 0, v9
	s_delay_alu instid0(VALU_DEP_1)
	v_cndmask_b32_e64 v4, 0xff800000, v4, s0
	s_branch .LBB76_13
.LBB76_18:
	s_delay_alu instid0(VALU_DEP_1)
	v_sub_f32_e32 v7, v7, v17
	v_sub_f32_e32 v4, v4, v17
	;; [unrolled: 1-line block ×5, first 2 shown]
	v_mul_f32_e32 v11, 0x3fb8aa3b, v7
	v_dual_sub_f32 v5, v5, v17 :: v_dual_mul_f32 v8, 0x3fb8aa3b, v4
	v_cmp_ngt_f32_e32 vcc_lo, 0xc2ce8ed0, v4
	v_sub_f32_e32 v3, v3, v17
	s_delay_alu instid0(VALU_DEP_4) | instskip(NEXT) | instid1(VALU_DEP_4)
	v_rndne_f32_e32 v23, v11
	v_fma_f32 v12, 0x3fb8aa3b, v4, -v8
	v_rndne_f32_e32 v13, v8
	s_delay_alu instid0(VALU_DEP_2) | instskip(NEXT) | instid1(VALU_DEP_2)
	v_fmac_f32_e32 v12, 0x32a5705f, v4
	v_sub_f32_e32 v8, v8, v13
	s_delay_alu instid0(VALU_DEP_1) | instskip(NEXT) | instid1(VALU_DEP_1)
	v_dual_mul_f32 v9, 0x3fb8aa3b, v5 :: v_dual_add_f32 v8, v8, v12
	v_rndne_f32_e32 v19, v9
	v_sub_f32_e32 v6, v6, v17
	v_fma_f32 v18, 0x3fb8aa3b, v5, -v9
	v_cvt_i32_f32_e32 v12, v13
	v_exp_f32_e32 v8, v8
	s_delay_alu instid0(VALU_DEP_3) | instskip(SKIP_3) | instid1(VALU_DEP_4)
	v_dual_sub_f32 v9, v9, v19 :: v_dual_mul_f32 v10, 0x3fb8aa3b, v6
	v_fma_f32 v22, 0x3fb8aa3b, v7, -v11
	v_sub_f32_e32 v11, v11, v23
	v_cvt_i32_f32_e32 v13, v19
	v_fma_f32 v20, 0x3fb8aa3b, v6, -v10
	s_delay_alu instid0(VALU_DEP_4) | instskip(SKIP_1) | instid1(TRANS32_DEP_1)
	v_fmac_f32_e32 v22, 0x32a5705f, v7
	v_fmac_f32_e32 v18, 0x32a5705f, v5
	v_ldexp_f32 v8, v8, v12
	v_rndne_f32_e32 v21, v10
	s_delay_alu instid0(VALU_DEP_4) | instskip(NEXT) | instid1(VALU_DEP_3)
	v_add_f32_e32 v11, v11, v22
	v_dual_add_f32 v9, v9, v18 :: v_dual_cndmask_b32 v8, 0, v8
	v_cmp_ngt_f32_e32 vcc_lo, 0xc2ce8ed0, v5
	s_delay_alu instid0(VALU_DEP_4) | instskip(SKIP_1) | instid1(VALU_DEP_4)
	v_sub_f32_e32 v10, v10, v21
	v_cvt_i32_f32_e32 v12, v21
	v_exp_f32_e32 v9, v9
	v_exp_f32_e32 v11, v11
	s_waitcnt_depctr 0xfff
	v_ldexp_f32 v9, v9, v13
	v_fmac_f32_e32 v20, 0x32a5705f, v6
	v_mul_f32_e32 v13, 0x3fb8aa3b, v3
	s_delay_alu instid0(VALU_DEP_3) | instskip(SKIP_1) | instid1(VALU_DEP_3)
	v_cndmask_b32_e32 v9, 0, v9, vcc_lo
	v_cmp_nlt_f32_e32 vcc_lo, 0x42b17218, v4
	v_rndne_f32_e32 v17, v13
	v_cndmask_b32_e32 v4, 0x7f800000, v8, vcc_lo
	v_cmp_nlt_f32_e32 vcc_lo, 0x42b17218, v5
	v_dual_add_f32 v10, v10, v20 :: v_dual_cndmask_b32 v5, 0x7f800000, v9
	s_delay_alu instid0(VALU_DEP_1) | instskip(SKIP_2) | instid1(VALU_DEP_3)
	v_exp_f32_e32 v10, v10
	v_cmp_ngt_f32_e32 vcc_lo, 0xc2ce8ed0, v6
	v_cvt_i32_f32_e32 v9, v23
	v_add_f32_e32 v4, v4, v5
	s_waitcnt_depctr 0xfff
	v_ldexp_f32 v10, v10, v12
	s_delay_alu instid0(VALU_DEP_1) | instskip(SKIP_2) | instid1(VALU_DEP_3)
	v_cndmask_b32_e32 v8, 0, v10, vcc_lo
	v_cmp_nlt_f32_e32 vcc_lo, 0x42b17218, v6
	v_mul_f32_e32 v10, 0x3fb8aa3b, v2
	v_cndmask_b32_e32 v5, 0x7f800000, v8, vcc_lo
	v_ldexp_f32 v8, v11, v9
	v_cmp_ngt_f32_e32 vcc_lo, 0xc2ce8ed0, v7
	s_delay_alu instid0(VALU_DEP_4)
	v_fma_f32 v11, 0x3fb8aa3b, v2, -v10
	v_rndne_f32_e32 v12, v10
	v_add_f32_e32 v4, v4, v5
	v_cndmask_b32_e32 v8, 0, v8, vcc_lo
	v_cmp_nlt_f32_e32 vcc_lo, 0x42b17218, v7
	v_fmac_f32_e32 v11, 0x32a5705f, v2
	s_delay_alu instid0(VALU_DEP_3) | instskip(SKIP_3) | instid1(VALU_DEP_4)
	v_cndmask_b32_e32 v7, 0x7f800000, v8, vcc_lo
	v_mul_f32_e32 v6, 0x3fb8aa3b, v0
	v_mul_f32_e32 v8, 0x3fb8aa3b, v1
	v_cmp_ngt_f32_e32 vcc_lo, 0xc2ce8ed0, v0
	v_add_f32_e32 v4, v4, v7
	s_delay_alu instid0(VALU_DEP_4) | instskip(SKIP_2) | instid1(VALU_DEP_2)
	v_fma_f32 v5, 0x3fb8aa3b, v0, -v6
	v_rndne_f32_e32 v9, v6
	v_rndne_f32_e32 v7, v8
	v_dual_fmac_f32 v5, 0x32a5705f, v0 :: v_dual_sub_f32 v6, v6, v9
	v_cvt_i32_f32_e32 v9, v9
	s_delay_alu instid0(VALU_DEP_2) | instskip(SKIP_3) | instid1(VALU_DEP_4)
	v_add_f32_e32 v5, v6, v5
	v_fma_f32 v6, 0x3fb8aa3b, v1, -v8
	v_sub_f32_e32 v8, v8, v7
	v_cvt_i32_f32_e32 v7, v7
	v_exp_f32_e32 v5, v5
	s_delay_alu instid0(VALU_DEP_3) | instskip(NEXT) | instid1(VALU_DEP_1)
	v_fmac_f32_e32 v6, 0x32a5705f, v1
	v_add_f32_e32 v6, v8, v6
	v_sub_f32_e32 v8, v10, v12
	v_fma_f32 v10, 0x3fb8aa3b, v3, -v13
	s_waitcnt_depctr 0xfff
	v_ldexp_f32 v5, v5, v9
	v_exp_f32_e32 v6, v6
	v_add_f32_e32 v8, v8, v11
	v_dual_fmac_f32 v10, 0x32a5705f, v3 :: v_dual_sub_f32 v9, v13, v17
	s_delay_alu instid0(VALU_DEP_3) | instskip(SKIP_1) | instid1(VALU_DEP_4)
	v_cndmask_b32_e32 v5, 0, v5, vcc_lo
	v_cmp_nlt_f32_e32 vcc_lo, 0x42b17218, v0
	v_exp_f32_e32 v8, v8
	s_delay_alu instid0(VALU_DEP_3) | instskip(NEXT) | instid1(TRANS32_DEP_2)
	v_add_f32_e32 v9, v9, v10
	v_ldexp_f32 v6, v6, v7
	v_cndmask_b32_e32 v0, 0x7f800000, v5, vcc_lo
	v_cmp_ngt_f32_e32 vcc_lo, 0xc2ce8ed0, v1
	v_cvt_i32_f32_e32 v5, v12
	v_exp_f32_e32 v7, v9
	s_delay_alu instid0(VALU_DEP_3) | instskip(SKIP_4) | instid1(VALU_DEP_4)
	v_add_f32_e32 v0, v4, v0
	v_cndmask_b32_e32 v6, 0, v6, vcc_lo
	v_cmp_nlt_f32_e32 vcc_lo, 0x42b17218, v1
	v_ldexp_f32 v4, v8, v5
	v_cvt_i32_f32_e32 v5, v17
	v_cndmask_b32_e32 v1, 0x7f800000, v6, vcc_lo
	v_cmp_ngt_f32_e32 vcc_lo, 0xc2ce8ed0, v2
	s_delay_alu instid0(TRANS32_DEP_1) | instid1(VALU_DEP_3)
	v_ldexp_f32 v5, v7, v5
	s_delay_alu instid0(VALU_DEP_3) | instskip(SKIP_2) | instid1(VALU_DEP_2)
	v_add_f32_e32 v0, v0, v1
	v_cndmask_b32_e32 v4, 0, v4, vcc_lo
	v_cmp_nlt_f32_e32 vcc_lo, 0x42b17218, v2
	v_cndmask_b32_e32 v1, 0x7f800000, v4, vcc_lo
	v_cmp_ngt_f32_e32 vcc_lo, 0xc2ce8ed0, v3
	s_delay_alu instid0(VALU_DEP_2) | instskip(SKIP_2) | instid1(VALU_DEP_2)
	v_add_f32_e32 v0, v0, v1
	v_cndmask_b32_e32 v2, 0, v5, vcc_lo
	v_cmp_nlt_f32_e32 vcc_lo, 0x42b17218, v3
	v_cndmask_b32_e32 v1, 0x7f800000, v2, vcc_lo
	v_cmp_eq_u32_e32 vcc_lo, 0, v16
	s_delay_alu instid0(VALU_DEP_2) | instskip(NEXT) | instid1(VALU_DEP_1)
	v_add_f32_e32 v0, v0, v1
	v_mov_b32_dpp v1, v0 quad_perm:[1,0,3,2] row_mask:0xf bank_mask:0xf
	s_delay_alu instid0(VALU_DEP_1) | instskip(NEXT) | instid1(VALU_DEP_1)
	v_add_f32_e32 v0, v0, v1
	v_mov_b32_dpp v1, v0 quad_perm:[2,3,0,1] row_mask:0xf bank_mask:0xf
	s_delay_alu instid0(VALU_DEP_1) | instskip(NEXT) | instid1(VALU_DEP_1)
	v_add_f32_e32 v0, v0, v1
	v_mov_b32_dpp v1, v0 row_half_mirror row_mask:0xf bank_mask:0xf
	s_delay_alu instid0(VALU_DEP_1) | instskip(NEXT) | instid1(VALU_DEP_1)
	v_add_f32_e32 v0, v0, v1
	v_mov_b32_dpp v1, v0 row_mirror row_mask:0xf bank_mask:0xf
	s_and_b32 exec_lo, exec_lo, vcc_lo
	s_cbranch_execz .LBB76_23
; %bb.19:
	s_delay_alu instid0(VALU_DEP_1) | instskip(NEXT) | instid1(VALU_DEP_1)
	v_add_f32_e32 v0, v0, v1
	v_add_f32_e32 v0, v14, v0
	s_delay_alu instid0(VALU_DEP_1)
	v_cmp_neq_f32_e32 vcc_lo, 0, v0
	s_and_b32 exec_lo, exec_lo, vcc_lo
	s_cbranch_execz .LBB76_23
; %bb.20:
	s_and_not1_b32 vcc_lo, exec_lo, s3
	s_cbranch_vccnz .LBB76_23
; %bb.21:
	v_div_scale_f32 v2, null, v0, v0, 1.0
	v_div_scale_f32 v4, vcc_lo, 1.0, v0, 1.0
	s_delay_alu instid0(VALU_DEP_2) | instskip(SKIP_2) | instid1(VALU_DEP_1)
	v_rcp_f32_e32 v3, v2
	s_waitcnt_depctr 0xfff
	v_fma_f32 v1, -v2, v3, 1.0
	v_fmac_f32_e32 v3, v1, v3
	v_mul_lo_u32 v1, v15, s7
	s_delay_alu instid0(VALU_DEP_2) | instskip(NEXT) | instid1(VALU_DEP_1)
	v_mul_f32_e32 v5, v4, v3
	v_fma_f32 v6, -v2, v5, v4
	s_delay_alu instid0(VALU_DEP_1) | instskip(NEXT) | instid1(VALU_DEP_1)
	v_fmac_f32_e32 v5, v6, v3
	v_fma_f32 v4, -v2, v5, v4
	v_ashrrev_i32_e32 v2, 31, v1
	s_delay_alu instid0(VALU_DEP_2) | instskip(NEXT) | instid1(VALU_DEP_2)
	v_div_fmas_f32 v5, v4, v3, v5
	v_lshlrev_b64 v[3:4], 2, v[1:2]
	s_delay_alu instid0(VALU_DEP_2) | instskip(NEXT) | instid1(VALU_DEP_2)
	v_div_fixup_f32 v2, v5, v0, 1.0
	v_add_co_u32 v0, vcc_lo, s12, v3
	s_delay_alu instid0(VALU_DEP_3)
	v_add_co_ci_u32_e32 v1, vcc_lo, s13, v4, vcc_lo
.LBB76_22:                              ; =>This Inner Loop Header: Depth=1
	global_load_b32 v3, v[0:1], off
	s_add_i32 s4, s4, -1
	s_delay_alu instid0(SALU_CYCLE_1)
	s_cmp_lg_u32 s4, 0
	s_waitcnt vmcnt(0)
	v_mul_f32_e32 v3, v2, v3
	global_store_b32 v[0:1], v3, off
	v_add_co_u32 v0, vcc_lo, v0, 4
	v_add_co_ci_u32_e32 v1, vcc_lo, 0, v1, vcc_lo
	s_cbranch_scc1 .LBB76_22
.LBB76_23:
	s_nop 0
	s_sendmsg sendmsg(MSG_DEALLOC_VGPRS)
	s_endpgm
	.section	.rodata,"a",@progbits
	.p2align	6, 0x0
	.amdhsa_kernel _ZN4vllm3moe17topkGatingSoftmaxIfLi8ELi128ELi8ELi32ELb0ELi2ELNS0_23SharedExpertScoringFuncE1EEEvPKT_PKbPfiPiS9_iiiiii
		.amdhsa_group_segment_fixed_size 0
		.amdhsa_private_segment_fixed_size 0
		.amdhsa_kernarg_size 72
		.amdhsa_user_sgpr_count 15
		.amdhsa_user_sgpr_dispatch_ptr 0
		.amdhsa_user_sgpr_queue_ptr 0
		.amdhsa_user_sgpr_kernarg_segment_ptr 1
		.amdhsa_user_sgpr_dispatch_id 0
		.amdhsa_user_sgpr_private_segment_size 0
		.amdhsa_wavefront_size32 1
		.amdhsa_uses_dynamic_stack 0
		.amdhsa_enable_private_segment 0
		.amdhsa_system_sgpr_workgroup_id_x 1
		.amdhsa_system_sgpr_workgroup_id_y 0
		.amdhsa_system_sgpr_workgroup_id_z 0
		.amdhsa_system_sgpr_workgroup_info 0
		.amdhsa_system_vgpr_workitem_id 1
		.amdhsa_next_free_vgpr 37
		.amdhsa_next_free_sgpr 19
		.amdhsa_reserve_vcc 1
		.amdhsa_float_round_mode_32 0
		.amdhsa_float_round_mode_16_64 0
		.amdhsa_float_denorm_mode_32 3
		.amdhsa_float_denorm_mode_16_64 3
		.amdhsa_dx10_clamp 1
		.amdhsa_ieee_mode 1
		.amdhsa_fp16_overflow 0
		.amdhsa_workgroup_processor_mode 1
		.amdhsa_memory_ordered 1
		.amdhsa_forward_progress 0
		.amdhsa_shared_vgpr_count 0
		.amdhsa_exception_fp_ieee_invalid_op 0
		.amdhsa_exception_fp_denorm_src 0
		.amdhsa_exception_fp_ieee_div_zero 0
		.amdhsa_exception_fp_ieee_overflow 0
		.amdhsa_exception_fp_ieee_underflow 0
		.amdhsa_exception_fp_ieee_inexact 0
		.amdhsa_exception_int_div_zero 0
	.end_amdhsa_kernel
	.section	.text._ZN4vllm3moe17topkGatingSoftmaxIfLi8ELi128ELi8ELi32ELb0ELi2ELNS0_23SharedExpertScoringFuncE1EEEvPKT_PKbPfiPiS9_iiiiii,"axG",@progbits,_ZN4vllm3moe17topkGatingSoftmaxIfLi8ELi128ELi8ELi32ELb0ELi2ELNS0_23SharedExpertScoringFuncE1EEEvPKT_PKbPfiPiS9_iiiiii,comdat
.Lfunc_end76:
	.size	_ZN4vllm3moe17topkGatingSoftmaxIfLi8ELi128ELi8ELi32ELb0ELi2ELNS0_23SharedExpertScoringFuncE1EEEvPKT_PKbPfiPiS9_iiiiii, .Lfunc_end76-_ZN4vllm3moe17topkGatingSoftmaxIfLi8ELi128ELi8ELi32ELb0ELi2ELNS0_23SharedExpertScoringFuncE1EEEvPKT_PKbPfiPiS9_iiiiii
                                        ; -- End function
	.section	.AMDGPU.csdata,"",@progbits
; Kernel info:
; codeLenInByte = 3988
; NumSgprs: 21
; NumVgprs: 37
; ScratchSize: 0
; MemoryBound: 0
; FloatMode: 240
; IeeeMode: 1
; LDSByteSize: 0 bytes/workgroup (compile time only)
; SGPRBlocks: 2
; VGPRBlocks: 4
; NumSGPRsForWavesPerEU: 21
; NumVGPRsForWavesPerEU: 37
; Occupancy: 16
; WaveLimiterHint : 0
; COMPUTE_PGM_RSRC2:SCRATCH_EN: 0
; COMPUTE_PGM_RSRC2:USER_SGPR: 15
; COMPUTE_PGM_RSRC2:TRAP_HANDLER: 0
; COMPUTE_PGM_RSRC2:TGID_X_EN: 1
; COMPUTE_PGM_RSRC2:TGID_Y_EN: 0
; COMPUTE_PGM_RSRC2:TGID_Z_EN: 0
; COMPUTE_PGM_RSRC2:TIDIG_COMP_CNT: 1
	.section	.text._ZN4vllm3moe17topkGatingSoftmaxIfLi8ELi128ELi8ELi32ELb1ELi4ELNS0_23SharedExpertScoringFuncE1EEEvPKT_PKbPfiPiS9_iiiiii,"axG",@progbits,_ZN4vllm3moe17topkGatingSoftmaxIfLi8ELi128ELi8ELi32ELb1ELi4ELNS0_23SharedExpertScoringFuncE1EEEvPKT_PKbPfiPiS9_iiiiii,comdat
	.protected	_ZN4vllm3moe17topkGatingSoftmaxIfLi8ELi128ELi8ELi32ELb1ELi4ELNS0_23SharedExpertScoringFuncE1EEEvPKT_PKbPfiPiS9_iiiiii ; -- Begin function _ZN4vllm3moe17topkGatingSoftmaxIfLi8ELi128ELi8ELi32ELb1ELi4ELNS0_23SharedExpertScoringFuncE1EEEvPKT_PKbPfiPiS9_iiiiii
	.globl	_ZN4vllm3moe17topkGatingSoftmaxIfLi8ELi128ELi8ELi32ELb1ELi4ELNS0_23SharedExpertScoringFuncE1EEEvPKT_PKbPfiPiS9_iiiiii
	.p2align	8
	.type	_ZN4vllm3moe17topkGatingSoftmaxIfLi8ELi128ELi8ELi32ELb1ELi4ELNS0_23SharedExpertScoringFuncE1EEEvPKT_PKbPfiPiS9_iiiiii,@function
_ZN4vllm3moe17topkGatingSoftmaxIfLi8ELi128ELi8ELi32ELb1ELi4ELNS0_23SharedExpertScoringFuncE1EEEvPKT_PKbPfiPiS9_iiiiii: ; @_ZN4vllm3moe17topkGatingSoftmaxIfLi8ELi128ELi8ELi32ELb1ELi4ELNS0_23SharedExpertScoringFuncE1EEEvPKT_PKbPfiPiS9_iiiiii
; %bb.0:
	s_load_b32 s16, s[0:1], 0x18
	v_bfe_u32 v1, v0, 10, 10
	v_and_b32_e32 v0, 0x3ff, v0
	s_lshl_b32 s18, s15, 4
	s_mov_b32 s2, exec_lo
	s_delay_alu instid0(VALU_DEP_2) | instskip(NEXT) | instid1(VALU_DEP_2)
	v_lshlrev_b32_e32 v25, 1, v1
	v_lshrrev_b32_e32 v26, 4, v0
	s_delay_alu instid0(VALU_DEP_1) | instskip(SKIP_1) | instid1(VALU_DEP_1)
	v_add3_u32 v15, s18, v25, v26
	s_waitcnt lgkmcnt(0)
	v_cmpx_gt_i32_e64 s16, v15
	s_cbranch_execz .LBB77_22
; %bb.1:
	s_clause 0x1
	s_load_b128 s[4:7], s[0:1], 0x0
	s_load_b64 s[12:13], s[0:1], 0x10
	s_waitcnt lgkmcnt(0)
	s_cmp_eq_u64 s[6:7], 0
	s_cbranch_scc1 .LBB77_3
; %bb.2:
	v_ashrrev_i32_e32 v2, 31, v15
	v_add_co_u32 v1, vcc_lo, s6, v15
	s_delay_alu instid0(VALU_DEP_2) | instskip(SKIP_3) | instid1(VALU_DEP_1)
	v_add_co_ci_u32_e32 v2, vcc_lo, s7, v2, vcc_lo
	global_load_u8 v1, v[1:2], off
	s_waitcnt vmcnt(0)
	v_and_b32_e32 v1, 1, v1
	v_cmp_eq_u32_e32 vcc_lo, 1, v1
	s_xor_b32 s2, vcc_lo, -1
	s_delay_alu instid0(SALU_CYCLE_1)
	s_or_not1_b32 s17, s2, exec_lo
	s_branch .LBB77_4
.LBB77_3:
	s_mov_b32 s17, -1
.LBB77_4:
	s_load_b64 s[14:15], s[0:1], 0x40
	v_and_b32_e32 v16, 15, v0
	s_mov_b32 s2, exec_lo
	s_delay_alu instid0(VALU_DEP_1) | instskip(SKIP_2) | instid1(VALU_DEP_1)
	v_dual_mov_b32 v14, 0 :: v_dual_lshlrev_b32 v17, 3, v16
	s_waitcnt lgkmcnt(0)
	v_mul_lo_u32 v1, v15, s15
	v_ashrrev_i32_e32 v2, 31, v1
	s_delay_alu instid0(VALU_DEP_1) | instskip(SKIP_1) | instid1(VALU_DEP_2)
	v_lshlrev_b64 v[0:1], 2, v[1:2]
	v_lshlrev_b32_e32 v2, 5, v16
	v_add_co_u32 v8, vcc_lo, s4, v0
	s_delay_alu instid0(VALU_DEP_3) | instskip(SKIP_1) | instid1(VALU_DEP_2)
	v_add_co_ci_u32_e32 v9, vcc_lo, s5, v1, vcc_lo
	s_load_b128 s[4:7], s[0:1], 0x30
	v_add_co_u32 v4, vcc_lo, v8, v2
	s_delay_alu instid0(VALU_DEP_2)
	v_add_co_ci_u32_e32 v5, vcc_lo, 0, v9, vcc_lo
	s_clause 0x1
	global_load_b128 v[0:3], v[4:5], off offset:16
	global_load_b128 v[4:7], v[4:5], off
	v_cmpx_gt_u32_e32 4, v16
	s_cbranch_execz .LBB77_6
; %bb.5:
	v_lshlrev_b32_e32 v10, 2, v16
	s_delay_alu instid0(VALU_DEP_1)
	v_add_co_u32 v8, vcc_lo, v8, v10
	v_add_co_ci_u32_e32 v9, vcc_lo, 0, v9, vcc_lo
	global_load_b32 v8, v[8:9], off offset:512
	s_waitcnt vmcnt(0)
	v_mul_f32_e32 v9, 0xbfb8aa3b, v8
	v_cmp_nlt_f32_e32 vcc_lo, 0x42ce8ed0, v8
	s_delay_alu instid0(VALU_DEP_2) | instskip(SKIP_1) | instid1(VALU_DEP_1)
	v_fma_f32 v10, 0xbfb8aa3b, v8, -v9
	v_rndne_f32_e32 v11, v9
	v_dual_fmamk_f32 v10, v8, 0xb2a5705f, v10 :: v_dual_sub_f32 v9, v9, v11
	s_delay_alu instid0(VALU_DEP_1) | instskip(SKIP_1) | instid1(VALU_DEP_2)
	v_add_f32_e32 v9, v9, v10
	v_cvt_i32_f32_e32 v10, v11
	v_exp_f32_e32 v9, v9
	s_waitcnt_depctr 0xfff
	v_ldexp_f32 v9, v9, v10
	s_delay_alu instid0(VALU_DEP_1) | instskip(SKIP_1) | instid1(VALU_DEP_2)
	v_cndmask_b32_e32 v9, 0, v9, vcc_lo
	v_cmp_ngt_f32_e32 vcc_lo, 0xc2b17218, v8
	v_cndmask_b32_e32 v8, 0x7f800000, v9, vcc_lo
	s_delay_alu instid0(VALU_DEP_1) | instskip(NEXT) | instid1(VALU_DEP_1)
	v_add_f32_e32 v10, 1.0, v8
	v_div_scale_f32 v9, null, v10, v10, 1.0
	v_div_scale_f32 v12, vcc_lo, 1.0, v10, 1.0
	s_delay_alu instid0(VALU_DEP_2) | instskip(SKIP_2) | instid1(VALU_DEP_1)
	v_rcp_f32_e32 v11, v9
	s_waitcnt_depctr 0xfff
	v_fma_f32 v8, -v9, v11, 1.0
	v_fmac_f32_e32 v11, v8, v11
	s_waitcnt lgkmcnt(0)
	v_mul_lo_u32 v8, v15, s7
	s_delay_alu instid0(VALU_DEP_2) | instskip(NEXT) | instid1(VALU_DEP_2)
	v_mul_f32_e32 v13, v12, v11
	v_add3_u32 v8, v8, s4, v16
	s_delay_alu instid0(VALU_DEP_2) | instskip(NEXT) | instid1(VALU_DEP_1)
	v_fma_f32 v18, -v9, v13, v12
	v_fmac_f32_e32 v13, v18, v11
	s_delay_alu instid0(VALU_DEP_1) | instskip(NEXT) | instid1(VALU_DEP_4)
	v_fma_f32 v12, -v9, v13, v12
	v_ashrrev_i32_e32 v9, 31, v8
	s_delay_alu instid0(VALU_DEP_2) | instskip(NEXT) | instid1(VALU_DEP_2)
	v_div_fmas_f32 v11, v12, v11, v13
	v_lshlrev_b64 v[8:9], 2, v[8:9]
	s_delay_alu instid0(VALU_DEP_2) | instskip(NEXT) | instid1(VALU_DEP_2)
	v_div_fixup_f32 v10, v11, v10, 1.0
	v_add_co_u32 v8, vcc_lo, s12, v8
	s_delay_alu instid0(VALU_DEP_3)
	v_add_co_ci_u32_e32 v9, vcc_lo, s13, v9, vcc_lo
	global_store_b32 v[8:9], v10, off
.LBB77_6:
	s_or_b32 exec_lo, exec_lo, s2
	v_or_b32_e32 v18, 1, v17
	s_waitcnt vmcnt(0)
	v_cmp_lt_f32_e32 vcc_lo, v4, v5
	v_or_b32_e32 v19, 2, v17
	v_or_b32_e32 v20, 3, v17
	;; [unrolled: 1-line block ×4, first 2 shown]
	v_dual_cndmask_b32 v8, v17, v18 :: v_dual_cndmask_b32 v9, v4, v5
	v_or_b32_e32 v23, 6, v17
	v_or_b32_e32 v24, 7, v17
	s_delay_alu instid0(VALU_DEP_3) | instskip(NEXT) | instid1(VALU_DEP_4)
	v_cmp_lt_f32_e32 vcc_lo, v9, v6
	v_dual_cndmask_b32 v8, v8, v19 :: v_dual_cndmask_b32 v9, v9, v6
	s_delay_alu instid0(VALU_DEP_1) | instskip(NEXT) | instid1(VALU_DEP_2)
	v_cmp_lt_f32_e32 vcc_lo, v9, v7
	v_dual_cndmask_b32 v8, v8, v20 :: v_dual_cndmask_b32 v9, v9, v7
	s_delay_alu instid0(VALU_DEP_1) | instskip(NEXT) | instid1(VALU_DEP_2)
	;; [unrolled: 3-line block ×6, first 2 shown]
	v_mov_b32_dpp v10, v8 quad_perm:[1,0,3,2] row_mask:0xf bank_mask:0xf
	v_mov_b32_dpp v11, v9 quad_perm:[1,0,3,2] row_mask:0xf bank_mask:0xf
	s_delay_alu instid0(VALU_DEP_2) | instskip(NEXT) | instid1(VALU_DEP_2)
	v_cmp_lt_i32_e32 vcc_lo, v10, v8
	v_cmp_eq_f32_e64 s2, v9, v11
	v_cmp_lt_f32_e64 s3, v9, v11
	s_delay_alu instid0(VALU_DEP_2)
	s_and_b32 s2, s2, vcc_lo
	s_delay_alu instid0(VALU_DEP_1) | instid1(SALU_CYCLE_1)
	s_or_b32 vcc_lo, s3, s2
	v_dual_cndmask_b32 v9, v9, v11 :: v_dual_cndmask_b32 v8, v8, v10
	s_delay_alu instid0(VALU_DEP_1) | instskip(NEXT) | instid1(VALU_DEP_2)
	v_mov_b32_dpp v10, v9 quad_perm:[2,3,0,1] row_mask:0xf bank_mask:0xf
	v_mov_b32_dpp v11, v8 quad_perm:[2,3,0,1] row_mask:0xf bank_mask:0xf
	s_delay_alu instid0(VALU_DEP_2) | instskip(NEXT) | instid1(VALU_DEP_2)
	v_cmp_eq_f32_e32 vcc_lo, v9, v10
	v_cmp_lt_i32_e64 s2, v11, v8
	v_cmp_lt_f32_e64 s3, v9, v10
	s_delay_alu instid0(VALU_DEP_2)
	s_and_b32 s2, vcc_lo, s2
	s_delay_alu instid0(VALU_DEP_1) | instid1(SALU_CYCLE_1)
	s_or_b32 vcc_lo, s3, s2
	v_dual_cndmask_b32 v9, v9, v10 :: v_dual_cndmask_b32 v8, v8, v11
	s_delay_alu instid0(VALU_DEP_1) | instskip(NEXT) | instid1(VALU_DEP_2)
	v_mov_b32_dpp v10, v9 row_half_mirror row_mask:0xf bank_mask:0xf
	v_mov_b32_dpp v11, v8 row_half_mirror row_mask:0xf bank_mask:0xf
	s_delay_alu instid0(VALU_DEP_2) | instskip(NEXT) | instid1(VALU_DEP_2)
	v_cmp_eq_f32_e32 vcc_lo, v9, v10
	v_cmp_lt_i32_e64 s2, v11, v8
	v_cmp_lt_f32_e64 s3, v9, v10
	s_delay_alu instid0(VALU_DEP_2)
	s_and_b32 s2, vcc_lo, s2
	s_delay_alu instid0(VALU_DEP_1) | instid1(SALU_CYCLE_1)
	s_or_b32 vcc_lo, s3, s2
	s_waitcnt lgkmcnt(0)
	s_cmp_gt_i32 s4, 0
	v_cndmask_b32_e32 v10, v9, v10, vcc_lo
	v_cndmask_b32_e32 v8, v8, v11, vcc_lo
	v_cmp_eq_u32_e32 vcc_lo, 0, v16
	s_cselect_b32 s3, -1, 0
	s_cmp_lt_i32 s4, 1
	v_mov_b32_dpp v12, v10 row_mirror row_mask:0xf bank_mask:0xf
	v_mov_b32_dpp v27, v8 row_mirror row_mask:0xf bank_mask:0xf
	s_cbranch_scc1 .LBB77_18
; %bb.7:
	s_load_b128 s[8:11], s[0:1], 0x20
	s_delay_alu instid0(VALU_DEP_2) | instskip(NEXT) | instid1(VALU_DEP_2)
	v_cmp_eq_f32_e64 s0, v10, v12
	v_cmp_lt_i32_e64 s1, v27, v8
	v_cmp_lt_f32_e64 s2, v10, v12
	v_mul_lo_u32 v9, v15, s7
	v_mul_lo_u32 v11, v15, s14
	;; [unrolled: 1-line block ×3, first 2 shown]
	s_and_b32 s0, s0, s1
	v_mov_b32_e32 v14, 0
	s_or_b32 s0, s2, s0
	s_delay_alu instid0(SALU_CYCLE_1)
	v_cndmask_b32_e64 v8, v8, v27, s0
	v_cndmask_b32_e64 v27, v10, v12, s0
	s_and_saveexec_b32 s2, vcc_lo
	s_cbranch_execz .LBB77_9
; %bb.8:
	s_delay_alu instid0(VALU_DEP_1)
	v_sub_f32_e32 v34, v27, v27
	v_cmp_le_i32_e64 s0, s5, v8
	v_cmp_gt_i32_e64 s1, s6, v8
	v_subrev_nc_u32_e32 v35, s5, v8
	v_ashrrev_i32_e32 v14, 31, v13
	v_mul_f32_e32 v10, 0x3fb8aa3b, v34
	s_delay_alu instid0(VALU_DEP_4) | instskip(NEXT) | instid1(SALU_CYCLE_1)
	s_and_b32 s0, s0, s1
	s_and_b32 s0, s17, s0
	s_delay_alu instid0(VALU_DEP_1) | instskip(SKIP_2) | instid1(VALU_DEP_3)
	v_rndne_f32_e32 v30, v10
	v_fma_f32 v12, 0x3fb8aa3b, v34, -v10
	v_lshlrev_b64 v[32:33], 2, v[13:14]
	v_sub_f32_e32 v10, v10, v30
	s_delay_alu instid0(VALU_DEP_3) | instskip(NEXT) | instid1(VALU_DEP_1)
	v_fmamk_f32 v12, v34, 0x32a5705f, v12
	v_add_f32_e32 v12, v10, v12
	v_ashrrev_i32_e32 v10, 31, v9
	s_delay_alu instid0(VALU_DEP_2) | instskip(NEXT) | instid1(VALU_DEP_1)
	v_exp_f32_e32 v36, v12
	v_lshlrev_b64 v[28:29], 2, v[9:10]
	v_ashrrev_i32_e32 v12, 31, v11
	v_cvt_i32_f32_e32 v10, v30
	s_delay_alu instid0(VALU_DEP_2) | instskip(SKIP_2) | instid1(VALU_DEP_1)
	v_lshlrev_b64 v[30:31], 2, v[11:12]
	v_cndmask_b32_e64 v12, 0x80, v35, s0
	v_add_co_u32 v28, s0, s12, v28
	v_add_co_ci_u32_e64 v29, s0, s13, v29, s0
	s_delay_alu instid0(TRANS32_DEP_1) | instskip(SKIP_1) | instid1(VALU_DEP_1)
	v_ldexp_f32 v10, v36, v10
	v_cmp_ngt_f32_e64 s0, 0xc2ce8ed0, v34
	v_cndmask_b32_e64 v10, 0, v10, s0
	s_waitcnt lgkmcnt(0)
	v_add_co_u32 v30, s0, s8, v30
	s_delay_alu instid0(VALU_DEP_1) | instskip(SKIP_1) | instid1(VALU_DEP_1)
	v_add_co_ci_u32_e64 v31, s0, s9, v31, s0
	v_cmp_nlt_f32_e64 s0, 0x42b17218, v34
	v_cndmask_b32_e64 v14, 0x7f800000, v10, s0
	v_add_co_u32 v32, s0, s10, v32
	s_delay_alu instid0(VALU_DEP_1)
	v_add_co_ci_u32_e64 v33, s0, s11, v33, s0
	global_store_b32 v[30:31], v12, off
	global_store_b32 v[28:29], v14, off
	;; [unrolled: 1-line block ×3, first 2 shown]
.LBB77_9:
	s_or_b32 exec_lo, exec_lo, s2
	v_ashrrev_i32_e32 v12, 31, v8
	s_mov_b32 s1, exec_lo
	s_delay_alu instid0(VALU_DEP_1) | instskip(NEXT) | instid1(VALU_DEP_1)
	v_lshrrev_b32_e32 v10, 29, v12
	v_add_nc_u32_e32 v10, v8, v10
	s_delay_alu instid0(VALU_DEP_1) | instskip(NEXT) | instid1(VALU_DEP_1)
	v_ashrrev_i32_e32 v10, 3, v10
	v_lshrrev_b32_e32 v28, 28, v10
	s_delay_alu instid0(VALU_DEP_1) | instskip(NEXT) | instid1(VALU_DEP_1)
	v_add_nc_u32_e32 v28, v10, v28
	v_and_b32_e32 v28, -16, v28
	s_delay_alu instid0(VALU_DEP_1) | instskip(NEXT) | instid1(VALU_DEP_1)
	v_sub_nc_u32_e32 v28, v10, v28
	v_cmpx_eq_u32_e64 v16, v28
	s_cbranch_execz .LBB77_11
; %bb.10:
	v_lshrrev_b32_e32 v12, 25, v12
	v_lshlrev_b32_e32 v10, 3, v10
	s_delay_alu instid0(VALU_DEP_2) | instskip(NEXT) | instid1(VALU_DEP_2)
	v_add_nc_u32_e32 v12, v8, v12
	v_sub_nc_u32_e32 v8, v8, v10
	s_delay_alu instid0(VALU_DEP_2) | instskip(NEXT) | instid1(VALU_DEP_1)
	v_ashrrev_i32_e32 v10, 7, v12
	v_lshl_add_u32 v8, v10, 3, v8
	s_delay_alu instid0(VALU_DEP_1) | instskip(NEXT) | instid1(VALU_DEP_1)
	v_cmp_ne_u32_e64 s0, 7, v8
	v_cndmask_b32_e64 v3, 0xff800000, v3, s0
	v_cmp_ne_u32_e64 s0, 6, v8
	s_delay_alu instid0(VALU_DEP_1) | instskip(SKIP_1) | instid1(VALU_DEP_1)
	v_cndmask_b32_e64 v2, 0xff800000, v2, s0
	v_cmp_ne_u32_e64 s0, 5, v8
	v_cndmask_b32_e64 v1, 0xff800000, v1, s0
	v_cmp_ne_u32_e64 s0, 4, v8
	s_delay_alu instid0(VALU_DEP_1) | instskip(SKIP_1) | instid1(VALU_DEP_1)
	v_cndmask_b32_e64 v0, 0xff800000, v0, s0
	;; [unrolled: 5-line block ×3, first 2 shown]
	v_cmp_ne_u32_e64 s0, 1, v8
	v_cndmask_b32_e64 v5, 0xff800000, v5, s0
	v_cmp_ne_u32_e64 s0, 0, v8
	s_delay_alu instid0(VALU_DEP_1)
	v_cndmask_b32_e64 v4, 0xff800000, v4, s0
.LBB77_11:
	s_or_b32 exec_lo, exec_lo, s1
	s_cmp_eq_u32 s4, 1
	s_cbranch_scc1 .LBB77_18
; %bb.12:
	s_add_i32 s18, s18, s16
	v_add_nc_u32_e32 v8, 1, v13
	v_add3_u32 v25, s18, v26, v25
	v_add_nc_u32_e32 v10, 1, v11
	v_add_nc_u32_e32 v12, 1, v9
	s_add_i32 s14, s4, -1
	s_branch .LBB77_14
.LBB77_13:                              ;   in Loop: Header=BB77_14 Depth=1
	s_or_b32 exec_lo, exec_lo, s1
	v_add_nc_u32_e32 v25, s16, v25
	v_add_nc_u32_e32 v8, 1, v8
	;; [unrolled: 1-line block ×4, first 2 shown]
	s_add_i32 s14, s14, -1
	s_delay_alu instid0(SALU_CYCLE_1)
	s_cmp_eq_u32 s14, 0
	s_cbranch_scc1 .LBB77_18
.LBB77_14:                              ; =>This Inner Loop Header: Depth=1
	v_cmp_gt_f32_e64 s0, v5, v4
	s_delay_alu instid0(VALU_DEP_1) | instskip(SKIP_1) | instid1(VALU_DEP_2)
	v_cndmask_b32_e64 v11, v4, v5, s0
	v_cndmask_b32_e64 v9, v17, v18, s0
	v_cmp_gt_f32_e64 s0, v6, v11
	s_delay_alu instid0(VALU_DEP_1) | instskip(NEXT) | instid1(VALU_DEP_3)
	v_cndmask_b32_e64 v11, v11, v6, s0
	v_cndmask_b32_e64 v9, v9, v19, s0
	s_delay_alu instid0(VALU_DEP_2) | instskip(NEXT) | instid1(VALU_DEP_1)
	v_cmp_gt_f32_e64 s0, v7, v11
	v_cndmask_b32_e64 v11, v11, v7, s0
	s_delay_alu instid0(VALU_DEP_3) | instskip(NEXT) | instid1(VALU_DEP_2)
	v_cndmask_b32_e64 v9, v9, v20, s0
	v_cmp_gt_f32_e64 s0, v0, v11
	s_delay_alu instid0(VALU_DEP_1) | instskip(NEXT) | instid1(VALU_DEP_3)
	v_cndmask_b32_e64 v11, v11, v0, s0
	v_cndmask_b32_e64 v9, v9, v21, s0
	s_delay_alu instid0(VALU_DEP_2) | instskip(NEXT) | instid1(VALU_DEP_1)
	v_cmp_gt_f32_e64 s0, v1, v11
	v_cndmask_b32_e64 v11, v11, v1, s0
	s_delay_alu instid0(VALU_DEP_3) | instskip(NEXT) | instid1(VALU_DEP_2)
	v_cndmask_b32_e64 v9, v9, v22, s0
	v_cmp_gt_f32_e64 s0, v2, v11
	s_delay_alu instid0(VALU_DEP_1) | instskip(NEXT) | instid1(VALU_DEP_3)
	v_cndmask_b32_e64 v11, v11, v2, s0
	v_cndmask_b32_e64 v9, v9, v23, s0
	s_delay_alu instid0(VALU_DEP_2) | instskip(NEXT) | instid1(VALU_DEP_1)
	v_cmp_gt_f32_e64 s0, v3, v11
	v_cndmask_b32_e64 v9, v9, v24, s0
	v_cndmask_b32_e64 v11, v11, v3, s0
	s_delay_alu instid0(VALU_DEP_2) | instskip(NEXT) | instid1(VALU_DEP_2)
	v_mov_b32_dpp v13, v9 quad_perm:[1,0,3,2] row_mask:0xf bank_mask:0xf
	v_mov_b32_dpp v26, v11 quad_perm:[1,0,3,2] row_mask:0xf bank_mask:0xf
	s_delay_alu instid0(VALU_DEP_2) | instskip(NEXT) | instid1(VALU_DEP_2)
	v_cmp_lt_i32_e64 s0, v13, v9
	v_cmp_eq_f32_e64 s1, v11, v26
	v_cmp_lt_f32_e64 s2, v11, v26
	s_delay_alu instid0(VALU_DEP_2)
	s_and_b32 s0, s1, s0
	s_delay_alu instid0(VALU_DEP_1) | instid1(SALU_CYCLE_1)
	s_or_b32 s0, s2, s0
	s_delay_alu instid0(SALU_CYCLE_1) | instskip(SKIP_1) | instid1(VALU_DEP_2)
	v_cndmask_b32_e64 v11, v11, v26, s0
	v_cndmask_b32_e64 v9, v9, v13, s0
	v_mov_b32_dpp v13, v11 quad_perm:[2,3,0,1] row_mask:0xf bank_mask:0xf
	s_delay_alu instid0(VALU_DEP_2) | instskip(NEXT) | instid1(VALU_DEP_2)
	v_mov_b32_dpp v26, v9 quad_perm:[2,3,0,1] row_mask:0xf bank_mask:0xf
	v_cmp_eq_f32_e64 s0, v11, v13
	s_delay_alu instid0(VALU_DEP_2) | instskip(SKIP_1) | instid1(VALU_DEP_2)
	v_cmp_lt_i32_e64 s1, v26, v9
	v_cmp_lt_f32_e64 s2, v11, v13
	s_and_b32 s0, s0, s1
	s_delay_alu instid0(VALU_DEP_1) | instid1(SALU_CYCLE_1)
	s_or_b32 s0, s2, s0
	s_delay_alu instid0(SALU_CYCLE_1) | instskip(SKIP_1) | instid1(VALU_DEP_2)
	v_cndmask_b32_e64 v11, v11, v13, s0
	v_cndmask_b32_e64 v13, v9, v26, s0
	v_mov_b32_dpp v9, v11 row_half_mirror row_mask:0xf bank_mask:0xf
	s_delay_alu instid0(VALU_DEP_2) | instskip(NEXT) | instid1(VALU_DEP_2)
	v_mov_b32_dpp v26, v13 row_half_mirror row_mask:0xf bank_mask:0xf
	v_cmp_eq_f32_e64 s0, v11, v9
	s_delay_alu instid0(VALU_DEP_2) | instskip(SKIP_1) | instid1(VALU_DEP_2)
	v_cmp_lt_i32_e64 s1, v26, v13
	v_cmp_lt_f32_e64 s2, v11, v9
	s_and_b32 s0, s0, s1
	s_delay_alu instid0(VALU_DEP_1) | instid1(SALU_CYCLE_1)
	s_or_b32 s0, s2, s0
	s_delay_alu instid0(SALU_CYCLE_1) | instskip(SKIP_1) | instid1(VALU_DEP_2)
	v_cndmask_b32_e64 v9, v11, v9, s0
	v_cndmask_b32_e64 v13, v13, v26, s0
	v_mov_b32_dpp v11, v9 row_mirror row_mask:0xf bank_mask:0xf
	s_delay_alu instid0(VALU_DEP_2) | instskip(NEXT) | instid1(VALU_DEP_2)
	v_mov_b32_dpp v26, v13 row_mirror row_mask:0xf bank_mask:0xf
	v_cmp_eq_f32_e64 s0, v9, v11
	s_delay_alu instid0(VALU_DEP_2) | instskip(SKIP_1) | instid1(VALU_DEP_2)
	v_cmp_lt_i32_e64 s1, v26, v13
	v_cmp_lt_f32_e64 s2, v9, v11
	s_and_b32 s0, s0, s1
	s_delay_alu instid0(VALU_DEP_1) | instid1(SALU_CYCLE_1)
	s_or_b32 s0, s2, s0
	s_delay_alu instid0(SALU_CYCLE_1)
	v_cndmask_b32_e64 v26, v13, v26, s0
	s_and_saveexec_b32 s2, vcc_lo
	s_cbranch_execz .LBB77_16
; %bb.15:                               ;   in Loop: Header=BB77_14 Depth=1
	v_cndmask_b32_e64 v9, v9, v11, s0
	s_delay_alu instid0(VALU_DEP_2) | instskip(SKIP_4) | instid1(VALU_DEP_4)
	v_cmp_le_i32_e64 s0, s5, v26
	v_cmp_gt_i32_e64 s1, s6, v26
	v_ashrrev_i32_e32 v13, 31, v12
	v_subrev_nc_u32_e32 v35, s5, v26
	v_sub_f32_e32 v34, v9, v27
	s_and_b32 s0, s0, s1
	s_delay_alu instid0(SALU_CYCLE_1) | instskip(NEXT) | instid1(VALU_DEP_1)
	s_and_b32 s0, s17, s0
	v_mul_f32_e32 v9, 0x3fb8aa3b, v34
	s_delay_alu instid0(VALU_DEP_1) | instskip(SKIP_1) | instid1(VALU_DEP_2)
	v_fma_f32 v11, 0x3fb8aa3b, v34, -v9
	v_rndne_f32_e32 v28, v9
	v_fmac_f32_e32 v11, 0x32a5705f, v34
	s_delay_alu instid0(VALU_DEP_2) | instskip(SKIP_2) | instid1(VALU_DEP_3)
	v_sub_f32_e32 v9, v9, v28
	v_cvt_i32_f32_e32 v33, v28
	v_lshlrev_b64 v[28:29], 2, v[12:13]
	v_add_f32_e32 v9, v9, v11
	v_ashrrev_i32_e32 v11, 31, v10
	s_delay_alu instid0(VALU_DEP_2) | instskip(SKIP_1) | instid1(VALU_DEP_2)
	v_exp_f32_e32 v32, v9
	v_ashrrev_i32_e32 v9, 31, v8
	v_lshlrev_b64 v[30:31], 2, v[10:11]
	s_waitcnt_depctr 0xfff
	v_ldexp_f32 v11, v32, v33
	v_lshlrev_b64 v[32:33], 2, v[8:9]
	v_cndmask_b32_e64 v9, 0x80, v35, s0
	v_cmp_ngt_f32_e64 s0, 0xc2ce8ed0, v34
	s_delay_alu instid0(VALU_DEP_1) | instskip(SKIP_1) | instid1(VALU_DEP_1)
	v_cndmask_b32_e64 v11, 0, v11, s0
	v_add_co_u32 v28, s0, s12, v28
	v_add_co_ci_u32_e64 v29, s0, s13, v29, s0
	v_cmp_nlt_f32_e64 s0, 0x42b17218, v34
	s_delay_alu instid0(VALU_DEP_1) | instskip(SKIP_2) | instid1(VALU_DEP_1)
	v_cndmask_b32_e64 v11, 0x7f800000, v11, s0
	s_waitcnt lgkmcnt(0)
	v_add_co_u32 v30, s0, s8, v30
	v_add_co_ci_u32_e64 v31, s0, s9, v31, s0
	s_delay_alu instid0(VALU_DEP_3) | instskip(SKIP_1) | instid1(VALU_DEP_1)
	v_add_f32_e32 v14, v14, v11
	v_add_co_u32 v32, s0, s10, v32
	v_add_co_ci_u32_e64 v33, s0, s11, v33, s0
	global_store_b32 v[28:29], v11, off
	global_store_b32 v[30:31], v9, off
	global_store_b32 v[32:33], v25, off
.LBB77_16:                              ;   in Loop: Header=BB77_14 Depth=1
	s_or_b32 exec_lo, exec_lo, s2
	s_delay_alu instid0(VALU_DEP_1) | instskip(SKIP_1) | instid1(VALU_DEP_1)
	v_ashrrev_i32_e32 v11, 31, v26
	s_mov_b32 s1, exec_lo
	v_lshrrev_b32_e32 v9, 29, v11
	s_delay_alu instid0(VALU_DEP_1) | instskip(NEXT) | instid1(VALU_DEP_1)
	v_add_nc_u32_e32 v9, v26, v9
	v_ashrrev_i32_e32 v9, 3, v9
	s_delay_alu instid0(VALU_DEP_1) | instskip(NEXT) | instid1(VALU_DEP_1)
	v_lshrrev_b32_e32 v13, 28, v9
	v_add_nc_u32_e32 v13, v9, v13
	s_delay_alu instid0(VALU_DEP_1) | instskip(NEXT) | instid1(VALU_DEP_1)
	v_and_b32_e32 v13, -16, v13
	v_sub_nc_u32_e32 v13, v9, v13
	s_delay_alu instid0(VALU_DEP_1)
	v_cmpx_eq_u32_e64 v16, v13
	s_cbranch_execz .LBB77_13
; %bb.17:                               ;   in Loop: Header=BB77_14 Depth=1
	v_lshrrev_b32_e32 v11, 25, v11
	v_lshlrev_b32_e32 v9, 3, v9
	s_delay_alu instid0(VALU_DEP_2) | instskip(NEXT) | instid1(VALU_DEP_2)
	v_add_nc_u32_e32 v11, v26, v11
	v_sub_nc_u32_e32 v9, v26, v9
	s_delay_alu instid0(VALU_DEP_2) | instskip(NEXT) | instid1(VALU_DEP_1)
	v_ashrrev_i32_e32 v11, 7, v11
	v_lshl_add_u32 v9, v11, 3, v9
	s_delay_alu instid0(VALU_DEP_1) | instskip(NEXT) | instid1(VALU_DEP_1)
	v_cmp_ne_u32_e64 s0, 7, v9
	v_cndmask_b32_e64 v3, 0xff800000, v3, s0
	v_cmp_ne_u32_e64 s0, 6, v9
	s_delay_alu instid0(VALU_DEP_1) | instskip(SKIP_1) | instid1(VALU_DEP_1)
	v_cndmask_b32_e64 v2, 0xff800000, v2, s0
	v_cmp_ne_u32_e64 s0, 5, v9
	v_cndmask_b32_e64 v1, 0xff800000, v1, s0
	v_cmp_ne_u32_e64 s0, 4, v9
	s_delay_alu instid0(VALU_DEP_1) | instskip(SKIP_1) | instid1(VALU_DEP_1)
	v_cndmask_b32_e64 v0, 0xff800000, v0, s0
	;; [unrolled: 5-line block ×3, first 2 shown]
	v_cmp_ne_u32_e64 s0, 1, v9
	v_cndmask_b32_e64 v5, 0xff800000, v5, s0
	v_cmp_ne_u32_e64 s0, 0, v9
	s_delay_alu instid0(VALU_DEP_1)
	v_cndmask_b32_e64 v4, 0xff800000, v4, s0
	s_branch .LBB77_13
.LBB77_18:
	v_cmp_eq_u32_e32 vcc_lo, 0, v16
	v_cmp_neq_f32_e64 s0, 0, v14
	s_delay_alu instid0(VALU_DEP_1) | instskip(NEXT) | instid1(SALU_CYCLE_1)
	s_and_b32 s0, vcc_lo, s0
	s_and_b32 exec_lo, exec_lo, s0
	s_cbranch_execz .LBB77_22
; %bb.19:
	s_and_not1_b32 vcc_lo, exec_lo, s3
	s_cbranch_vccnz .LBB77_22
; %bb.20:
	v_div_scale_f32 v1, null, v14, v14, 1.0
	v_div_scale_f32 v3, vcc_lo, 1.0, v14, 1.0
	s_delay_alu instid0(VALU_DEP_2) | instskip(SKIP_2) | instid1(VALU_DEP_1)
	v_rcp_f32_e32 v2, v1
	s_waitcnt_depctr 0xfff
	v_fma_f32 v0, -v1, v2, 1.0
	v_fmac_f32_e32 v2, v0, v2
	v_mul_lo_u32 v0, v15, s7
	s_delay_alu instid0(VALU_DEP_2) | instskip(NEXT) | instid1(VALU_DEP_1)
	v_mul_f32_e32 v4, v3, v2
	v_fma_f32 v5, -v1, v4, v3
	s_delay_alu instid0(VALU_DEP_1) | instskip(NEXT) | instid1(VALU_DEP_1)
	v_fmac_f32_e32 v4, v5, v2
	v_fma_f32 v3, -v1, v4, v3
	v_ashrrev_i32_e32 v1, 31, v0
	s_delay_alu instid0(VALU_DEP_2) | instskip(NEXT) | instid1(VALU_DEP_2)
	v_div_fmas_f32 v2, v3, v2, v4
	v_lshlrev_b64 v[0:1], 2, v[0:1]
	s_delay_alu instid0(VALU_DEP_2) | instskip(NEXT) | instid1(VALU_DEP_2)
	v_div_fixup_f32 v2, v2, v14, 1.0
	v_add_co_u32 v0, vcc_lo, s12, v0
	s_delay_alu instid0(VALU_DEP_3)
	v_add_co_ci_u32_e32 v1, vcc_lo, s13, v1, vcc_lo
.LBB77_21:                              ; =>This Inner Loop Header: Depth=1
	global_load_b32 v3, v[0:1], off
	s_add_i32 s4, s4, -1
	s_delay_alu instid0(SALU_CYCLE_1)
	s_cmp_lg_u32 s4, 0
	s_waitcnt vmcnt(0)
	v_mul_f32_e32 v3, v2, v3
	global_store_b32 v[0:1], v3, off
	v_add_co_u32 v0, vcc_lo, v0, 4
	v_add_co_ci_u32_e32 v1, vcc_lo, 0, v1, vcc_lo
	s_cbranch_scc1 .LBB77_21
.LBB77_22:
	s_nop 0
	s_sendmsg sendmsg(MSG_DEALLOC_VGPRS)
	s_endpgm
	.section	.rodata,"a",@progbits
	.p2align	6, 0x0
	.amdhsa_kernel _ZN4vllm3moe17topkGatingSoftmaxIfLi8ELi128ELi8ELi32ELb1ELi4ELNS0_23SharedExpertScoringFuncE1EEEvPKT_PKbPfiPiS9_iiiiii
		.amdhsa_group_segment_fixed_size 0
		.amdhsa_private_segment_fixed_size 0
		.amdhsa_kernarg_size 72
		.amdhsa_user_sgpr_count 15
		.amdhsa_user_sgpr_dispatch_ptr 0
		.amdhsa_user_sgpr_queue_ptr 0
		.amdhsa_user_sgpr_kernarg_segment_ptr 1
		.amdhsa_user_sgpr_dispatch_id 0
		.amdhsa_user_sgpr_private_segment_size 0
		.amdhsa_wavefront_size32 1
		.amdhsa_uses_dynamic_stack 0
		.amdhsa_enable_private_segment 0
		.amdhsa_system_sgpr_workgroup_id_x 1
		.amdhsa_system_sgpr_workgroup_id_y 0
		.amdhsa_system_sgpr_workgroup_id_z 0
		.amdhsa_system_sgpr_workgroup_info 0
		.amdhsa_system_vgpr_workitem_id 1
		.amdhsa_next_free_vgpr 37
		.amdhsa_next_free_sgpr 19
		.amdhsa_reserve_vcc 1
		.amdhsa_float_round_mode_32 0
		.amdhsa_float_round_mode_16_64 0
		.amdhsa_float_denorm_mode_32 3
		.amdhsa_float_denorm_mode_16_64 3
		.amdhsa_dx10_clamp 1
		.amdhsa_ieee_mode 1
		.amdhsa_fp16_overflow 0
		.amdhsa_workgroup_processor_mode 1
		.amdhsa_memory_ordered 1
		.amdhsa_forward_progress 0
		.amdhsa_shared_vgpr_count 0
		.amdhsa_exception_fp_ieee_invalid_op 0
		.amdhsa_exception_fp_denorm_src 0
		.amdhsa_exception_fp_ieee_div_zero 0
		.amdhsa_exception_fp_ieee_overflow 0
		.amdhsa_exception_fp_ieee_underflow 0
		.amdhsa_exception_fp_ieee_inexact 0
		.amdhsa_exception_int_div_zero 0
	.end_amdhsa_kernel
	.section	.text._ZN4vllm3moe17topkGatingSoftmaxIfLi8ELi128ELi8ELi32ELb1ELi4ELNS0_23SharedExpertScoringFuncE1EEEvPKT_PKbPfiPiS9_iiiiii,"axG",@progbits,_ZN4vllm3moe17topkGatingSoftmaxIfLi8ELi128ELi8ELi32ELb1ELi4ELNS0_23SharedExpertScoringFuncE1EEEvPKT_PKbPfiPiS9_iiiiii,comdat
.Lfunc_end77:
	.size	_ZN4vllm3moe17topkGatingSoftmaxIfLi8ELi128ELi8ELi32ELb1ELi4ELNS0_23SharedExpertScoringFuncE1EEEvPKT_PKbPfiPiS9_iiiiii, .Lfunc_end77-_ZN4vllm3moe17topkGatingSoftmaxIfLi8ELi128ELi8ELi32ELb1ELi4ELNS0_23SharedExpertScoringFuncE1EEEvPKT_PKbPfiPiS9_iiiiii
                                        ; -- End function
	.section	.AMDGPU.csdata,"",@progbits
; Kernel info:
; codeLenInByte = 3088
; NumSgprs: 21
; NumVgprs: 37
; ScratchSize: 0
; MemoryBound: 0
; FloatMode: 240
; IeeeMode: 1
; LDSByteSize: 0 bytes/workgroup (compile time only)
; SGPRBlocks: 2
; VGPRBlocks: 4
; NumSGPRsForWavesPerEU: 21
; NumVGPRsForWavesPerEU: 37
; Occupancy: 16
; WaveLimiterHint : 0
; COMPUTE_PGM_RSRC2:SCRATCH_EN: 0
; COMPUTE_PGM_RSRC2:USER_SGPR: 15
; COMPUTE_PGM_RSRC2:TRAP_HANDLER: 0
; COMPUTE_PGM_RSRC2:TGID_X_EN: 1
; COMPUTE_PGM_RSRC2:TGID_Y_EN: 0
; COMPUTE_PGM_RSRC2:TGID_Z_EN: 0
; COMPUTE_PGM_RSRC2:TIDIG_COMP_CNT: 1
	.section	.text._ZN4vllm3moe17topkGatingSoftmaxIfLi8ELi128ELi8ELi32ELb0ELi4ELNS0_23SharedExpertScoringFuncE1EEEvPKT_PKbPfiPiS9_iiiiii,"axG",@progbits,_ZN4vllm3moe17topkGatingSoftmaxIfLi8ELi128ELi8ELi32ELb0ELi4ELNS0_23SharedExpertScoringFuncE1EEEvPKT_PKbPfiPiS9_iiiiii,comdat
	.protected	_ZN4vllm3moe17topkGatingSoftmaxIfLi8ELi128ELi8ELi32ELb0ELi4ELNS0_23SharedExpertScoringFuncE1EEEvPKT_PKbPfiPiS9_iiiiii ; -- Begin function _ZN4vllm3moe17topkGatingSoftmaxIfLi8ELi128ELi8ELi32ELb0ELi4ELNS0_23SharedExpertScoringFuncE1EEEvPKT_PKbPfiPiS9_iiiiii
	.globl	_ZN4vllm3moe17topkGatingSoftmaxIfLi8ELi128ELi8ELi32ELb0ELi4ELNS0_23SharedExpertScoringFuncE1EEEvPKT_PKbPfiPiS9_iiiiii
	.p2align	8
	.type	_ZN4vllm3moe17topkGatingSoftmaxIfLi8ELi128ELi8ELi32ELb0ELi4ELNS0_23SharedExpertScoringFuncE1EEEvPKT_PKbPfiPiS9_iiiiii,@function
_ZN4vllm3moe17topkGatingSoftmaxIfLi8ELi128ELi8ELi32ELb0ELi4ELNS0_23SharedExpertScoringFuncE1EEEvPKT_PKbPfiPiS9_iiiiii: ; @_ZN4vllm3moe17topkGatingSoftmaxIfLi8ELi128ELi8ELi32ELb0ELi4ELNS0_23SharedExpertScoringFuncE1EEEvPKT_PKbPfiPiS9_iiiiii
; %bb.0:
	s_load_b32 s16, s[0:1], 0x18
	v_bfe_u32 v1, v0, 10, 10
	v_and_b32_e32 v0, 0x3ff, v0
	s_lshl_b32 s18, s15, 4
	s_mov_b32 s2, exec_lo
	s_delay_alu instid0(VALU_DEP_2) | instskip(NEXT) | instid1(VALU_DEP_2)
	v_lshlrev_b32_e32 v26, 1, v1
	v_lshrrev_b32_e32 v27, 4, v0
	s_delay_alu instid0(VALU_DEP_1) | instskip(SKIP_1) | instid1(VALU_DEP_1)
	v_add3_u32 v15, s18, v26, v27
	s_waitcnt lgkmcnt(0)
	v_cmpx_gt_i32_e64 s16, v15
	s_cbranch_execz .LBB78_23
; %bb.1:
	s_clause 0x1
	s_load_b128 s[4:7], s[0:1], 0x0
	s_load_b64 s[12:13], s[0:1], 0x10
	s_waitcnt lgkmcnt(0)
	s_cmp_eq_u64 s[6:7], 0
	s_cbranch_scc1 .LBB78_3
; %bb.2:
	v_ashrrev_i32_e32 v2, 31, v15
	v_add_co_u32 v1, vcc_lo, s6, v15
	s_delay_alu instid0(VALU_DEP_2) | instskip(SKIP_3) | instid1(VALU_DEP_1)
	v_add_co_ci_u32_e32 v2, vcc_lo, s7, v2, vcc_lo
	global_load_u8 v1, v[1:2], off
	s_waitcnt vmcnt(0)
	v_and_b32_e32 v1, 1, v1
	v_cmp_eq_u32_e32 vcc_lo, 1, v1
	s_xor_b32 s2, vcc_lo, -1
	s_delay_alu instid0(SALU_CYCLE_1)
	s_or_not1_b32 s17, s2, exec_lo
	s_branch .LBB78_4
.LBB78_3:
	s_mov_b32 s17, -1
.LBB78_4:
	s_load_b64 s[14:15], s[0:1], 0x40
	v_and_b32_e32 v16, 15, v0
	v_mov_b32_e32 v14, 0
	s_mov_b32 s2, exec_lo
	s_delay_alu instid0(VALU_DEP_2) | instskip(SKIP_2) | instid1(VALU_DEP_1)
	v_lshlrev_b32_e32 v18, 3, v16
	s_waitcnt lgkmcnt(0)
	v_mul_lo_u32 v1, v15, s15
	v_ashrrev_i32_e32 v2, 31, v1
	s_delay_alu instid0(VALU_DEP_1) | instskip(SKIP_1) | instid1(VALU_DEP_2)
	v_lshlrev_b64 v[0:1], 2, v[1:2]
	v_lshlrev_b32_e32 v2, 5, v16
	v_add_co_u32 v8, vcc_lo, s4, v0
	s_delay_alu instid0(VALU_DEP_3) | instskip(SKIP_1) | instid1(VALU_DEP_2)
	v_add_co_ci_u32_e32 v9, vcc_lo, s5, v1, vcc_lo
	s_load_b128 s[4:7], s[0:1], 0x30
	v_add_co_u32 v4, vcc_lo, v8, v2
	s_delay_alu instid0(VALU_DEP_2)
	v_add_co_ci_u32_e32 v5, vcc_lo, 0, v9, vcc_lo
	s_clause 0x1
	global_load_b128 v[0:3], v[4:5], off offset:16
	global_load_b128 v[4:7], v[4:5], off
	v_cmpx_gt_u32_e32 4, v16
	s_cbranch_execz .LBB78_6
; %bb.5:
	v_lshlrev_b32_e32 v10, 2, v16
	s_delay_alu instid0(VALU_DEP_1)
	v_add_co_u32 v8, vcc_lo, v8, v10
	v_add_co_ci_u32_e32 v9, vcc_lo, 0, v9, vcc_lo
	global_load_b32 v8, v[8:9], off offset:512
	s_waitcnt vmcnt(0)
	v_mul_f32_e32 v9, 0xbfb8aa3b, v8
	v_cmp_nlt_f32_e32 vcc_lo, 0x42ce8ed0, v8
	s_delay_alu instid0(VALU_DEP_2) | instskip(SKIP_1) | instid1(VALU_DEP_1)
	v_fma_f32 v10, 0xbfb8aa3b, v8, -v9
	v_rndne_f32_e32 v11, v9
	v_dual_fmamk_f32 v10, v8, 0xb2a5705f, v10 :: v_dual_sub_f32 v9, v9, v11
	s_delay_alu instid0(VALU_DEP_1) | instskip(SKIP_1) | instid1(VALU_DEP_2)
	v_add_f32_e32 v9, v9, v10
	v_cvt_i32_f32_e32 v10, v11
	v_exp_f32_e32 v9, v9
	s_waitcnt_depctr 0xfff
	v_ldexp_f32 v9, v9, v10
	s_delay_alu instid0(VALU_DEP_1) | instskip(SKIP_1) | instid1(VALU_DEP_2)
	v_cndmask_b32_e32 v9, 0, v9, vcc_lo
	v_cmp_ngt_f32_e32 vcc_lo, 0xc2b17218, v8
	v_cndmask_b32_e32 v8, 0x7f800000, v9, vcc_lo
	s_delay_alu instid0(VALU_DEP_1) | instskip(NEXT) | instid1(VALU_DEP_1)
	v_add_f32_e32 v10, 1.0, v8
	v_div_scale_f32 v9, null, v10, v10, 1.0
	v_div_scale_f32 v12, vcc_lo, 1.0, v10, 1.0
	s_delay_alu instid0(VALU_DEP_2) | instskip(SKIP_2) | instid1(VALU_DEP_1)
	v_rcp_f32_e32 v11, v9
	s_waitcnt_depctr 0xfff
	v_fma_f32 v8, -v9, v11, 1.0
	v_fmac_f32_e32 v11, v8, v11
	s_waitcnt lgkmcnt(0)
	v_mul_lo_u32 v8, v15, s7
	s_delay_alu instid0(VALU_DEP_2) | instskip(NEXT) | instid1(VALU_DEP_2)
	v_mul_f32_e32 v13, v12, v11
	v_add3_u32 v8, v8, s4, v16
	s_delay_alu instid0(VALU_DEP_2) | instskip(NEXT) | instid1(VALU_DEP_1)
	v_fma_f32 v17, -v9, v13, v12
	v_fmac_f32_e32 v13, v17, v11
	s_delay_alu instid0(VALU_DEP_1) | instskip(NEXT) | instid1(VALU_DEP_4)
	v_fma_f32 v12, -v9, v13, v12
	v_ashrrev_i32_e32 v9, 31, v8
	s_delay_alu instid0(VALU_DEP_2) | instskip(NEXT) | instid1(VALU_DEP_2)
	v_div_fmas_f32 v11, v12, v11, v13
	v_lshlrev_b64 v[8:9], 2, v[8:9]
	s_delay_alu instid0(VALU_DEP_2) | instskip(NEXT) | instid1(VALU_DEP_2)
	v_div_fixup_f32 v10, v11, v10, 1.0
	v_add_co_u32 v8, vcc_lo, s12, v8
	s_delay_alu instid0(VALU_DEP_3)
	v_add_co_ci_u32_e32 v9, vcc_lo, s13, v9, vcc_lo
	global_store_b32 v[8:9], v10, off
.LBB78_6:
	s_or_b32 exec_lo, exec_lo, s2
	v_or_b32_e32 v19, 1, v18
	s_waitcnt vmcnt(0)
	v_cmp_lt_f32_e32 vcc_lo, v4, v5
	v_or_b32_e32 v20, 2, v18
	v_or_b32_e32 v21, 3, v18
	;; [unrolled: 1-line block ×4, first 2 shown]
	v_dual_cndmask_b32 v8, v18, v19 :: v_dual_cndmask_b32 v9, v4, v5
	v_or_b32_e32 v24, 6, v18
	v_or_b32_e32 v25, 7, v18
	s_delay_alu instid0(VALU_DEP_3) | instskip(NEXT) | instid1(VALU_DEP_4)
	v_cmp_lt_f32_e32 vcc_lo, v9, v6
	v_dual_cndmask_b32 v8, v8, v20 :: v_dual_cndmask_b32 v9, v9, v6
	s_delay_alu instid0(VALU_DEP_1) | instskip(NEXT) | instid1(VALU_DEP_2)
	v_cmp_lt_f32_e32 vcc_lo, v9, v7
	v_dual_cndmask_b32 v8, v8, v21 :: v_dual_cndmask_b32 v9, v9, v7
	s_delay_alu instid0(VALU_DEP_1) | instskip(NEXT) | instid1(VALU_DEP_2)
	;; [unrolled: 3-line block ×6, first 2 shown]
	v_mov_b32_dpp v10, v8 quad_perm:[1,0,3,2] row_mask:0xf bank_mask:0xf
	v_mov_b32_dpp v11, v9 quad_perm:[1,0,3,2] row_mask:0xf bank_mask:0xf
	s_delay_alu instid0(VALU_DEP_2) | instskip(NEXT) | instid1(VALU_DEP_2)
	v_cmp_lt_i32_e32 vcc_lo, v10, v8
	v_cmp_eq_f32_e64 s2, v9, v11
	v_cmp_lt_f32_e64 s3, v9, v11
	s_delay_alu instid0(VALU_DEP_2)
	s_and_b32 s2, s2, vcc_lo
	s_delay_alu instid0(VALU_DEP_1) | instid1(SALU_CYCLE_1)
	s_or_b32 vcc_lo, s3, s2
	v_dual_cndmask_b32 v9, v9, v11 :: v_dual_cndmask_b32 v8, v8, v10
	s_delay_alu instid0(VALU_DEP_1) | instskip(NEXT) | instid1(VALU_DEP_2)
	v_mov_b32_dpp v10, v9 quad_perm:[2,3,0,1] row_mask:0xf bank_mask:0xf
	v_mov_b32_dpp v11, v8 quad_perm:[2,3,0,1] row_mask:0xf bank_mask:0xf
	s_delay_alu instid0(VALU_DEP_2) | instskip(NEXT) | instid1(VALU_DEP_2)
	v_cmp_eq_f32_e32 vcc_lo, v9, v10
	v_cmp_lt_i32_e64 s2, v11, v8
	v_cmp_lt_f32_e64 s3, v9, v10
	s_delay_alu instid0(VALU_DEP_2)
	s_and_b32 s2, vcc_lo, s2
	s_delay_alu instid0(VALU_DEP_1) | instid1(SALU_CYCLE_1)
	s_or_b32 vcc_lo, s3, s2
	v_dual_cndmask_b32 v9, v9, v10 :: v_dual_cndmask_b32 v8, v8, v11
	s_delay_alu instid0(VALU_DEP_1) | instskip(NEXT) | instid1(VALU_DEP_2)
	v_mov_b32_dpp v10, v9 row_half_mirror row_mask:0xf bank_mask:0xf
	v_mov_b32_dpp v11, v8 row_half_mirror row_mask:0xf bank_mask:0xf
	s_delay_alu instid0(VALU_DEP_2) | instskip(NEXT) | instid1(VALU_DEP_2)
	v_cmp_eq_f32_e32 vcc_lo, v9, v10
	v_cmp_lt_i32_e64 s2, v11, v8
	v_cmp_lt_f32_e64 s3, v9, v10
	s_delay_alu instid0(VALU_DEP_2)
	s_and_b32 s2, vcc_lo, s2
	s_delay_alu instid0(VALU_DEP_1) | instid1(SALU_CYCLE_1)
	s_or_b32 vcc_lo, s3, s2
	v_dual_cndmask_b32 v9, v9, v10 :: v_dual_cndmask_b32 v8, v8, v11
	s_delay_alu instid0(VALU_DEP_1) | instskip(NEXT) | instid1(VALU_DEP_2)
	v_mov_b32_dpp v11, v9 row_mirror row_mask:0xf bank_mask:0xf
	v_mov_b32_dpp v10, v8 row_mirror row_mask:0xf bank_mask:0xf
	s_delay_alu instid0(VALU_DEP_2) | instskip(NEXT) | instid1(VALU_DEP_2)
	v_cmp_eq_f32_e32 vcc_lo, v9, v11
	v_cmp_lt_i32_e64 s2, v10, v8
	v_cmp_lt_f32_e64 s3, v9, v11
	s_delay_alu instid0(VALU_DEP_2) | instskip(SKIP_1) | instid1(VALU_DEP_2)
	s_and_b32 s2, vcc_lo, s2
	v_cmp_eq_u32_e32 vcc_lo, 0, v16
	s_or_b32 s2, s3, s2
	s_waitcnt lgkmcnt(0)
	s_cmp_gt_i32 s4, 0
	v_cndmask_b32_e64 v17, v9, v11, s2
	s_cselect_b32 s3, -1, 0
	s_cmp_lt_i32 s4, 1
	s_cbranch_scc1 .LBB78_18
; %bb.7:
	s_load_b128 s[8:11], s[0:1], 0x20
	v_mul_lo_u32 v9, v15, s7
	v_mul_lo_u32 v11, v15, s14
	v_mul_lo_u32 v13, v15, s4
	v_cndmask_b32_e64 v8, v8, v10, s2
	v_mov_b32_e32 v14, 0
	s_and_saveexec_b32 s2, vcc_lo
	s_cbranch_execz .LBB78_9
; %bb.8:
	v_sub_f32_e32 v34, v17, v17
	v_cmp_le_i32_e64 s0, s5, v8
	v_cmp_gt_i32_e64 s1, s6, v8
	v_subrev_nc_u32_e32 v35, s5, v8
	v_ashrrev_i32_e32 v14, 31, v13
	v_mul_f32_e32 v10, 0x3fb8aa3b, v34
	s_delay_alu instid0(VALU_DEP_4) | instskip(NEXT) | instid1(SALU_CYCLE_1)
	s_and_b32 s0, s0, s1
	s_and_b32 s0, s17, s0
	s_delay_alu instid0(VALU_DEP_1) | instskip(SKIP_2) | instid1(VALU_DEP_3)
	v_rndne_f32_e32 v30, v10
	v_fma_f32 v12, 0x3fb8aa3b, v34, -v10
	v_lshlrev_b64 v[32:33], 2, v[13:14]
	v_sub_f32_e32 v10, v10, v30
	s_delay_alu instid0(VALU_DEP_3) | instskip(NEXT) | instid1(VALU_DEP_1)
	v_fmamk_f32 v12, v34, 0x32a5705f, v12
	v_add_f32_e32 v12, v10, v12
	v_ashrrev_i32_e32 v10, 31, v9
	s_delay_alu instid0(VALU_DEP_2) | instskip(NEXT) | instid1(VALU_DEP_1)
	v_exp_f32_e32 v36, v12
	v_lshlrev_b64 v[28:29], 2, v[9:10]
	v_ashrrev_i32_e32 v12, 31, v11
	v_cvt_i32_f32_e32 v10, v30
	s_delay_alu instid0(VALU_DEP_2) | instskip(SKIP_2) | instid1(VALU_DEP_1)
	v_lshlrev_b64 v[30:31], 2, v[11:12]
	v_cndmask_b32_e64 v12, 0x80, v35, s0
	v_add_co_u32 v28, s0, s12, v28
	v_add_co_ci_u32_e64 v29, s0, s13, v29, s0
	s_delay_alu instid0(TRANS32_DEP_1) | instskip(SKIP_1) | instid1(VALU_DEP_1)
	v_ldexp_f32 v10, v36, v10
	v_cmp_ngt_f32_e64 s0, 0xc2ce8ed0, v34
	v_cndmask_b32_e64 v10, 0, v10, s0
	s_waitcnt lgkmcnt(0)
	v_add_co_u32 v30, s0, s8, v30
	s_delay_alu instid0(VALU_DEP_1) | instskip(SKIP_1) | instid1(VALU_DEP_1)
	v_add_co_ci_u32_e64 v31, s0, s9, v31, s0
	v_cmp_nlt_f32_e64 s0, 0x42b17218, v34
	v_cndmask_b32_e64 v14, 0x7f800000, v10, s0
	v_add_co_u32 v32, s0, s10, v32
	s_delay_alu instid0(VALU_DEP_1)
	v_add_co_ci_u32_e64 v33, s0, s11, v33, s0
	global_store_b32 v[30:31], v12, off
	global_store_b32 v[28:29], v14, off
	;; [unrolled: 1-line block ×3, first 2 shown]
.LBB78_9:
	s_or_b32 exec_lo, exec_lo, s2
	v_ashrrev_i32_e32 v12, 31, v8
	s_mov_b32 s1, exec_lo
	s_delay_alu instid0(VALU_DEP_1) | instskip(NEXT) | instid1(VALU_DEP_1)
	v_lshrrev_b32_e32 v10, 29, v12
	v_add_nc_u32_e32 v10, v8, v10
	s_delay_alu instid0(VALU_DEP_1) | instskip(NEXT) | instid1(VALU_DEP_1)
	v_ashrrev_i32_e32 v10, 3, v10
	v_lshrrev_b32_e32 v28, 28, v10
	s_delay_alu instid0(VALU_DEP_1) | instskip(NEXT) | instid1(VALU_DEP_1)
	v_add_nc_u32_e32 v28, v10, v28
	v_and_b32_e32 v28, -16, v28
	s_delay_alu instid0(VALU_DEP_1) | instskip(NEXT) | instid1(VALU_DEP_1)
	v_sub_nc_u32_e32 v28, v10, v28
	v_cmpx_eq_u32_e64 v16, v28
	s_cbranch_execz .LBB78_11
; %bb.10:
	v_lshrrev_b32_e32 v12, 25, v12
	v_lshlrev_b32_e32 v10, 3, v10
	s_delay_alu instid0(VALU_DEP_2) | instskip(NEXT) | instid1(VALU_DEP_2)
	v_add_nc_u32_e32 v12, v8, v12
	v_sub_nc_u32_e32 v8, v8, v10
	s_delay_alu instid0(VALU_DEP_2) | instskip(NEXT) | instid1(VALU_DEP_1)
	v_ashrrev_i32_e32 v10, 7, v12
	v_lshl_add_u32 v8, v10, 3, v8
	s_delay_alu instid0(VALU_DEP_1) | instskip(NEXT) | instid1(VALU_DEP_1)
	v_cmp_ne_u32_e64 s0, 7, v8
	v_cndmask_b32_e64 v3, 0xff800000, v3, s0
	v_cmp_ne_u32_e64 s0, 6, v8
	s_delay_alu instid0(VALU_DEP_1) | instskip(SKIP_1) | instid1(VALU_DEP_1)
	v_cndmask_b32_e64 v2, 0xff800000, v2, s0
	v_cmp_ne_u32_e64 s0, 5, v8
	v_cndmask_b32_e64 v1, 0xff800000, v1, s0
	v_cmp_ne_u32_e64 s0, 4, v8
	s_delay_alu instid0(VALU_DEP_1) | instskip(SKIP_1) | instid1(VALU_DEP_1)
	v_cndmask_b32_e64 v0, 0xff800000, v0, s0
	;; [unrolled: 5-line block ×3, first 2 shown]
	v_cmp_ne_u32_e64 s0, 1, v8
	v_cndmask_b32_e64 v5, 0xff800000, v5, s0
	v_cmp_ne_u32_e64 s0, 0, v8
	s_delay_alu instid0(VALU_DEP_1)
	v_cndmask_b32_e64 v4, 0xff800000, v4, s0
.LBB78_11:
	s_or_b32 exec_lo, exec_lo, s1
	s_cmp_eq_u32 s4, 1
	s_cbranch_scc1 .LBB78_18
; %bb.12:
	s_add_i32 s18, s18, s16
	v_add_nc_u32_e32 v8, 1, v13
	v_add3_u32 v26, s18, v27, v26
	v_add_nc_u32_e32 v10, 1, v11
	v_add_nc_u32_e32 v12, 1, v9
	s_add_i32 s14, s4, -1
	s_branch .LBB78_14
.LBB78_13:                              ;   in Loop: Header=BB78_14 Depth=1
	s_or_b32 exec_lo, exec_lo, s1
	v_add_nc_u32_e32 v26, s16, v26
	v_add_nc_u32_e32 v8, 1, v8
	;; [unrolled: 1-line block ×4, first 2 shown]
	s_add_i32 s14, s14, -1
	s_delay_alu instid0(SALU_CYCLE_1)
	s_cmp_eq_u32 s14, 0
	s_cbranch_scc1 .LBB78_18
.LBB78_14:                              ; =>This Inner Loop Header: Depth=1
	v_cmp_gt_f32_e64 s0, v5, v4
	s_delay_alu instid0(VALU_DEP_1) | instskip(SKIP_1) | instid1(VALU_DEP_2)
	v_cndmask_b32_e64 v11, v4, v5, s0
	v_cndmask_b32_e64 v9, v18, v19, s0
	v_cmp_gt_f32_e64 s0, v6, v11
	s_delay_alu instid0(VALU_DEP_1) | instskip(NEXT) | instid1(VALU_DEP_3)
	v_cndmask_b32_e64 v11, v11, v6, s0
	v_cndmask_b32_e64 v9, v9, v20, s0
	s_delay_alu instid0(VALU_DEP_2) | instskip(NEXT) | instid1(VALU_DEP_1)
	v_cmp_gt_f32_e64 s0, v7, v11
	v_cndmask_b32_e64 v11, v11, v7, s0
	s_delay_alu instid0(VALU_DEP_3) | instskip(NEXT) | instid1(VALU_DEP_2)
	v_cndmask_b32_e64 v9, v9, v21, s0
	v_cmp_gt_f32_e64 s0, v0, v11
	s_delay_alu instid0(VALU_DEP_1) | instskip(NEXT) | instid1(VALU_DEP_3)
	v_cndmask_b32_e64 v11, v11, v0, s0
	v_cndmask_b32_e64 v9, v9, v22, s0
	s_delay_alu instid0(VALU_DEP_2) | instskip(NEXT) | instid1(VALU_DEP_1)
	v_cmp_gt_f32_e64 s0, v1, v11
	v_cndmask_b32_e64 v11, v11, v1, s0
	s_delay_alu instid0(VALU_DEP_3) | instskip(NEXT) | instid1(VALU_DEP_2)
	v_cndmask_b32_e64 v9, v9, v23, s0
	v_cmp_gt_f32_e64 s0, v2, v11
	s_delay_alu instid0(VALU_DEP_1) | instskip(NEXT) | instid1(VALU_DEP_3)
	v_cndmask_b32_e64 v11, v11, v2, s0
	v_cndmask_b32_e64 v9, v9, v24, s0
	s_delay_alu instid0(VALU_DEP_2) | instskip(NEXT) | instid1(VALU_DEP_1)
	v_cmp_gt_f32_e64 s0, v3, v11
	v_cndmask_b32_e64 v9, v9, v25, s0
	v_cndmask_b32_e64 v11, v11, v3, s0
	s_delay_alu instid0(VALU_DEP_2) | instskip(NEXT) | instid1(VALU_DEP_2)
	v_mov_b32_dpp v13, v9 quad_perm:[1,0,3,2] row_mask:0xf bank_mask:0xf
	v_mov_b32_dpp v27, v11 quad_perm:[1,0,3,2] row_mask:0xf bank_mask:0xf
	s_delay_alu instid0(VALU_DEP_2) | instskip(NEXT) | instid1(VALU_DEP_2)
	v_cmp_lt_i32_e64 s0, v13, v9
	v_cmp_eq_f32_e64 s1, v11, v27
	v_cmp_lt_f32_e64 s2, v11, v27
	s_delay_alu instid0(VALU_DEP_2)
	s_and_b32 s0, s1, s0
	s_delay_alu instid0(VALU_DEP_1) | instid1(SALU_CYCLE_1)
	s_or_b32 s0, s2, s0
	s_delay_alu instid0(SALU_CYCLE_1) | instskip(SKIP_1) | instid1(VALU_DEP_2)
	v_cndmask_b32_e64 v11, v11, v27, s0
	v_cndmask_b32_e64 v9, v9, v13, s0
	v_mov_b32_dpp v13, v11 quad_perm:[2,3,0,1] row_mask:0xf bank_mask:0xf
	s_delay_alu instid0(VALU_DEP_2) | instskip(NEXT) | instid1(VALU_DEP_2)
	v_mov_b32_dpp v27, v9 quad_perm:[2,3,0,1] row_mask:0xf bank_mask:0xf
	v_cmp_eq_f32_e64 s0, v11, v13
	s_delay_alu instid0(VALU_DEP_2) | instskip(SKIP_1) | instid1(VALU_DEP_2)
	v_cmp_lt_i32_e64 s1, v27, v9
	v_cmp_lt_f32_e64 s2, v11, v13
	s_and_b32 s0, s0, s1
	s_delay_alu instid0(VALU_DEP_1) | instid1(SALU_CYCLE_1)
	s_or_b32 s0, s2, s0
	s_delay_alu instid0(SALU_CYCLE_1) | instskip(SKIP_1) | instid1(VALU_DEP_2)
	v_cndmask_b32_e64 v11, v11, v13, s0
	v_cndmask_b32_e64 v13, v9, v27, s0
	v_mov_b32_dpp v9, v11 row_half_mirror row_mask:0xf bank_mask:0xf
	s_delay_alu instid0(VALU_DEP_2) | instskip(NEXT) | instid1(VALU_DEP_2)
	v_mov_b32_dpp v27, v13 row_half_mirror row_mask:0xf bank_mask:0xf
	v_cmp_eq_f32_e64 s0, v11, v9
	s_delay_alu instid0(VALU_DEP_2) | instskip(SKIP_1) | instid1(VALU_DEP_2)
	v_cmp_lt_i32_e64 s1, v27, v13
	v_cmp_lt_f32_e64 s2, v11, v9
	s_and_b32 s0, s0, s1
	s_delay_alu instid0(VALU_DEP_1) | instid1(SALU_CYCLE_1)
	s_or_b32 s0, s2, s0
	s_delay_alu instid0(SALU_CYCLE_1) | instskip(SKIP_1) | instid1(VALU_DEP_2)
	v_cndmask_b32_e64 v9, v11, v9, s0
	v_cndmask_b32_e64 v13, v13, v27, s0
	v_mov_b32_dpp v11, v9 row_mirror row_mask:0xf bank_mask:0xf
	s_delay_alu instid0(VALU_DEP_2) | instskip(NEXT) | instid1(VALU_DEP_2)
	v_mov_b32_dpp v27, v13 row_mirror row_mask:0xf bank_mask:0xf
	v_cmp_eq_f32_e64 s0, v9, v11
	s_delay_alu instid0(VALU_DEP_2) | instskip(SKIP_1) | instid1(VALU_DEP_2)
	v_cmp_lt_i32_e64 s1, v27, v13
	v_cmp_lt_f32_e64 s2, v9, v11
	s_and_b32 s0, s0, s1
	s_delay_alu instid0(VALU_DEP_1) | instid1(SALU_CYCLE_1)
	s_or_b32 s0, s2, s0
	s_delay_alu instid0(SALU_CYCLE_1)
	v_cndmask_b32_e64 v27, v13, v27, s0
	s_and_saveexec_b32 s2, vcc_lo
	s_cbranch_execz .LBB78_16
; %bb.15:                               ;   in Loop: Header=BB78_14 Depth=1
	v_cndmask_b32_e64 v9, v9, v11, s0
	s_delay_alu instid0(VALU_DEP_2) | instskip(SKIP_4) | instid1(VALU_DEP_4)
	v_cmp_le_i32_e64 s0, s5, v27
	v_cmp_gt_i32_e64 s1, s6, v27
	v_ashrrev_i32_e32 v13, 31, v12
	v_subrev_nc_u32_e32 v35, s5, v27
	v_sub_f32_e32 v34, v9, v17
	s_and_b32 s0, s0, s1
	s_delay_alu instid0(SALU_CYCLE_1) | instskip(NEXT) | instid1(VALU_DEP_1)
	s_and_b32 s0, s17, s0
	v_mul_f32_e32 v9, 0x3fb8aa3b, v34
	s_delay_alu instid0(VALU_DEP_1) | instskip(SKIP_1) | instid1(VALU_DEP_2)
	v_fma_f32 v11, 0x3fb8aa3b, v34, -v9
	v_rndne_f32_e32 v28, v9
	v_fmac_f32_e32 v11, 0x32a5705f, v34
	s_delay_alu instid0(VALU_DEP_2) | instskip(SKIP_2) | instid1(VALU_DEP_3)
	v_sub_f32_e32 v9, v9, v28
	v_cvt_i32_f32_e32 v33, v28
	v_lshlrev_b64 v[28:29], 2, v[12:13]
	v_add_f32_e32 v9, v9, v11
	v_ashrrev_i32_e32 v11, 31, v10
	s_delay_alu instid0(VALU_DEP_2) | instskip(SKIP_1) | instid1(VALU_DEP_2)
	v_exp_f32_e32 v32, v9
	v_ashrrev_i32_e32 v9, 31, v8
	v_lshlrev_b64 v[30:31], 2, v[10:11]
	s_waitcnt_depctr 0xfff
	v_ldexp_f32 v11, v32, v33
	v_lshlrev_b64 v[32:33], 2, v[8:9]
	v_cndmask_b32_e64 v9, 0x80, v35, s0
	v_cmp_ngt_f32_e64 s0, 0xc2ce8ed0, v34
	s_delay_alu instid0(VALU_DEP_1) | instskip(SKIP_1) | instid1(VALU_DEP_1)
	v_cndmask_b32_e64 v11, 0, v11, s0
	v_add_co_u32 v28, s0, s12, v28
	v_add_co_ci_u32_e64 v29, s0, s13, v29, s0
	v_cmp_nlt_f32_e64 s0, 0x42b17218, v34
	s_delay_alu instid0(VALU_DEP_1) | instskip(SKIP_2) | instid1(VALU_DEP_1)
	v_cndmask_b32_e64 v11, 0x7f800000, v11, s0
	s_waitcnt lgkmcnt(0)
	v_add_co_u32 v30, s0, s8, v30
	v_add_co_ci_u32_e64 v31, s0, s9, v31, s0
	s_delay_alu instid0(VALU_DEP_3) | instskip(SKIP_1) | instid1(VALU_DEP_1)
	v_add_f32_e32 v14, v14, v11
	v_add_co_u32 v32, s0, s10, v32
	v_add_co_ci_u32_e64 v33, s0, s11, v33, s0
	global_store_b32 v[28:29], v11, off
	global_store_b32 v[30:31], v9, off
	;; [unrolled: 1-line block ×3, first 2 shown]
.LBB78_16:                              ;   in Loop: Header=BB78_14 Depth=1
	s_or_b32 exec_lo, exec_lo, s2
	s_delay_alu instid0(VALU_DEP_1) | instskip(SKIP_1) | instid1(VALU_DEP_1)
	v_ashrrev_i32_e32 v11, 31, v27
	s_mov_b32 s1, exec_lo
	v_lshrrev_b32_e32 v9, 29, v11
	s_delay_alu instid0(VALU_DEP_1) | instskip(NEXT) | instid1(VALU_DEP_1)
	v_add_nc_u32_e32 v9, v27, v9
	v_ashrrev_i32_e32 v9, 3, v9
	s_delay_alu instid0(VALU_DEP_1) | instskip(NEXT) | instid1(VALU_DEP_1)
	v_lshrrev_b32_e32 v13, 28, v9
	v_add_nc_u32_e32 v13, v9, v13
	s_delay_alu instid0(VALU_DEP_1) | instskip(NEXT) | instid1(VALU_DEP_1)
	v_and_b32_e32 v13, -16, v13
	v_sub_nc_u32_e32 v13, v9, v13
	s_delay_alu instid0(VALU_DEP_1)
	v_cmpx_eq_u32_e64 v16, v13
	s_cbranch_execz .LBB78_13
; %bb.17:                               ;   in Loop: Header=BB78_14 Depth=1
	v_lshrrev_b32_e32 v11, 25, v11
	v_lshlrev_b32_e32 v9, 3, v9
	s_delay_alu instid0(VALU_DEP_2) | instskip(NEXT) | instid1(VALU_DEP_2)
	v_add_nc_u32_e32 v11, v27, v11
	v_sub_nc_u32_e32 v9, v27, v9
	s_delay_alu instid0(VALU_DEP_2) | instskip(NEXT) | instid1(VALU_DEP_1)
	v_ashrrev_i32_e32 v11, 7, v11
	v_lshl_add_u32 v9, v11, 3, v9
	s_delay_alu instid0(VALU_DEP_1) | instskip(NEXT) | instid1(VALU_DEP_1)
	v_cmp_ne_u32_e64 s0, 7, v9
	v_cndmask_b32_e64 v3, 0xff800000, v3, s0
	v_cmp_ne_u32_e64 s0, 6, v9
	s_delay_alu instid0(VALU_DEP_1) | instskip(SKIP_1) | instid1(VALU_DEP_1)
	v_cndmask_b32_e64 v2, 0xff800000, v2, s0
	v_cmp_ne_u32_e64 s0, 5, v9
	v_cndmask_b32_e64 v1, 0xff800000, v1, s0
	v_cmp_ne_u32_e64 s0, 4, v9
	s_delay_alu instid0(VALU_DEP_1) | instskip(SKIP_1) | instid1(VALU_DEP_1)
	v_cndmask_b32_e64 v0, 0xff800000, v0, s0
	v_cmp_ne_u32_e64 s0, 3, v9
	v_cndmask_b32_e64 v7, 0xff800000, v7, s0
	v_cmp_ne_u32_e64 s0, 2, v9
	s_delay_alu instid0(VALU_DEP_1) | instskip(SKIP_1) | instid1(VALU_DEP_1)
	v_cndmask_b32_e64 v6, 0xff800000, v6, s0
	v_cmp_ne_u32_e64 s0, 1, v9
	v_cndmask_b32_e64 v5, 0xff800000, v5, s0
	v_cmp_ne_u32_e64 s0, 0, v9
	s_delay_alu instid0(VALU_DEP_1)
	v_cndmask_b32_e64 v4, 0xff800000, v4, s0
	s_branch .LBB78_13
.LBB78_18:
	s_delay_alu instid0(VALU_DEP_1)
	v_sub_f32_e32 v7, v7, v17
	v_sub_f32_e32 v4, v4, v17
	v_sub_f32_e32 v0, v0, v17
	v_sub_f32_e32 v2, v2, v17
	v_sub_f32_e32 v1, v1, v17
	v_mul_f32_e32 v11, 0x3fb8aa3b, v7
	v_dual_sub_f32 v5, v5, v17 :: v_dual_mul_f32 v8, 0x3fb8aa3b, v4
	v_cmp_ngt_f32_e32 vcc_lo, 0xc2ce8ed0, v4
	v_sub_f32_e32 v3, v3, v17
	s_delay_alu instid0(VALU_DEP_4) | instskip(NEXT) | instid1(VALU_DEP_4)
	v_rndne_f32_e32 v23, v11
	v_fma_f32 v12, 0x3fb8aa3b, v4, -v8
	v_rndne_f32_e32 v13, v8
	s_delay_alu instid0(VALU_DEP_2) | instskip(NEXT) | instid1(VALU_DEP_2)
	v_fmac_f32_e32 v12, 0x32a5705f, v4
	v_sub_f32_e32 v8, v8, v13
	s_delay_alu instid0(VALU_DEP_1) | instskip(NEXT) | instid1(VALU_DEP_1)
	v_dual_mul_f32 v9, 0x3fb8aa3b, v5 :: v_dual_add_f32 v8, v8, v12
	v_rndne_f32_e32 v19, v9
	v_sub_f32_e32 v6, v6, v17
	v_fma_f32 v18, 0x3fb8aa3b, v5, -v9
	v_cvt_i32_f32_e32 v12, v13
	v_exp_f32_e32 v8, v8
	s_delay_alu instid0(VALU_DEP_3) | instskip(SKIP_3) | instid1(VALU_DEP_4)
	v_dual_sub_f32 v9, v9, v19 :: v_dual_mul_f32 v10, 0x3fb8aa3b, v6
	v_fma_f32 v22, 0x3fb8aa3b, v7, -v11
	v_sub_f32_e32 v11, v11, v23
	v_cvt_i32_f32_e32 v13, v19
	v_fma_f32 v20, 0x3fb8aa3b, v6, -v10
	s_delay_alu instid0(VALU_DEP_4) | instskip(SKIP_1) | instid1(TRANS32_DEP_1)
	v_fmac_f32_e32 v22, 0x32a5705f, v7
	v_fmac_f32_e32 v18, 0x32a5705f, v5
	v_ldexp_f32 v8, v8, v12
	v_rndne_f32_e32 v21, v10
	s_delay_alu instid0(VALU_DEP_4) | instskip(NEXT) | instid1(VALU_DEP_3)
	v_add_f32_e32 v11, v11, v22
	v_dual_add_f32 v9, v9, v18 :: v_dual_cndmask_b32 v8, 0, v8
	v_cmp_ngt_f32_e32 vcc_lo, 0xc2ce8ed0, v5
	s_delay_alu instid0(VALU_DEP_4) | instskip(SKIP_1) | instid1(VALU_DEP_4)
	v_sub_f32_e32 v10, v10, v21
	v_cvt_i32_f32_e32 v12, v21
	v_exp_f32_e32 v9, v9
	v_exp_f32_e32 v11, v11
	s_waitcnt_depctr 0xfff
	v_ldexp_f32 v9, v9, v13
	v_fmac_f32_e32 v20, 0x32a5705f, v6
	v_mul_f32_e32 v13, 0x3fb8aa3b, v3
	s_delay_alu instid0(VALU_DEP_3) | instskip(SKIP_1) | instid1(VALU_DEP_3)
	v_cndmask_b32_e32 v9, 0, v9, vcc_lo
	v_cmp_nlt_f32_e32 vcc_lo, 0x42b17218, v4
	v_rndne_f32_e32 v17, v13
	v_cndmask_b32_e32 v4, 0x7f800000, v8, vcc_lo
	v_cmp_nlt_f32_e32 vcc_lo, 0x42b17218, v5
	v_dual_add_f32 v10, v10, v20 :: v_dual_cndmask_b32 v5, 0x7f800000, v9
	s_delay_alu instid0(VALU_DEP_1) | instskip(SKIP_2) | instid1(VALU_DEP_3)
	v_exp_f32_e32 v10, v10
	v_cmp_ngt_f32_e32 vcc_lo, 0xc2ce8ed0, v6
	v_cvt_i32_f32_e32 v9, v23
	v_add_f32_e32 v4, v4, v5
	s_waitcnt_depctr 0xfff
	v_ldexp_f32 v10, v10, v12
	s_delay_alu instid0(VALU_DEP_1) | instskip(SKIP_2) | instid1(VALU_DEP_3)
	v_cndmask_b32_e32 v8, 0, v10, vcc_lo
	v_cmp_nlt_f32_e32 vcc_lo, 0x42b17218, v6
	v_mul_f32_e32 v10, 0x3fb8aa3b, v2
	v_cndmask_b32_e32 v5, 0x7f800000, v8, vcc_lo
	v_ldexp_f32 v8, v11, v9
	v_cmp_ngt_f32_e32 vcc_lo, 0xc2ce8ed0, v7
	s_delay_alu instid0(VALU_DEP_4)
	v_fma_f32 v11, 0x3fb8aa3b, v2, -v10
	v_rndne_f32_e32 v12, v10
	v_add_f32_e32 v4, v4, v5
	v_cndmask_b32_e32 v8, 0, v8, vcc_lo
	v_cmp_nlt_f32_e32 vcc_lo, 0x42b17218, v7
	v_fmac_f32_e32 v11, 0x32a5705f, v2
	s_delay_alu instid0(VALU_DEP_3) | instskip(SKIP_3) | instid1(VALU_DEP_4)
	v_cndmask_b32_e32 v7, 0x7f800000, v8, vcc_lo
	v_mul_f32_e32 v6, 0x3fb8aa3b, v0
	v_mul_f32_e32 v8, 0x3fb8aa3b, v1
	v_cmp_ngt_f32_e32 vcc_lo, 0xc2ce8ed0, v0
	v_add_f32_e32 v4, v4, v7
	s_delay_alu instid0(VALU_DEP_4) | instskip(SKIP_2) | instid1(VALU_DEP_2)
	v_fma_f32 v5, 0x3fb8aa3b, v0, -v6
	v_rndne_f32_e32 v9, v6
	v_rndne_f32_e32 v7, v8
	v_dual_fmac_f32 v5, 0x32a5705f, v0 :: v_dual_sub_f32 v6, v6, v9
	v_cvt_i32_f32_e32 v9, v9
	s_delay_alu instid0(VALU_DEP_2) | instskip(SKIP_3) | instid1(VALU_DEP_4)
	v_add_f32_e32 v5, v6, v5
	v_fma_f32 v6, 0x3fb8aa3b, v1, -v8
	v_sub_f32_e32 v8, v8, v7
	v_cvt_i32_f32_e32 v7, v7
	v_exp_f32_e32 v5, v5
	s_delay_alu instid0(VALU_DEP_3) | instskip(NEXT) | instid1(VALU_DEP_1)
	v_fmac_f32_e32 v6, 0x32a5705f, v1
	v_add_f32_e32 v6, v8, v6
	v_sub_f32_e32 v8, v10, v12
	v_fma_f32 v10, 0x3fb8aa3b, v3, -v13
	s_waitcnt_depctr 0xfff
	v_ldexp_f32 v5, v5, v9
	v_exp_f32_e32 v6, v6
	v_add_f32_e32 v8, v8, v11
	v_dual_fmac_f32 v10, 0x32a5705f, v3 :: v_dual_sub_f32 v9, v13, v17
	s_delay_alu instid0(VALU_DEP_3) | instskip(SKIP_1) | instid1(VALU_DEP_4)
	v_cndmask_b32_e32 v5, 0, v5, vcc_lo
	v_cmp_nlt_f32_e32 vcc_lo, 0x42b17218, v0
	v_exp_f32_e32 v8, v8
	s_delay_alu instid0(VALU_DEP_3) | instskip(NEXT) | instid1(TRANS32_DEP_2)
	v_add_f32_e32 v9, v9, v10
	v_ldexp_f32 v6, v6, v7
	v_cndmask_b32_e32 v0, 0x7f800000, v5, vcc_lo
	v_cmp_ngt_f32_e32 vcc_lo, 0xc2ce8ed0, v1
	v_cvt_i32_f32_e32 v5, v12
	v_exp_f32_e32 v7, v9
	s_delay_alu instid0(VALU_DEP_3) | instskip(SKIP_4) | instid1(VALU_DEP_4)
	v_add_f32_e32 v0, v4, v0
	v_cndmask_b32_e32 v6, 0, v6, vcc_lo
	v_cmp_nlt_f32_e32 vcc_lo, 0x42b17218, v1
	v_ldexp_f32 v4, v8, v5
	v_cvt_i32_f32_e32 v5, v17
	v_cndmask_b32_e32 v1, 0x7f800000, v6, vcc_lo
	v_cmp_ngt_f32_e32 vcc_lo, 0xc2ce8ed0, v2
	s_delay_alu instid0(TRANS32_DEP_1) | instid1(VALU_DEP_3)
	v_ldexp_f32 v5, v7, v5
	s_delay_alu instid0(VALU_DEP_3) | instskip(SKIP_2) | instid1(VALU_DEP_2)
	v_add_f32_e32 v0, v0, v1
	v_cndmask_b32_e32 v4, 0, v4, vcc_lo
	v_cmp_nlt_f32_e32 vcc_lo, 0x42b17218, v2
	v_cndmask_b32_e32 v1, 0x7f800000, v4, vcc_lo
	v_cmp_ngt_f32_e32 vcc_lo, 0xc2ce8ed0, v3
	s_delay_alu instid0(VALU_DEP_2) | instskip(SKIP_2) | instid1(VALU_DEP_2)
	v_add_f32_e32 v0, v0, v1
	v_cndmask_b32_e32 v2, 0, v5, vcc_lo
	v_cmp_nlt_f32_e32 vcc_lo, 0x42b17218, v3
	v_cndmask_b32_e32 v1, 0x7f800000, v2, vcc_lo
	v_cmp_eq_u32_e32 vcc_lo, 0, v16
	s_delay_alu instid0(VALU_DEP_2) | instskip(NEXT) | instid1(VALU_DEP_1)
	v_add_f32_e32 v0, v0, v1
	v_mov_b32_dpp v1, v0 quad_perm:[1,0,3,2] row_mask:0xf bank_mask:0xf
	s_delay_alu instid0(VALU_DEP_1) | instskip(NEXT) | instid1(VALU_DEP_1)
	v_add_f32_e32 v0, v0, v1
	v_mov_b32_dpp v1, v0 quad_perm:[2,3,0,1] row_mask:0xf bank_mask:0xf
	s_delay_alu instid0(VALU_DEP_1) | instskip(NEXT) | instid1(VALU_DEP_1)
	v_add_f32_e32 v0, v0, v1
	v_mov_b32_dpp v1, v0 row_half_mirror row_mask:0xf bank_mask:0xf
	s_delay_alu instid0(VALU_DEP_1) | instskip(NEXT) | instid1(VALU_DEP_1)
	v_add_f32_e32 v0, v0, v1
	v_mov_b32_dpp v1, v0 row_mirror row_mask:0xf bank_mask:0xf
	s_and_b32 exec_lo, exec_lo, vcc_lo
	s_cbranch_execz .LBB78_23
; %bb.19:
	s_delay_alu instid0(VALU_DEP_1) | instskip(NEXT) | instid1(VALU_DEP_1)
	v_add_f32_e32 v0, v0, v1
	v_add_f32_e32 v0, v14, v0
	s_delay_alu instid0(VALU_DEP_1)
	v_cmp_neq_f32_e32 vcc_lo, 0, v0
	s_and_b32 exec_lo, exec_lo, vcc_lo
	s_cbranch_execz .LBB78_23
; %bb.20:
	s_and_not1_b32 vcc_lo, exec_lo, s3
	s_cbranch_vccnz .LBB78_23
; %bb.21:
	v_div_scale_f32 v2, null, v0, v0, 1.0
	v_div_scale_f32 v4, vcc_lo, 1.0, v0, 1.0
	s_delay_alu instid0(VALU_DEP_2) | instskip(SKIP_2) | instid1(VALU_DEP_1)
	v_rcp_f32_e32 v3, v2
	s_waitcnt_depctr 0xfff
	v_fma_f32 v1, -v2, v3, 1.0
	v_fmac_f32_e32 v3, v1, v3
	v_mul_lo_u32 v1, v15, s7
	s_delay_alu instid0(VALU_DEP_2) | instskip(NEXT) | instid1(VALU_DEP_1)
	v_mul_f32_e32 v5, v4, v3
	v_fma_f32 v6, -v2, v5, v4
	s_delay_alu instid0(VALU_DEP_1) | instskip(NEXT) | instid1(VALU_DEP_1)
	v_fmac_f32_e32 v5, v6, v3
	v_fma_f32 v4, -v2, v5, v4
	v_ashrrev_i32_e32 v2, 31, v1
	s_delay_alu instid0(VALU_DEP_2) | instskip(NEXT) | instid1(VALU_DEP_2)
	v_div_fmas_f32 v5, v4, v3, v5
	v_lshlrev_b64 v[3:4], 2, v[1:2]
	s_delay_alu instid0(VALU_DEP_2) | instskip(NEXT) | instid1(VALU_DEP_2)
	v_div_fixup_f32 v2, v5, v0, 1.0
	v_add_co_u32 v0, vcc_lo, s12, v3
	s_delay_alu instid0(VALU_DEP_3)
	v_add_co_ci_u32_e32 v1, vcc_lo, s13, v4, vcc_lo
.LBB78_22:                              ; =>This Inner Loop Header: Depth=1
	global_load_b32 v3, v[0:1], off
	s_add_i32 s4, s4, -1
	s_delay_alu instid0(SALU_CYCLE_1)
	s_cmp_lg_u32 s4, 0
	s_waitcnt vmcnt(0)
	v_mul_f32_e32 v3, v2, v3
	global_store_b32 v[0:1], v3, off
	v_add_co_u32 v0, vcc_lo, v0, 4
	v_add_co_ci_u32_e32 v1, vcc_lo, 0, v1, vcc_lo
	s_cbranch_scc1 .LBB78_22
.LBB78_23:
	s_nop 0
	s_sendmsg sendmsg(MSG_DEALLOC_VGPRS)
	s_endpgm
	.section	.rodata,"a",@progbits
	.p2align	6, 0x0
	.amdhsa_kernel _ZN4vllm3moe17topkGatingSoftmaxIfLi8ELi128ELi8ELi32ELb0ELi4ELNS0_23SharedExpertScoringFuncE1EEEvPKT_PKbPfiPiS9_iiiiii
		.amdhsa_group_segment_fixed_size 0
		.amdhsa_private_segment_fixed_size 0
		.amdhsa_kernarg_size 72
		.amdhsa_user_sgpr_count 15
		.amdhsa_user_sgpr_dispatch_ptr 0
		.amdhsa_user_sgpr_queue_ptr 0
		.amdhsa_user_sgpr_kernarg_segment_ptr 1
		.amdhsa_user_sgpr_dispatch_id 0
		.amdhsa_user_sgpr_private_segment_size 0
		.amdhsa_wavefront_size32 1
		.amdhsa_uses_dynamic_stack 0
		.amdhsa_enable_private_segment 0
		.amdhsa_system_sgpr_workgroup_id_x 1
		.amdhsa_system_sgpr_workgroup_id_y 0
		.amdhsa_system_sgpr_workgroup_id_z 0
		.amdhsa_system_sgpr_workgroup_info 0
		.amdhsa_system_vgpr_workitem_id 1
		.amdhsa_next_free_vgpr 37
		.amdhsa_next_free_sgpr 19
		.amdhsa_reserve_vcc 1
		.amdhsa_float_round_mode_32 0
		.amdhsa_float_round_mode_16_64 0
		.amdhsa_float_denorm_mode_32 3
		.amdhsa_float_denorm_mode_16_64 3
		.amdhsa_dx10_clamp 1
		.amdhsa_ieee_mode 1
		.amdhsa_fp16_overflow 0
		.amdhsa_workgroup_processor_mode 1
		.amdhsa_memory_ordered 1
		.amdhsa_forward_progress 0
		.amdhsa_shared_vgpr_count 0
		.amdhsa_exception_fp_ieee_invalid_op 0
		.amdhsa_exception_fp_denorm_src 0
		.amdhsa_exception_fp_ieee_div_zero 0
		.amdhsa_exception_fp_ieee_overflow 0
		.amdhsa_exception_fp_ieee_underflow 0
		.amdhsa_exception_fp_ieee_inexact 0
		.amdhsa_exception_int_div_zero 0
	.end_amdhsa_kernel
	.section	.text._ZN4vllm3moe17topkGatingSoftmaxIfLi8ELi128ELi8ELi32ELb0ELi4ELNS0_23SharedExpertScoringFuncE1EEEvPKT_PKbPfiPiS9_iiiiii,"axG",@progbits,_ZN4vllm3moe17topkGatingSoftmaxIfLi8ELi128ELi8ELi32ELb0ELi4ELNS0_23SharedExpertScoringFuncE1EEEvPKT_PKbPfiPiS9_iiiiii,comdat
.Lfunc_end78:
	.size	_ZN4vllm3moe17topkGatingSoftmaxIfLi8ELi128ELi8ELi32ELb0ELi4ELNS0_23SharedExpertScoringFuncE1EEEvPKT_PKbPfiPiS9_iiiiii, .Lfunc_end78-_ZN4vllm3moe17topkGatingSoftmaxIfLi8ELi128ELi8ELi32ELb0ELi4ELNS0_23SharedExpertScoringFuncE1EEEvPKT_PKbPfiPiS9_iiiiii
                                        ; -- End function
	.section	.AMDGPU.csdata,"",@progbits
; Kernel info:
; codeLenInByte = 3988
; NumSgprs: 21
; NumVgprs: 37
; ScratchSize: 0
; MemoryBound: 0
; FloatMode: 240
; IeeeMode: 1
; LDSByteSize: 0 bytes/workgroup (compile time only)
; SGPRBlocks: 2
; VGPRBlocks: 4
; NumSGPRsForWavesPerEU: 21
; NumVGPRsForWavesPerEU: 37
; Occupancy: 16
; WaveLimiterHint : 0
; COMPUTE_PGM_RSRC2:SCRATCH_EN: 0
; COMPUTE_PGM_RSRC2:USER_SGPR: 15
; COMPUTE_PGM_RSRC2:TRAP_HANDLER: 0
; COMPUTE_PGM_RSRC2:TGID_X_EN: 1
; COMPUTE_PGM_RSRC2:TGID_Y_EN: 0
; COMPUTE_PGM_RSRC2:TGID_Z_EN: 0
; COMPUTE_PGM_RSRC2:TIDIG_COMP_CNT: 1
	.section	.text._ZN4vllm3moe17topkGatingSoftmaxIfLi8ELi128ELi8ELi32ELb1ELi8ELNS0_23SharedExpertScoringFuncE1EEEvPKT_PKbPfiPiS9_iiiiii,"axG",@progbits,_ZN4vllm3moe17topkGatingSoftmaxIfLi8ELi128ELi8ELi32ELb1ELi8ELNS0_23SharedExpertScoringFuncE1EEEvPKT_PKbPfiPiS9_iiiiii,comdat
	.protected	_ZN4vllm3moe17topkGatingSoftmaxIfLi8ELi128ELi8ELi32ELb1ELi8ELNS0_23SharedExpertScoringFuncE1EEEvPKT_PKbPfiPiS9_iiiiii ; -- Begin function _ZN4vllm3moe17topkGatingSoftmaxIfLi8ELi128ELi8ELi32ELb1ELi8ELNS0_23SharedExpertScoringFuncE1EEEvPKT_PKbPfiPiS9_iiiiii
	.globl	_ZN4vllm3moe17topkGatingSoftmaxIfLi8ELi128ELi8ELi32ELb1ELi8ELNS0_23SharedExpertScoringFuncE1EEEvPKT_PKbPfiPiS9_iiiiii
	.p2align	8
	.type	_ZN4vllm3moe17topkGatingSoftmaxIfLi8ELi128ELi8ELi32ELb1ELi8ELNS0_23SharedExpertScoringFuncE1EEEvPKT_PKbPfiPiS9_iiiiii,@function
_ZN4vllm3moe17topkGatingSoftmaxIfLi8ELi128ELi8ELi32ELb1ELi8ELNS0_23SharedExpertScoringFuncE1EEEvPKT_PKbPfiPiS9_iiiiii: ; @_ZN4vllm3moe17topkGatingSoftmaxIfLi8ELi128ELi8ELi32ELb1ELi8ELNS0_23SharedExpertScoringFuncE1EEEvPKT_PKbPfiPiS9_iiiiii
; %bb.0:
	s_load_b32 s16, s[0:1], 0x18
	v_bfe_u32 v1, v0, 10, 10
	v_and_b32_e32 v0, 0x3ff, v0
	s_lshl_b32 s18, s15, 4
	s_mov_b32 s2, exec_lo
	s_delay_alu instid0(VALU_DEP_2) | instskip(NEXT) | instid1(VALU_DEP_2)
	v_lshlrev_b32_e32 v25, 1, v1
	v_lshrrev_b32_e32 v26, 4, v0
	s_delay_alu instid0(VALU_DEP_1) | instskip(SKIP_1) | instid1(VALU_DEP_1)
	v_add3_u32 v15, s18, v25, v26
	s_waitcnt lgkmcnt(0)
	v_cmpx_gt_i32_e64 s16, v15
	s_cbranch_execz .LBB79_22
; %bb.1:
	s_clause 0x1
	s_load_b128 s[4:7], s[0:1], 0x0
	s_load_b64 s[12:13], s[0:1], 0x10
	s_waitcnt lgkmcnt(0)
	s_cmp_eq_u64 s[6:7], 0
	s_cbranch_scc1 .LBB79_3
; %bb.2:
	v_ashrrev_i32_e32 v2, 31, v15
	v_add_co_u32 v1, vcc_lo, s6, v15
	s_delay_alu instid0(VALU_DEP_2) | instskip(SKIP_3) | instid1(VALU_DEP_1)
	v_add_co_ci_u32_e32 v2, vcc_lo, s7, v2, vcc_lo
	global_load_u8 v1, v[1:2], off
	s_waitcnt vmcnt(0)
	v_and_b32_e32 v1, 1, v1
	v_cmp_eq_u32_e32 vcc_lo, 1, v1
	s_xor_b32 s2, vcc_lo, -1
	s_delay_alu instid0(SALU_CYCLE_1)
	s_or_not1_b32 s17, s2, exec_lo
	s_branch .LBB79_4
.LBB79_3:
	s_mov_b32 s17, -1
.LBB79_4:
	s_load_b64 s[14:15], s[0:1], 0x40
	v_and_b32_e32 v16, 15, v0
	s_mov_b32 s2, exec_lo
	s_delay_alu instid0(VALU_DEP_1) | instskip(SKIP_2) | instid1(VALU_DEP_1)
	v_dual_mov_b32 v14, 0 :: v_dual_lshlrev_b32 v17, 3, v16
	s_waitcnt lgkmcnt(0)
	v_mul_lo_u32 v1, v15, s15
	v_ashrrev_i32_e32 v2, 31, v1
	s_delay_alu instid0(VALU_DEP_1) | instskip(SKIP_1) | instid1(VALU_DEP_2)
	v_lshlrev_b64 v[0:1], 2, v[1:2]
	v_lshlrev_b32_e32 v2, 5, v16
	v_add_co_u32 v8, vcc_lo, s4, v0
	s_delay_alu instid0(VALU_DEP_3) | instskip(SKIP_1) | instid1(VALU_DEP_2)
	v_add_co_ci_u32_e32 v9, vcc_lo, s5, v1, vcc_lo
	s_load_b128 s[4:7], s[0:1], 0x30
	v_add_co_u32 v4, vcc_lo, v8, v2
	s_delay_alu instid0(VALU_DEP_2)
	v_add_co_ci_u32_e32 v5, vcc_lo, 0, v9, vcc_lo
	s_clause 0x1
	global_load_b128 v[0:3], v[4:5], off offset:16
	global_load_b128 v[4:7], v[4:5], off
	v_cmpx_gt_u32_e32 8, v16
	s_cbranch_execz .LBB79_6
; %bb.5:
	v_lshlrev_b32_e32 v10, 2, v16
	s_delay_alu instid0(VALU_DEP_1)
	v_add_co_u32 v8, vcc_lo, v8, v10
	v_add_co_ci_u32_e32 v9, vcc_lo, 0, v9, vcc_lo
	global_load_b32 v8, v[8:9], off offset:512
	s_waitcnt vmcnt(0)
	v_mul_f32_e32 v9, 0xbfb8aa3b, v8
	v_cmp_nlt_f32_e32 vcc_lo, 0x42ce8ed0, v8
	s_delay_alu instid0(VALU_DEP_2) | instskip(SKIP_1) | instid1(VALU_DEP_1)
	v_fma_f32 v10, 0xbfb8aa3b, v8, -v9
	v_rndne_f32_e32 v11, v9
	v_dual_fmamk_f32 v10, v8, 0xb2a5705f, v10 :: v_dual_sub_f32 v9, v9, v11
	s_delay_alu instid0(VALU_DEP_1) | instskip(SKIP_1) | instid1(VALU_DEP_2)
	v_add_f32_e32 v9, v9, v10
	v_cvt_i32_f32_e32 v10, v11
	v_exp_f32_e32 v9, v9
	s_waitcnt_depctr 0xfff
	v_ldexp_f32 v9, v9, v10
	s_delay_alu instid0(VALU_DEP_1) | instskip(SKIP_1) | instid1(VALU_DEP_2)
	v_cndmask_b32_e32 v9, 0, v9, vcc_lo
	v_cmp_ngt_f32_e32 vcc_lo, 0xc2b17218, v8
	v_cndmask_b32_e32 v8, 0x7f800000, v9, vcc_lo
	s_delay_alu instid0(VALU_DEP_1) | instskip(NEXT) | instid1(VALU_DEP_1)
	v_add_f32_e32 v10, 1.0, v8
	v_div_scale_f32 v9, null, v10, v10, 1.0
	v_div_scale_f32 v12, vcc_lo, 1.0, v10, 1.0
	s_delay_alu instid0(VALU_DEP_2) | instskip(SKIP_2) | instid1(VALU_DEP_1)
	v_rcp_f32_e32 v11, v9
	s_waitcnt_depctr 0xfff
	v_fma_f32 v8, -v9, v11, 1.0
	v_fmac_f32_e32 v11, v8, v11
	s_waitcnt lgkmcnt(0)
	v_mul_lo_u32 v8, v15, s7
	s_delay_alu instid0(VALU_DEP_2) | instskip(NEXT) | instid1(VALU_DEP_2)
	v_mul_f32_e32 v13, v12, v11
	v_add3_u32 v8, v8, s4, v16
	s_delay_alu instid0(VALU_DEP_2) | instskip(NEXT) | instid1(VALU_DEP_1)
	v_fma_f32 v18, -v9, v13, v12
	v_fmac_f32_e32 v13, v18, v11
	s_delay_alu instid0(VALU_DEP_1) | instskip(NEXT) | instid1(VALU_DEP_4)
	v_fma_f32 v12, -v9, v13, v12
	v_ashrrev_i32_e32 v9, 31, v8
	s_delay_alu instid0(VALU_DEP_2) | instskip(NEXT) | instid1(VALU_DEP_2)
	v_div_fmas_f32 v11, v12, v11, v13
	v_lshlrev_b64 v[8:9], 2, v[8:9]
	s_delay_alu instid0(VALU_DEP_2) | instskip(NEXT) | instid1(VALU_DEP_2)
	v_div_fixup_f32 v10, v11, v10, 1.0
	v_add_co_u32 v8, vcc_lo, s12, v8
	s_delay_alu instid0(VALU_DEP_3)
	v_add_co_ci_u32_e32 v9, vcc_lo, s13, v9, vcc_lo
	global_store_b32 v[8:9], v10, off
.LBB79_6:
	s_or_b32 exec_lo, exec_lo, s2
	v_or_b32_e32 v18, 1, v17
	s_waitcnt vmcnt(0)
	v_cmp_lt_f32_e32 vcc_lo, v4, v5
	v_or_b32_e32 v19, 2, v17
	v_or_b32_e32 v20, 3, v17
	;; [unrolled: 1-line block ×4, first 2 shown]
	v_dual_cndmask_b32 v8, v17, v18 :: v_dual_cndmask_b32 v9, v4, v5
	v_or_b32_e32 v23, 6, v17
	v_or_b32_e32 v24, 7, v17
	s_delay_alu instid0(VALU_DEP_3) | instskip(NEXT) | instid1(VALU_DEP_4)
	v_cmp_lt_f32_e32 vcc_lo, v9, v6
	v_dual_cndmask_b32 v8, v8, v19 :: v_dual_cndmask_b32 v9, v9, v6
	s_delay_alu instid0(VALU_DEP_1) | instskip(NEXT) | instid1(VALU_DEP_2)
	v_cmp_lt_f32_e32 vcc_lo, v9, v7
	v_dual_cndmask_b32 v8, v8, v20 :: v_dual_cndmask_b32 v9, v9, v7
	s_delay_alu instid0(VALU_DEP_1) | instskip(NEXT) | instid1(VALU_DEP_2)
	;; [unrolled: 3-line block ×6, first 2 shown]
	v_mov_b32_dpp v10, v8 quad_perm:[1,0,3,2] row_mask:0xf bank_mask:0xf
	v_mov_b32_dpp v11, v9 quad_perm:[1,0,3,2] row_mask:0xf bank_mask:0xf
	s_delay_alu instid0(VALU_DEP_2) | instskip(NEXT) | instid1(VALU_DEP_2)
	v_cmp_lt_i32_e32 vcc_lo, v10, v8
	v_cmp_eq_f32_e64 s2, v9, v11
	v_cmp_lt_f32_e64 s3, v9, v11
	s_delay_alu instid0(VALU_DEP_2)
	s_and_b32 s2, s2, vcc_lo
	s_delay_alu instid0(VALU_DEP_1) | instid1(SALU_CYCLE_1)
	s_or_b32 vcc_lo, s3, s2
	v_dual_cndmask_b32 v9, v9, v11 :: v_dual_cndmask_b32 v8, v8, v10
	s_delay_alu instid0(VALU_DEP_1) | instskip(NEXT) | instid1(VALU_DEP_2)
	v_mov_b32_dpp v10, v9 quad_perm:[2,3,0,1] row_mask:0xf bank_mask:0xf
	v_mov_b32_dpp v11, v8 quad_perm:[2,3,0,1] row_mask:0xf bank_mask:0xf
	s_delay_alu instid0(VALU_DEP_2) | instskip(NEXT) | instid1(VALU_DEP_2)
	v_cmp_eq_f32_e32 vcc_lo, v9, v10
	v_cmp_lt_i32_e64 s2, v11, v8
	v_cmp_lt_f32_e64 s3, v9, v10
	s_delay_alu instid0(VALU_DEP_2)
	s_and_b32 s2, vcc_lo, s2
	s_delay_alu instid0(VALU_DEP_1) | instid1(SALU_CYCLE_1)
	s_or_b32 vcc_lo, s3, s2
	v_dual_cndmask_b32 v9, v9, v10 :: v_dual_cndmask_b32 v8, v8, v11
	s_delay_alu instid0(VALU_DEP_1) | instskip(NEXT) | instid1(VALU_DEP_2)
	v_mov_b32_dpp v10, v9 row_half_mirror row_mask:0xf bank_mask:0xf
	v_mov_b32_dpp v11, v8 row_half_mirror row_mask:0xf bank_mask:0xf
	s_delay_alu instid0(VALU_DEP_2) | instskip(NEXT) | instid1(VALU_DEP_2)
	v_cmp_eq_f32_e32 vcc_lo, v9, v10
	v_cmp_lt_i32_e64 s2, v11, v8
	v_cmp_lt_f32_e64 s3, v9, v10
	s_delay_alu instid0(VALU_DEP_2)
	s_and_b32 s2, vcc_lo, s2
	s_delay_alu instid0(VALU_DEP_1) | instid1(SALU_CYCLE_1)
	s_or_b32 vcc_lo, s3, s2
	s_waitcnt lgkmcnt(0)
	s_cmp_gt_i32 s4, 0
	v_cndmask_b32_e32 v10, v9, v10, vcc_lo
	v_cndmask_b32_e32 v8, v8, v11, vcc_lo
	v_cmp_eq_u32_e32 vcc_lo, 0, v16
	s_cselect_b32 s3, -1, 0
	s_cmp_lt_i32 s4, 1
	v_mov_b32_dpp v12, v10 row_mirror row_mask:0xf bank_mask:0xf
	v_mov_b32_dpp v27, v8 row_mirror row_mask:0xf bank_mask:0xf
	s_cbranch_scc1 .LBB79_18
; %bb.7:
	s_load_b128 s[8:11], s[0:1], 0x20
	s_delay_alu instid0(VALU_DEP_2) | instskip(NEXT) | instid1(VALU_DEP_2)
	v_cmp_eq_f32_e64 s0, v10, v12
	v_cmp_lt_i32_e64 s1, v27, v8
	v_cmp_lt_f32_e64 s2, v10, v12
	v_mul_lo_u32 v9, v15, s7
	v_mul_lo_u32 v11, v15, s14
	;; [unrolled: 1-line block ×3, first 2 shown]
	s_and_b32 s0, s0, s1
	v_mov_b32_e32 v14, 0
	s_or_b32 s0, s2, s0
	s_delay_alu instid0(SALU_CYCLE_1)
	v_cndmask_b32_e64 v8, v8, v27, s0
	v_cndmask_b32_e64 v27, v10, v12, s0
	s_and_saveexec_b32 s2, vcc_lo
	s_cbranch_execz .LBB79_9
; %bb.8:
	s_delay_alu instid0(VALU_DEP_1)
	v_sub_f32_e32 v34, v27, v27
	v_cmp_le_i32_e64 s0, s5, v8
	v_cmp_gt_i32_e64 s1, s6, v8
	v_subrev_nc_u32_e32 v35, s5, v8
	v_ashrrev_i32_e32 v14, 31, v13
	v_mul_f32_e32 v10, 0x3fb8aa3b, v34
	s_delay_alu instid0(VALU_DEP_4) | instskip(NEXT) | instid1(SALU_CYCLE_1)
	s_and_b32 s0, s0, s1
	s_and_b32 s0, s17, s0
	s_delay_alu instid0(VALU_DEP_1) | instskip(SKIP_2) | instid1(VALU_DEP_3)
	v_rndne_f32_e32 v30, v10
	v_fma_f32 v12, 0x3fb8aa3b, v34, -v10
	v_lshlrev_b64 v[32:33], 2, v[13:14]
	v_sub_f32_e32 v10, v10, v30
	s_delay_alu instid0(VALU_DEP_3) | instskip(NEXT) | instid1(VALU_DEP_1)
	v_fmamk_f32 v12, v34, 0x32a5705f, v12
	v_add_f32_e32 v12, v10, v12
	v_ashrrev_i32_e32 v10, 31, v9
	s_delay_alu instid0(VALU_DEP_2) | instskip(NEXT) | instid1(VALU_DEP_1)
	v_exp_f32_e32 v36, v12
	v_lshlrev_b64 v[28:29], 2, v[9:10]
	v_ashrrev_i32_e32 v12, 31, v11
	v_cvt_i32_f32_e32 v10, v30
	s_delay_alu instid0(VALU_DEP_2) | instskip(SKIP_2) | instid1(VALU_DEP_1)
	v_lshlrev_b64 v[30:31], 2, v[11:12]
	v_cndmask_b32_e64 v12, 0x80, v35, s0
	v_add_co_u32 v28, s0, s12, v28
	v_add_co_ci_u32_e64 v29, s0, s13, v29, s0
	s_delay_alu instid0(TRANS32_DEP_1) | instskip(SKIP_1) | instid1(VALU_DEP_1)
	v_ldexp_f32 v10, v36, v10
	v_cmp_ngt_f32_e64 s0, 0xc2ce8ed0, v34
	v_cndmask_b32_e64 v10, 0, v10, s0
	s_waitcnt lgkmcnt(0)
	v_add_co_u32 v30, s0, s8, v30
	s_delay_alu instid0(VALU_DEP_1) | instskip(SKIP_1) | instid1(VALU_DEP_1)
	v_add_co_ci_u32_e64 v31, s0, s9, v31, s0
	v_cmp_nlt_f32_e64 s0, 0x42b17218, v34
	v_cndmask_b32_e64 v14, 0x7f800000, v10, s0
	v_add_co_u32 v32, s0, s10, v32
	s_delay_alu instid0(VALU_DEP_1)
	v_add_co_ci_u32_e64 v33, s0, s11, v33, s0
	global_store_b32 v[30:31], v12, off
	global_store_b32 v[28:29], v14, off
	;; [unrolled: 1-line block ×3, first 2 shown]
.LBB79_9:
	s_or_b32 exec_lo, exec_lo, s2
	v_ashrrev_i32_e32 v12, 31, v8
	s_mov_b32 s1, exec_lo
	s_delay_alu instid0(VALU_DEP_1) | instskip(NEXT) | instid1(VALU_DEP_1)
	v_lshrrev_b32_e32 v10, 29, v12
	v_add_nc_u32_e32 v10, v8, v10
	s_delay_alu instid0(VALU_DEP_1) | instskip(NEXT) | instid1(VALU_DEP_1)
	v_ashrrev_i32_e32 v10, 3, v10
	v_lshrrev_b32_e32 v28, 28, v10
	s_delay_alu instid0(VALU_DEP_1) | instskip(NEXT) | instid1(VALU_DEP_1)
	v_add_nc_u32_e32 v28, v10, v28
	v_and_b32_e32 v28, -16, v28
	s_delay_alu instid0(VALU_DEP_1) | instskip(NEXT) | instid1(VALU_DEP_1)
	v_sub_nc_u32_e32 v28, v10, v28
	v_cmpx_eq_u32_e64 v16, v28
	s_cbranch_execz .LBB79_11
; %bb.10:
	v_lshrrev_b32_e32 v12, 25, v12
	v_lshlrev_b32_e32 v10, 3, v10
	s_delay_alu instid0(VALU_DEP_2) | instskip(NEXT) | instid1(VALU_DEP_2)
	v_add_nc_u32_e32 v12, v8, v12
	v_sub_nc_u32_e32 v8, v8, v10
	s_delay_alu instid0(VALU_DEP_2) | instskip(NEXT) | instid1(VALU_DEP_1)
	v_ashrrev_i32_e32 v10, 7, v12
	v_lshl_add_u32 v8, v10, 3, v8
	s_delay_alu instid0(VALU_DEP_1) | instskip(NEXT) | instid1(VALU_DEP_1)
	v_cmp_ne_u32_e64 s0, 7, v8
	v_cndmask_b32_e64 v3, 0xff800000, v3, s0
	v_cmp_ne_u32_e64 s0, 6, v8
	s_delay_alu instid0(VALU_DEP_1) | instskip(SKIP_1) | instid1(VALU_DEP_1)
	v_cndmask_b32_e64 v2, 0xff800000, v2, s0
	v_cmp_ne_u32_e64 s0, 5, v8
	v_cndmask_b32_e64 v1, 0xff800000, v1, s0
	v_cmp_ne_u32_e64 s0, 4, v8
	s_delay_alu instid0(VALU_DEP_1) | instskip(SKIP_1) | instid1(VALU_DEP_1)
	v_cndmask_b32_e64 v0, 0xff800000, v0, s0
	;; [unrolled: 5-line block ×3, first 2 shown]
	v_cmp_ne_u32_e64 s0, 1, v8
	v_cndmask_b32_e64 v5, 0xff800000, v5, s0
	v_cmp_ne_u32_e64 s0, 0, v8
	s_delay_alu instid0(VALU_DEP_1)
	v_cndmask_b32_e64 v4, 0xff800000, v4, s0
.LBB79_11:
	s_or_b32 exec_lo, exec_lo, s1
	s_cmp_eq_u32 s4, 1
	s_cbranch_scc1 .LBB79_18
; %bb.12:
	s_add_i32 s18, s18, s16
	v_add_nc_u32_e32 v8, 1, v13
	v_add3_u32 v25, s18, v26, v25
	v_add_nc_u32_e32 v10, 1, v11
	v_add_nc_u32_e32 v12, 1, v9
	s_add_i32 s14, s4, -1
	s_branch .LBB79_14
.LBB79_13:                              ;   in Loop: Header=BB79_14 Depth=1
	s_or_b32 exec_lo, exec_lo, s1
	v_add_nc_u32_e32 v25, s16, v25
	v_add_nc_u32_e32 v8, 1, v8
	;; [unrolled: 1-line block ×4, first 2 shown]
	s_add_i32 s14, s14, -1
	s_delay_alu instid0(SALU_CYCLE_1)
	s_cmp_eq_u32 s14, 0
	s_cbranch_scc1 .LBB79_18
.LBB79_14:                              ; =>This Inner Loop Header: Depth=1
	v_cmp_gt_f32_e64 s0, v5, v4
	s_delay_alu instid0(VALU_DEP_1) | instskip(SKIP_1) | instid1(VALU_DEP_2)
	v_cndmask_b32_e64 v11, v4, v5, s0
	v_cndmask_b32_e64 v9, v17, v18, s0
	v_cmp_gt_f32_e64 s0, v6, v11
	s_delay_alu instid0(VALU_DEP_1) | instskip(NEXT) | instid1(VALU_DEP_3)
	v_cndmask_b32_e64 v11, v11, v6, s0
	v_cndmask_b32_e64 v9, v9, v19, s0
	s_delay_alu instid0(VALU_DEP_2) | instskip(NEXT) | instid1(VALU_DEP_1)
	v_cmp_gt_f32_e64 s0, v7, v11
	v_cndmask_b32_e64 v11, v11, v7, s0
	s_delay_alu instid0(VALU_DEP_3) | instskip(NEXT) | instid1(VALU_DEP_2)
	v_cndmask_b32_e64 v9, v9, v20, s0
	v_cmp_gt_f32_e64 s0, v0, v11
	s_delay_alu instid0(VALU_DEP_1) | instskip(NEXT) | instid1(VALU_DEP_3)
	v_cndmask_b32_e64 v11, v11, v0, s0
	v_cndmask_b32_e64 v9, v9, v21, s0
	s_delay_alu instid0(VALU_DEP_2) | instskip(NEXT) | instid1(VALU_DEP_1)
	v_cmp_gt_f32_e64 s0, v1, v11
	v_cndmask_b32_e64 v11, v11, v1, s0
	s_delay_alu instid0(VALU_DEP_3) | instskip(NEXT) | instid1(VALU_DEP_2)
	v_cndmask_b32_e64 v9, v9, v22, s0
	v_cmp_gt_f32_e64 s0, v2, v11
	s_delay_alu instid0(VALU_DEP_1) | instskip(NEXT) | instid1(VALU_DEP_3)
	v_cndmask_b32_e64 v11, v11, v2, s0
	v_cndmask_b32_e64 v9, v9, v23, s0
	s_delay_alu instid0(VALU_DEP_2) | instskip(NEXT) | instid1(VALU_DEP_1)
	v_cmp_gt_f32_e64 s0, v3, v11
	v_cndmask_b32_e64 v9, v9, v24, s0
	v_cndmask_b32_e64 v11, v11, v3, s0
	s_delay_alu instid0(VALU_DEP_2) | instskip(NEXT) | instid1(VALU_DEP_2)
	v_mov_b32_dpp v13, v9 quad_perm:[1,0,3,2] row_mask:0xf bank_mask:0xf
	v_mov_b32_dpp v26, v11 quad_perm:[1,0,3,2] row_mask:0xf bank_mask:0xf
	s_delay_alu instid0(VALU_DEP_2) | instskip(NEXT) | instid1(VALU_DEP_2)
	v_cmp_lt_i32_e64 s0, v13, v9
	v_cmp_eq_f32_e64 s1, v11, v26
	v_cmp_lt_f32_e64 s2, v11, v26
	s_delay_alu instid0(VALU_DEP_2)
	s_and_b32 s0, s1, s0
	s_delay_alu instid0(VALU_DEP_1) | instid1(SALU_CYCLE_1)
	s_or_b32 s0, s2, s0
	s_delay_alu instid0(SALU_CYCLE_1) | instskip(SKIP_1) | instid1(VALU_DEP_2)
	v_cndmask_b32_e64 v11, v11, v26, s0
	v_cndmask_b32_e64 v9, v9, v13, s0
	v_mov_b32_dpp v13, v11 quad_perm:[2,3,0,1] row_mask:0xf bank_mask:0xf
	s_delay_alu instid0(VALU_DEP_2) | instskip(NEXT) | instid1(VALU_DEP_2)
	v_mov_b32_dpp v26, v9 quad_perm:[2,3,0,1] row_mask:0xf bank_mask:0xf
	v_cmp_eq_f32_e64 s0, v11, v13
	s_delay_alu instid0(VALU_DEP_2) | instskip(SKIP_1) | instid1(VALU_DEP_2)
	v_cmp_lt_i32_e64 s1, v26, v9
	v_cmp_lt_f32_e64 s2, v11, v13
	s_and_b32 s0, s0, s1
	s_delay_alu instid0(VALU_DEP_1) | instid1(SALU_CYCLE_1)
	s_or_b32 s0, s2, s0
	s_delay_alu instid0(SALU_CYCLE_1) | instskip(SKIP_1) | instid1(VALU_DEP_2)
	v_cndmask_b32_e64 v11, v11, v13, s0
	v_cndmask_b32_e64 v13, v9, v26, s0
	v_mov_b32_dpp v9, v11 row_half_mirror row_mask:0xf bank_mask:0xf
	s_delay_alu instid0(VALU_DEP_2) | instskip(NEXT) | instid1(VALU_DEP_2)
	v_mov_b32_dpp v26, v13 row_half_mirror row_mask:0xf bank_mask:0xf
	v_cmp_eq_f32_e64 s0, v11, v9
	s_delay_alu instid0(VALU_DEP_2) | instskip(SKIP_1) | instid1(VALU_DEP_2)
	v_cmp_lt_i32_e64 s1, v26, v13
	v_cmp_lt_f32_e64 s2, v11, v9
	s_and_b32 s0, s0, s1
	s_delay_alu instid0(VALU_DEP_1) | instid1(SALU_CYCLE_1)
	s_or_b32 s0, s2, s0
	s_delay_alu instid0(SALU_CYCLE_1) | instskip(SKIP_1) | instid1(VALU_DEP_2)
	v_cndmask_b32_e64 v9, v11, v9, s0
	v_cndmask_b32_e64 v13, v13, v26, s0
	v_mov_b32_dpp v11, v9 row_mirror row_mask:0xf bank_mask:0xf
	s_delay_alu instid0(VALU_DEP_2) | instskip(NEXT) | instid1(VALU_DEP_2)
	v_mov_b32_dpp v26, v13 row_mirror row_mask:0xf bank_mask:0xf
	v_cmp_eq_f32_e64 s0, v9, v11
	s_delay_alu instid0(VALU_DEP_2) | instskip(SKIP_1) | instid1(VALU_DEP_2)
	v_cmp_lt_i32_e64 s1, v26, v13
	v_cmp_lt_f32_e64 s2, v9, v11
	s_and_b32 s0, s0, s1
	s_delay_alu instid0(VALU_DEP_1) | instid1(SALU_CYCLE_1)
	s_or_b32 s0, s2, s0
	s_delay_alu instid0(SALU_CYCLE_1)
	v_cndmask_b32_e64 v26, v13, v26, s0
	s_and_saveexec_b32 s2, vcc_lo
	s_cbranch_execz .LBB79_16
; %bb.15:                               ;   in Loop: Header=BB79_14 Depth=1
	v_cndmask_b32_e64 v9, v9, v11, s0
	s_delay_alu instid0(VALU_DEP_2) | instskip(SKIP_4) | instid1(VALU_DEP_4)
	v_cmp_le_i32_e64 s0, s5, v26
	v_cmp_gt_i32_e64 s1, s6, v26
	v_ashrrev_i32_e32 v13, 31, v12
	v_subrev_nc_u32_e32 v35, s5, v26
	v_sub_f32_e32 v34, v9, v27
	s_and_b32 s0, s0, s1
	s_delay_alu instid0(SALU_CYCLE_1) | instskip(NEXT) | instid1(VALU_DEP_1)
	s_and_b32 s0, s17, s0
	v_mul_f32_e32 v9, 0x3fb8aa3b, v34
	s_delay_alu instid0(VALU_DEP_1) | instskip(SKIP_1) | instid1(VALU_DEP_2)
	v_fma_f32 v11, 0x3fb8aa3b, v34, -v9
	v_rndne_f32_e32 v28, v9
	v_fmac_f32_e32 v11, 0x32a5705f, v34
	s_delay_alu instid0(VALU_DEP_2) | instskip(SKIP_2) | instid1(VALU_DEP_3)
	v_sub_f32_e32 v9, v9, v28
	v_cvt_i32_f32_e32 v33, v28
	v_lshlrev_b64 v[28:29], 2, v[12:13]
	v_add_f32_e32 v9, v9, v11
	v_ashrrev_i32_e32 v11, 31, v10
	s_delay_alu instid0(VALU_DEP_2) | instskip(SKIP_1) | instid1(VALU_DEP_2)
	v_exp_f32_e32 v32, v9
	v_ashrrev_i32_e32 v9, 31, v8
	v_lshlrev_b64 v[30:31], 2, v[10:11]
	s_waitcnt_depctr 0xfff
	v_ldexp_f32 v11, v32, v33
	v_lshlrev_b64 v[32:33], 2, v[8:9]
	v_cndmask_b32_e64 v9, 0x80, v35, s0
	v_cmp_ngt_f32_e64 s0, 0xc2ce8ed0, v34
	s_delay_alu instid0(VALU_DEP_1) | instskip(SKIP_1) | instid1(VALU_DEP_1)
	v_cndmask_b32_e64 v11, 0, v11, s0
	v_add_co_u32 v28, s0, s12, v28
	v_add_co_ci_u32_e64 v29, s0, s13, v29, s0
	v_cmp_nlt_f32_e64 s0, 0x42b17218, v34
	s_delay_alu instid0(VALU_DEP_1) | instskip(SKIP_2) | instid1(VALU_DEP_1)
	v_cndmask_b32_e64 v11, 0x7f800000, v11, s0
	s_waitcnt lgkmcnt(0)
	v_add_co_u32 v30, s0, s8, v30
	v_add_co_ci_u32_e64 v31, s0, s9, v31, s0
	s_delay_alu instid0(VALU_DEP_3) | instskip(SKIP_1) | instid1(VALU_DEP_1)
	v_add_f32_e32 v14, v14, v11
	v_add_co_u32 v32, s0, s10, v32
	v_add_co_ci_u32_e64 v33, s0, s11, v33, s0
	global_store_b32 v[28:29], v11, off
	global_store_b32 v[30:31], v9, off
	;; [unrolled: 1-line block ×3, first 2 shown]
.LBB79_16:                              ;   in Loop: Header=BB79_14 Depth=1
	s_or_b32 exec_lo, exec_lo, s2
	s_delay_alu instid0(VALU_DEP_1) | instskip(SKIP_1) | instid1(VALU_DEP_1)
	v_ashrrev_i32_e32 v11, 31, v26
	s_mov_b32 s1, exec_lo
	v_lshrrev_b32_e32 v9, 29, v11
	s_delay_alu instid0(VALU_DEP_1) | instskip(NEXT) | instid1(VALU_DEP_1)
	v_add_nc_u32_e32 v9, v26, v9
	v_ashrrev_i32_e32 v9, 3, v9
	s_delay_alu instid0(VALU_DEP_1) | instskip(NEXT) | instid1(VALU_DEP_1)
	v_lshrrev_b32_e32 v13, 28, v9
	v_add_nc_u32_e32 v13, v9, v13
	s_delay_alu instid0(VALU_DEP_1) | instskip(NEXT) | instid1(VALU_DEP_1)
	v_and_b32_e32 v13, -16, v13
	v_sub_nc_u32_e32 v13, v9, v13
	s_delay_alu instid0(VALU_DEP_1)
	v_cmpx_eq_u32_e64 v16, v13
	s_cbranch_execz .LBB79_13
; %bb.17:                               ;   in Loop: Header=BB79_14 Depth=1
	v_lshrrev_b32_e32 v11, 25, v11
	v_lshlrev_b32_e32 v9, 3, v9
	s_delay_alu instid0(VALU_DEP_2) | instskip(NEXT) | instid1(VALU_DEP_2)
	v_add_nc_u32_e32 v11, v26, v11
	v_sub_nc_u32_e32 v9, v26, v9
	s_delay_alu instid0(VALU_DEP_2) | instskip(NEXT) | instid1(VALU_DEP_1)
	v_ashrrev_i32_e32 v11, 7, v11
	v_lshl_add_u32 v9, v11, 3, v9
	s_delay_alu instid0(VALU_DEP_1) | instskip(NEXT) | instid1(VALU_DEP_1)
	v_cmp_ne_u32_e64 s0, 7, v9
	v_cndmask_b32_e64 v3, 0xff800000, v3, s0
	v_cmp_ne_u32_e64 s0, 6, v9
	s_delay_alu instid0(VALU_DEP_1) | instskip(SKIP_1) | instid1(VALU_DEP_1)
	v_cndmask_b32_e64 v2, 0xff800000, v2, s0
	v_cmp_ne_u32_e64 s0, 5, v9
	v_cndmask_b32_e64 v1, 0xff800000, v1, s0
	v_cmp_ne_u32_e64 s0, 4, v9
	s_delay_alu instid0(VALU_DEP_1) | instskip(SKIP_1) | instid1(VALU_DEP_1)
	v_cndmask_b32_e64 v0, 0xff800000, v0, s0
	;; [unrolled: 5-line block ×3, first 2 shown]
	v_cmp_ne_u32_e64 s0, 1, v9
	v_cndmask_b32_e64 v5, 0xff800000, v5, s0
	v_cmp_ne_u32_e64 s0, 0, v9
	s_delay_alu instid0(VALU_DEP_1)
	v_cndmask_b32_e64 v4, 0xff800000, v4, s0
	s_branch .LBB79_13
.LBB79_18:
	v_cmp_eq_u32_e32 vcc_lo, 0, v16
	v_cmp_neq_f32_e64 s0, 0, v14
	s_delay_alu instid0(VALU_DEP_1) | instskip(NEXT) | instid1(SALU_CYCLE_1)
	s_and_b32 s0, vcc_lo, s0
	s_and_b32 exec_lo, exec_lo, s0
	s_cbranch_execz .LBB79_22
; %bb.19:
	s_and_not1_b32 vcc_lo, exec_lo, s3
	s_cbranch_vccnz .LBB79_22
; %bb.20:
	v_div_scale_f32 v1, null, v14, v14, 1.0
	v_div_scale_f32 v3, vcc_lo, 1.0, v14, 1.0
	s_delay_alu instid0(VALU_DEP_2) | instskip(SKIP_2) | instid1(VALU_DEP_1)
	v_rcp_f32_e32 v2, v1
	s_waitcnt_depctr 0xfff
	v_fma_f32 v0, -v1, v2, 1.0
	v_fmac_f32_e32 v2, v0, v2
	v_mul_lo_u32 v0, v15, s7
	s_delay_alu instid0(VALU_DEP_2) | instskip(NEXT) | instid1(VALU_DEP_1)
	v_mul_f32_e32 v4, v3, v2
	v_fma_f32 v5, -v1, v4, v3
	s_delay_alu instid0(VALU_DEP_1) | instskip(NEXT) | instid1(VALU_DEP_1)
	v_fmac_f32_e32 v4, v5, v2
	v_fma_f32 v3, -v1, v4, v3
	v_ashrrev_i32_e32 v1, 31, v0
	s_delay_alu instid0(VALU_DEP_2) | instskip(NEXT) | instid1(VALU_DEP_2)
	v_div_fmas_f32 v2, v3, v2, v4
	v_lshlrev_b64 v[0:1], 2, v[0:1]
	s_delay_alu instid0(VALU_DEP_2) | instskip(NEXT) | instid1(VALU_DEP_2)
	v_div_fixup_f32 v2, v2, v14, 1.0
	v_add_co_u32 v0, vcc_lo, s12, v0
	s_delay_alu instid0(VALU_DEP_3)
	v_add_co_ci_u32_e32 v1, vcc_lo, s13, v1, vcc_lo
.LBB79_21:                              ; =>This Inner Loop Header: Depth=1
	global_load_b32 v3, v[0:1], off
	s_add_i32 s4, s4, -1
	s_delay_alu instid0(SALU_CYCLE_1)
	s_cmp_lg_u32 s4, 0
	s_waitcnt vmcnt(0)
	v_mul_f32_e32 v3, v2, v3
	global_store_b32 v[0:1], v3, off
	v_add_co_u32 v0, vcc_lo, v0, 4
	v_add_co_ci_u32_e32 v1, vcc_lo, 0, v1, vcc_lo
	s_cbranch_scc1 .LBB79_21
.LBB79_22:
	s_nop 0
	s_sendmsg sendmsg(MSG_DEALLOC_VGPRS)
	s_endpgm
	.section	.rodata,"a",@progbits
	.p2align	6, 0x0
	.amdhsa_kernel _ZN4vllm3moe17topkGatingSoftmaxIfLi8ELi128ELi8ELi32ELb1ELi8ELNS0_23SharedExpertScoringFuncE1EEEvPKT_PKbPfiPiS9_iiiiii
		.amdhsa_group_segment_fixed_size 0
		.amdhsa_private_segment_fixed_size 0
		.amdhsa_kernarg_size 72
		.amdhsa_user_sgpr_count 15
		.amdhsa_user_sgpr_dispatch_ptr 0
		.amdhsa_user_sgpr_queue_ptr 0
		.amdhsa_user_sgpr_kernarg_segment_ptr 1
		.amdhsa_user_sgpr_dispatch_id 0
		.amdhsa_user_sgpr_private_segment_size 0
		.amdhsa_wavefront_size32 1
		.amdhsa_uses_dynamic_stack 0
		.amdhsa_enable_private_segment 0
		.amdhsa_system_sgpr_workgroup_id_x 1
		.amdhsa_system_sgpr_workgroup_id_y 0
		.amdhsa_system_sgpr_workgroup_id_z 0
		.amdhsa_system_sgpr_workgroup_info 0
		.amdhsa_system_vgpr_workitem_id 1
		.amdhsa_next_free_vgpr 37
		.amdhsa_next_free_sgpr 19
		.amdhsa_reserve_vcc 1
		.amdhsa_float_round_mode_32 0
		.amdhsa_float_round_mode_16_64 0
		.amdhsa_float_denorm_mode_32 3
		.amdhsa_float_denorm_mode_16_64 3
		.amdhsa_dx10_clamp 1
		.amdhsa_ieee_mode 1
		.amdhsa_fp16_overflow 0
		.amdhsa_workgroup_processor_mode 1
		.amdhsa_memory_ordered 1
		.amdhsa_forward_progress 0
		.amdhsa_shared_vgpr_count 0
		.amdhsa_exception_fp_ieee_invalid_op 0
		.amdhsa_exception_fp_denorm_src 0
		.amdhsa_exception_fp_ieee_div_zero 0
		.amdhsa_exception_fp_ieee_overflow 0
		.amdhsa_exception_fp_ieee_underflow 0
		.amdhsa_exception_fp_ieee_inexact 0
		.amdhsa_exception_int_div_zero 0
	.end_amdhsa_kernel
	.section	.text._ZN4vllm3moe17topkGatingSoftmaxIfLi8ELi128ELi8ELi32ELb1ELi8ELNS0_23SharedExpertScoringFuncE1EEEvPKT_PKbPfiPiS9_iiiiii,"axG",@progbits,_ZN4vllm3moe17topkGatingSoftmaxIfLi8ELi128ELi8ELi32ELb1ELi8ELNS0_23SharedExpertScoringFuncE1EEEvPKT_PKbPfiPiS9_iiiiii,comdat
.Lfunc_end79:
	.size	_ZN4vllm3moe17topkGatingSoftmaxIfLi8ELi128ELi8ELi32ELb1ELi8ELNS0_23SharedExpertScoringFuncE1EEEvPKT_PKbPfiPiS9_iiiiii, .Lfunc_end79-_ZN4vllm3moe17topkGatingSoftmaxIfLi8ELi128ELi8ELi32ELb1ELi8ELNS0_23SharedExpertScoringFuncE1EEEvPKT_PKbPfiPiS9_iiiiii
                                        ; -- End function
	.section	.AMDGPU.csdata,"",@progbits
; Kernel info:
; codeLenInByte = 3088
; NumSgprs: 21
; NumVgprs: 37
; ScratchSize: 0
; MemoryBound: 0
; FloatMode: 240
; IeeeMode: 1
; LDSByteSize: 0 bytes/workgroup (compile time only)
; SGPRBlocks: 2
; VGPRBlocks: 4
; NumSGPRsForWavesPerEU: 21
; NumVGPRsForWavesPerEU: 37
; Occupancy: 16
; WaveLimiterHint : 0
; COMPUTE_PGM_RSRC2:SCRATCH_EN: 0
; COMPUTE_PGM_RSRC2:USER_SGPR: 15
; COMPUTE_PGM_RSRC2:TRAP_HANDLER: 0
; COMPUTE_PGM_RSRC2:TGID_X_EN: 1
; COMPUTE_PGM_RSRC2:TGID_Y_EN: 0
; COMPUTE_PGM_RSRC2:TGID_Z_EN: 0
; COMPUTE_PGM_RSRC2:TIDIG_COMP_CNT: 1
	.section	.text._ZN4vllm3moe17topkGatingSoftmaxIfLi8ELi128ELi8ELi32ELb0ELi8ELNS0_23SharedExpertScoringFuncE1EEEvPKT_PKbPfiPiS9_iiiiii,"axG",@progbits,_ZN4vllm3moe17topkGatingSoftmaxIfLi8ELi128ELi8ELi32ELb0ELi8ELNS0_23SharedExpertScoringFuncE1EEEvPKT_PKbPfiPiS9_iiiiii,comdat
	.protected	_ZN4vllm3moe17topkGatingSoftmaxIfLi8ELi128ELi8ELi32ELb0ELi8ELNS0_23SharedExpertScoringFuncE1EEEvPKT_PKbPfiPiS9_iiiiii ; -- Begin function _ZN4vllm3moe17topkGatingSoftmaxIfLi8ELi128ELi8ELi32ELb0ELi8ELNS0_23SharedExpertScoringFuncE1EEEvPKT_PKbPfiPiS9_iiiiii
	.globl	_ZN4vllm3moe17topkGatingSoftmaxIfLi8ELi128ELi8ELi32ELb0ELi8ELNS0_23SharedExpertScoringFuncE1EEEvPKT_PKbPfiPiS9_iiiiii
	.p2align	8
	.type	_ZN4vllm3moe17topkGatingSoftmaxIfLi8ELi128ELi8ELi32ELb0ELi8ELNS0_23SharedExpertScoringFuncE1EEEvPKT_PKbPfiPiS9_iiiiii,@function
_ZN4vllm3moe17topkGatingSoftmaxIfLi8ELi128ELi8ELi32ELb0ELi8ELNS0_23SharedExpertScoringFuncE1EEEvPKT_PKbPfiPiS9_iiiiii: ; @_ZN4vllm3moe17topkGatingSoftmaxIfLi8ELi128ELi8ELi32ELb0ELi8ELNS0_23SharedExpertScoringFuncE1EEEvPKT_PKbPfiPiS9_iiiiii
; %bb.0:
	s_load_b32 s16, s[0:1], 0x18
	v_bfe_u32 v1, v0, 10, 10
	v_and_b32_e32 v0, 0x3ff, v0
	s_lshl_b32 s18, s15, 4
	s_mov_b32 s2, exec_lo
	s_delay_alu instid0(VALU_DEP_2) | instskip(NEXT) | instid1(VALU_DEP_2)
	v_lshlrev_b32_e32 v26, 1, v1
	v_lshrrev_b32_e32 v27, 4, v0
	s_delay_alu instid0(VALU_DEP_1) | instskip(SKIP_1) | instid1(VALU_DEP_1)
	v_add3_u32 v15, s18, v26, v27
	s_waitcnt lgkmcnt(0)
	v_cmpx_gt_i32_e64 s16, v15
	s_cbranch_execz .LBB80_23
; %bb.1:
	s_clause 0x1
	s_load_b128 s[4:7], s[0:1], 0x0
	s_load_b64 s[12:13], s[0:1], 0x10
	s_waitcnt lgkmcnt(0)
	s_cmp_eq_u64 s[6:7], 0
	s_cbranch_scc1 .LBB80_3
; %bb.2:
	v_ashrrev_i32_e32 v2, 31, v15
	v_add_co_u32 v1, vcc_lo, s6, v15
	s_delay_alu instid0(VALU_DEP_2) | instskip(SKIP_3) | instid1(VALU_DEP_1)
	v_add_co_ci_u32_e32 v2, vcc_lo, s7, v2, vcc_lo
	global_load_u8 v1, v[1:2], off
	s_waitcnt vmcnt(0)
	v_and_b32_e32 v1, 1, v1
	v_cmp_eq_u32_e32 vcc_lo, 1, v1
	s_xor_b32 s2, vcc_lo, -1
	s_delay_alu instid0(SALU_CYCLE_1)
	s_or_not1_b32 s17, s2, exec_lo
	s_branch .LBB80_4
.LBB80_3:
	s_mov_b32 s17, -1
.LBB80_4:
	s_load_b64 s[14:15], s[0:1], 0x40
	v_and_b32_e32 v16, 15, v0
	v_mov_b32_e32 v14, 0
	s_mov_b32 s2, exec_lo
	s_delay_alu instid0(VALU_DEP_2) | instskip(SKIP_2) | instid1(VALU_DEP_1)
	v_lshlrev_b32_e32 v18, 3, v16
	s_waitcnt lgkmcnt(0)
	v_mul_lo_u32 v1, v15, s15
	v_ashrrev_i32_e32 v2, 31, v1
	s_delay_alu instid0(VALU_DEP_1) | instskip(SKIP_1) | instid1(VALU_DEP_2)
	v_lshlrev_b64 v[0:1], 2, v[1:2]
	v_lshlrev_b32_e32 v2, 5, v16
	v_add_co_u32 v8, vcc_lo, s4, v0
	s_delay_alu instid0(VALU_DEP_3) | instskip(SKIP_1) | instid1(VALU_DEP_2)
	v_add_co_ci_u32_e32 v9, vcc_lo, s5, v1, vcc_lo
	s_load_b128 s[4:7], s[0:1], 0x30
	v_add_co_u32 v4, vcc_lo, v8, v2
	s_delay_alu instid0(VALU_DEP_2)
	v_add_co_ci_u32_e32 v5, vcc_lo, 0, v9, vcc_lo
	s_clause 0x1
	global_load_b128 v[0:3], v[4:5], off offset:16
	global_load_b128 v[4:7], v[4:5], off
	v_cmpx_gt_u32_e32 8, v16
	s_cbranch_execz .LBB80_6
; %bb.5:
	v_lshlrev_b32_e32 v10, 2, v16
	s_delay_alu instid0(VALU_DEP_1)
	v_add_co_u32 v8, vcc_lo, v8, v10
	v_add_co_ci_u32_e32 v9, vcc_lo, 0, v9, vcc_lo
	global_load_b32 v8, v[8:9], off offset:512
	s_waitcnt vmcnt(0)
	v_mul_f32_e32 v9, 0xbfb8aa3b, v8
	v_cmp_nlt_f32_e32 vcc_lo, 0x42ce8ed0, v8
	s_delay_alu instid0(VALU_DEP_2) | instskip(SKIP_1) | instid1(VALU_DEP_1)
	v_fma_f32 v10, 0xbfb8aa3b, v8, -v9
	v_rndne_f32_e32 v11, v9
	v_dual_fmamk_f32 v10, v8, 0xb2a5705f, v10 :: v_dual_sub_f32 v9, v9, v11
	s_delay_alu instid0(VALU_DEP_1) | instskip(SKIP_1) | instid1(VALU_DEP_2)
	v_add_f32_e32 v9, v9, v10
	v_cvt_i32_f32_e32 v10, v11
	v_exp_f32_e32 v9, v9
	s_waitcnt_depctr 0xfff
	v_ldexp_f32 v9, v9, v10
	s_delay_alu instid0(VALU_DEP_1) | instskip(SKIP_1) | instid1(VALU_DEP_2)
	v_cndmask_b32_e32 v9, 0, v9, vcc_lo
	v_cmp_ngt_f32_e32 vcc_lo, 0xc2b17218, v8
	v_cndmask_b32_e32 v8, 0x7f800000, v9, vcc_lo
	s_delay_alu instid0(VALU_DEP_1) | instskip(NEXT) | instid1(VALU_DEP_1)
	v_add_f32_e32 v10, 1.0, v8
	v_div_scale_f32 v9, null, v10, v10, 1.0
	v_div_scale_f32 v12, vcc_lo, 1.0, v10, 1.0
	s_delay_alu instid0(VALU_DEP_2) | instskip(SKIP_2) | instid1(VALU_DEP_1)
	v_rcp_f32_e32 v11, v9
	s_waitcnt_depctr 0xfff
	v_fma_f32 v8, -v9, v11, 1.0
	v_fmac_f32_e32 v11, v8, v11
	s_waitcnt lgkmcnt(0)
	v_mul_lo_u32 v8, v15, s7
	s_delay_alu instid0(VALU_DEP_2) | instskip(NEXT) | instid1(VALU_DEP_2)
	v_mul_f32_e32 v13, v12, v11
	v_add3_u32 v8, v8, s4, v16
	s_delay_alu instid0(VALU_DEP_2) | instskip(NEXT) | instid1(VALU_DEP_1)
	v_fma_f32 v17, -v9, v13, v12
	v_fmac_f32_e32 v13, v17, v11
	s_delay_alu instid0(VALU_DEP_1) | instskip(NEXT) | instid1(VALU_DEP_4)
	v_fma_f32 v12, -v9, v13, v12
	v_ashrrev_i32_e32 v9, 31, v8
	s_delay_alu instid0(VALU_DEP_2) | instskip(NEXT) | instid1(VALU_DEP_2)
	v_div_fmas_f32 v11, v12, v11, v13
	v_lshlrev_b64 v[8:9], 2, v[8:9]
	s_delay_alu instid0(VALU_DEP_2) | instskip(NEXT) | instid1(VALU_DEP_2)
	v_div_fixup_f32 v10, v11, v10, 1.0
	v_add_co_u32 v8, vcc_lo, s12, v8
	s_delay_alu instid0(VALU_DEP_3)
	v_add_co_ci_u32_e32 v9, vcc_lo, s13, v9, vcc_lo
	global_store_b32 v[8:9], v10, off
.LBB80_6:
	s_or_b32 exec_lo, exec_lo, s2
	v_or_b32_e32 v19, 1, v18
	s_waitcnt vmcnt(0)
	v_cmp_lt_f32_e32 vcc_lo, v4, v5
	v_or_b32_e32 v20, 2, v18
	v_or_b32_e32 v21, 3, v18
	;; [unrolled: 1-line block ×4, first 2 shown]
	v_dual_cndmask_b32 v8, v18, v19 :: v_dual_cndmask_b32 v9, v4, v5
	v_or_b32_e32 v24, 6, v18
	v_or_b32_e32 v25, 7, v18
	s_delay_alu instid0(VALU_DEP_3) | instskip(NEXT) | instid1(VALU_DEP_4)
	v_cmp_lt_f32_e32 vcc_lo, v9, v6
	v_dual_cndmask_b32 v8, v8, v20 :: v_dual_cndmask_b32 v9, v9, v6
	s_delay_alu instid0(VALU_DEP_1) | instskip(NEXT) | instid1(VALU_DEP_2)
	v_cmp_lt_f32_e32 vcc_lo, v9, v7
	v_dual_cndmask_b32 v8, v8, v21 :: v_dual_cndmask_b32 v9, v9, v7
	s_delay_alu instid0(VALU_DEP_1) | instskip(NEXT) | instid1(VALU_DEP_2)
	;; [unrolled: 3-line block ×6, first 2 shown]
	v_mov_b32_dpp v10, v8 quad_perm:[1,0,3,2] row_mask:0xf bank_mask:0xf
	v_mov_b32_dpp v11, v9 quad_perm:[1,0,3,2] row_mask:0xf bank_mask:0xf
	s_delay_alu instid0(VALU_DEP_2) | instskip(NEXT) | instid1(VALU_DEP_2)
	v_cmp_lt_i32_e32 vcc_lo, v10, v8
	v_cmp_eq_f32_e64 s2, v9, v11
	v_cmp_lt_f32_e64 s3, v9, v11
	s_delay_alu instid0(VALU_DEP_2)
	s_and_b32 s2, s2, vcc_lo
	s_delay_alu instid0(VALU_DEP_1) | instid1(SALU_CYCLE_1)
	s_or_b32 vcc_lo, s3, s2
	v_dual_cndmask_b32 v9, v9, v11 :: v_dual_cndmask_b32 v8, v8, v10
	s_delay_alu instid0(VALU_DEP_1) | instskip(NEXT) | instid1(VALU_DEP_2)
	v_mov_b32_dpp v10, v9 quad_perm:[2,3,0,1] row_mask:0xf bank_mask:0xf
	v_mov_b32_dpp v11, v8 quad_perm:[2,3,0,1] row_mask:0xf bank_mask:0xf
	s_delay_alu instid0(VALU_DEP_2) | instskip(NEXT) | instid1(VALU_DEP_2)
	v_cmp_eq_f32_e32 vcc_lo, v9, v10
	v_cmp_lt_i32_e64 s2, v11, v8
	v_cmp_lt_f32_e64 s3, v9, v10
	s_delay_alu instid0(VALU_DEP_2)
	s_and_b32 s2, vcc_lo, s2
	s_delay_alu instid0(VALU_DEP_1) | instid1(SALU_CYCLE_1)
	s_or_b32 vcc_lo, s3, s2
	v_dual_cndmask_b32 v9, v9, v10 :: v_dual_cndmask_b32 v8, v8, v11
	s_delay_alu instid0(VALU_DEP_1) | instskip(NEXT) | instid1(VALU_DEP_2)
	v_mov_b32_dpp v10, v9 row_half_mirror row_mask:0xf bank_mask:0xf
	v_mov_b32_dpp v11, v8 row_half_mirror row_mask:0xf bank_mask:0xf
	s_delay_alu instid0(VALU_DEP_2) | instskip(NEXT) | instid1(VALU_DEP_2)
	v_cmp_eq_f32_e32 vcc_lo, v9, v10
	v_cmp_lt_i32_e64 s2, v11, v8
	v_cmp_lt_f32_e64 s3, v9, v10
	s_delay_alu instid0(VALU_DEP_2)
	s_and_b32 s2, vcc_lo, s2
	s_delay_alu instid0(VALU_DEP_1) | instid1(SALU_CYCLE_1)
	s_or_b32 vcc_lo, s3, s2
	v_dual_cndmask_b32 v9, v9, v10 :: v_dual_cndmask_b32 v8, v8, v11
	s_delay_alu instid0(VALU_DEP_1) | instskip(NEXT) | instid1(VALU_DEP_2)
	v_mov_b32_dpp v11, v9 row_mirror row_mask:0xf bank_mask:0xf
	v_mov_b32_dpp v10, v8 row_mirror row_mask:0xf bank_mask:0xf
	s_delay_alu instid0(VALU_DEP_2) | instskip(NEXT) | instid1(VALU_DEP_2)
	v_cmp_eq_f32_e32 vcc_lo, v9, v11
	v_cmp_lt_i32_e64 s2, v10, v8
	v_cmp_lt_f32_e64 s3, v9, v11
	s_delay_alu instid0(VALU_DEP_2) | instskip(SKIP_1) | instid1(VALU_DEP_2)
	s_and_b32 s2, vcc_lo, s2
	v_cmp_eq_u32_e32 vcc_lo, 0, v16
	s_or_b32 s2, s3, s2
	s_waitcnt lgkmcnt(0)
	s_cmp_gt_i32 s4, 0
	v_cndmask_b32_e64 v17, v9, v11, s2
	s_cselect_b32 s3, -1, 0
	s_cmp_lt_i32 s4, 1
	s_cbranch_scc1 .LBB80_18
; %bb.7:
	s_load_b128 s[8:11], s[0:1], 0x20
	v_mul_lo_u32 v9, v15, s7
	v_mul_lo_u32 v11, v15, s14
	;; [unrolled: 1-line block ×3, first 2 shown]
	v_cndmask_b32_e64 v8, v8, v10, s2
	v_mov_b32_e32 v14, 0
	s_and_saveexec_b32 s2, vcc_lo
	s_cbranch_execz .LBB80_9
; %bb.8:
	v_sub_f32_e32 v34, v17, v17
	v_cmp_le_i32_e64 s0, s5, v8
	v_cmp_gt_i32_e64 s1, s6, v8
	v_subrev_nc_u32_e32 v35, s5, v8
	v_ashrrev_i32_e32 v14, 31, v13
	v_mul_f32_e32 v10, 0x3fb8aa3b, v34
	s_delay_alu instid0(VALU_DEP_4) | instskip(NEXT) | instid1(SALU_CYCLE_1)
	s_and_b32 s0, s0, s1
	s_and_b32 s0, s17, s0
	s_delay_alu instid0(VALU_DEP_1) | instskip(SKIP_2) | instid1(VALU_DEP_3)
	v_rndne_f32_e32 v30, v10
	v_fma_f32 v12, 0x3fb8aa3b, v34, -v10
	v_lshlrev_b64 v[32:33], 2, v[13:14]
	v_sub_f32_e32 v10, v10, v30
	s_delay_alu instid0(VALU_DEP_3) | instskip(NEXT) | instid1(VALU_DEP_1)
	v_fmamk_f32 v12, v34, 0x32a5705f, v12
	v_add_f32_e32 v12, v10, v12
	v_ashrrev_i32_e32 v10, 31, v9
	s_delay_alu instid0(VALU_DEP_2) | instskip(NEXT) | instid1(VALU_DEP_1)
	v_exp_f32_e32 v36, v12
	v_lshlrev_b64 v[28:29], 2, v[9:10]
	v_ashrrev_i32_e32 v12, 31, v11
	v_cvt_i32_f32_e32 v10, v30
	s_delay_alu instid0(VALU_DEP_2) | instskip(SKIP_2) | instid1(VALU_DEP_1)
	v_lshlrev_b64 v[30:31], 2, v[11:12]
	v_cndmask_b32_e64 v12, 0x80, v35, s0
	v_add_co_u32 v28, s0, s12, v28
	v_add_co_ci_u32_e64 v29, s0, s13, v29, s0
	s_delay_alu instid0(TRANS32_DEP_1) | instskip(SKIP_1) | instid1(VALU_DEP_1)
	v_ldexp_f32 v10, v36, v10
	v_cmp_ngt_f32_e64 s0, 0xc2ce8ed0, v34
	v_cndmask_b32_e64 v10, 0, v10, s0
	s_waitcnt lgkmcnt(0)
	v_add_co_u32 v30, s0, s8, v30
	s_delay_alu instid0(VALU_DEP_1) | instskip(SKIP_1) | instid1(VALU_DEP_1)
	v_add_co_ci_u32_e64 v31, s0, s9, v31, s0
	v_cmp_nlt_f32_e64 s0, 0x42b17218, v34
	v_cndmask_b32_e64 v14, 0x7f800000, v10, s0
	v_add_co_u32 v32, s0, s10, v32
	s_delay_alu instid0(VALU_DEP_1)
	v_add_co_ci_u32_e64 v33, s0, s11, v33, s0
	global_store_b32 v[30:31], v12, off
	global_store_b32 v[28:29], v14, off
	;; [unrolled: 1-line block ×3, first 2 shown]
.LBB80_9:
	s_or_b32 exec_lo, exec_lo, s2
	v_ashrrev_i32_e32 v12, 31, v8
	s_mov_b32 s1, exec_lo
	s_delay_alu instid0(VALU_DEP_1) | instskip(NEXT) | instid1(VALU_DEP_1)
	v_lshrrev_b32_e32 v10, 29, v12
	v_add_nc_u32_e32 v10, v8, v10
	s_delay_alu instid0(VALU_DEP_1) | instskip(NEXT) | instid1(VALU_DEP_1)
	v_ashrrev_i32_e32 v10, 3, v10
	v_lshrrev_b32_e32 v28, 28, v10
	s_delay_alu instid0(VALU_DEP_1) | instskip(NEXT) | instid1(VALU_DEP_1)
	v_add_nc_u32_e32 v28, v10, v28
	v_and_b32_e32 v28, -16, v28
	s_delay_alu instid0(VALU_DEP_1) | instskip(NEXT) | instid1(VALU_DEP_1)
	v_sub_nc_u32_e32 v28, v10, v28
	v_cmpx_eq_u32_e64 v16, v28
	s_cbranch_execz .LBB80_11
; %bb.10:
	v_lshrrev_b32_e32 v12, 25, v12
	v_lshlrev_b32_e32 v10, 3, v10
	s_delay_alu instid0(VALU_DEP_2) | instskip(NEXT) | instid1(VALU_DEP_2)
	v_add_nc_u32_e32 v12, v8, v12
	v_sub_nc_u32_e32 v8, v8, v10
	s_delay_alu instid0(VALU_DEP_2) | instskip(NEXT) | instid1(VALU_DEP_1)
	v_ashrrev_i32_e32 v10, 7, v12
	v_lshl_add_u32 v8, v10, 3, v8
	s_delay_alu instid0(VALU_DEP_1) | instskip(NEXT) | instid1(VALU_DEP_1)
	v_cmp_ne_u32_e64 s0, 7, v8
	v_cndmask_b32_e64 v3, 0xff800000, v3, s0
	v_cmp_ne_u32_e64 s0, 6, v8
	s_delay_alu instid0(VALU_DEP_1) | instskip(SKIP_1) | instid1(VALU_DEP_1)
	v_cndmask_b32_e64 v2, 0xff800000, v2, s0
	v_cmp_ne_u32_e64 s0, 5, v8
	v_cndmask_b32_e64 v1, 0xff800000, v1, s0
	v_cmp_ne_u32_e64 s0, 4, v8
	s_delay_alu instid0(VALU_DEP_1) | instskip(SKIP_1) | instid1(VALU_DEP_1)
	v_cndmask_b32_e64 v0, 0xff800000, v0, s0
	;; [unrolled: 5-line block ×3, first 2 shown]
	v_cmp_ne_u32_e64 s0, 1, v8
	v_cndmask_b32_e64 v5, 0xff800000, v5, s0
	v_cmp_ne_u32_e64 s0, 0, v8
	s_delay_alu instid0(VALU_DEP_1)
	v_cndmask_b32_e64 v4, 0xff800000, v4, s0
.LBB80_11:
	s_or_b32 exec_lo, exec_lo, s1
	s_cmp_eq_u32 s4, 1
	s_cbranch_scc1 .LBB80_18
; %bb.12:
	s_add_i32 s18, s18, s16
	v_add_nc_u32_e32 v8, 1, v13
	v_add3_u32 v26, s18, v27, v26
	v_add_nc_u32_e32 v10, 1, v11
	v_add_nc_u32_e32 v12, 1, v9
	s_add_i32 s14, s4, -1
	s_branch .LBB80_14
.LBB80_13:                              ;   in Loop: Header=BB80_14 Depth=1
	s_or_b32 exec_lo, exec_lo, s1
	v_add_nc_u32_e32 v26, s16, v26
	v_add_nc_u32_e32 v8, 1, v8
	;; [unrolled: 1-line block ×4, first 2 shown]
	s_add_i32 s14, s14, -1
	s_delay_alu instid0(SALU_CYCLE_1)
	s_cmp_eq_u32 s14, 0
	s_cbranch_scc1 .LBB80_18
.LBB80_14:                              ; =>This Inner Loop Header: Depth=1
	v_cmp_gt_f32_e64 s0, v5, v4
	s_delay_alu instid0(VALU_DEP_1) | instskip(SKIP_1) | instid1(VALU_DEP_2)
	v_cndmask_b32_e64 v11, v4, v5, s0
	v_cndmask_b32_e64 v9, v18, v19, s0
	v_cmp_gt_f32_e64 s0, v6, v11
	s_delay_alu instid0(VALU_DEP_1) | instskip(NEXT) | instid1(VALU_DEP_3)
	v_cndmask_b32_e64 v11, v11, v6, s0
	v_cndmask_b32_e64 v9, v9, v20, s0
	s_delay_alu instid0(VALU_DEP_2) | instskip(NEXT) | instid1(VALU_DEP_1)
	v_cmp_gt_f32_e64 s0, v7, v11
	v_cndmask_b32_e64 v11, v11, v7, s0
	s_delay_alu instid0(VALU_DEP_3) | instskip(NEXT) | instid1(VALU_DEP_2)
	v_cndmask_b32_e64 v9, v9, v21, s0
	v_cmp_gt_f32_e64 s0, v0, v11
	s_delay_alu instid0(VALU_DEP_1) | instskip(NEXT) | instid1(VALU_DEP_3)
	v_cndmask_b32_e64 v11, v11, v0, s0
	v_cndmask_b32_e64 v9, v9, v22, s0
	s_delay_alu instid0(VALU_DEP_2) | instskip(NEXT) | instid1(VALU_DEP_1)
	v_cmp_gt_f32_e64 s0, v1, v11
	v_cndmask_b32_e64 v11, v11, v1, s0
	s_delay_alu instid0(VALU_DEP_3) | instskip(NEXT) | instid1(VALU_DEP_2)
	v_cndmask_b32_e64 v9, v9, v23, s0
	v_cmp_gt_f32_e64 s0, v2, v11
	s_delay_alu instid0(VALU_DEP_1) | instskip(NEXT) | instid1(VALU_DEP_3)
	v_cndmask_b32_e64 v11, v11, v2, s0
	v_cndmask_b32_e64 v9, v9, v24, s0
	s_delay_alu instid0(VALU_DEP_2) | instskip(NEXT) | instid1(VALU_DEP_1)
	v_cmp_gt_f32_e64 s0, v3, v11
	v_cndmask_b32_e64 v9, v9, v25, s0
	v_cndmask_b32_e64 v11, v11, v3, s0
	s_delay_alu instid0(VALU_DEP_2) | instskip(NEXT) | instid1(VALU_DEP_2)
	v_mov_b32_dpp v13, v9 quad_perm:[1,0,3,2] row_mask:0xf bank_mask:0xf
	v_mov_b32_dpp v27, v11 quad_perm:[1,0,3,2] row_mask:0xf bank_mask:0xf
	s_delay_alu instid0(VALU_DEP_2) | instskip(NEXT) | instid1(VALU_DEP_2)
	v_cmp_lt_i32_e64 s0, v13, v9
	v_cmp_eq_f32_e64 s1, v11, v27
	v_cmp_lt_f32_e64 s2, v11, v27
	s_delay_alu instid0(VALU_DEP_2)
	s_and_b32 s0, s1, s0
	s_delay_alu instid0(VALU_DEP_1) | instid1(SALU_CYCLE_1)
	s_or_b32 s0, s2, s0
	s_delay_alu instid0(SALU_CYCLE_1) | instskip(SKIP_1) | instid1(VALU_DEP_2)
	v_cndmask_b32_e64 v11, v11, v27, s0
	v_cndmask_b32_e64 v9, v9, v13, s0
	v_mov_b32_dpp v13, v11 quad_perm:[2,3,0,1] row_mask:0xf bank_mask:0xf
	s_delay_alu instid0(VALU_DEP_2) | instskip(NEXT) | instid1(VALU_DEP_2)
	v_mov_b32_dpp v27, v9 quad_perm:[2,3,0,1] row_mask:0xf bank_mask:0xf
	v_cmp_eq_f32_e64 s0, v11, v13
	s_delay_alu instid0(VALU_DEP_2) | instskip(SKIP_1) | instid1(VALU_DEP_2)
	v_cmp_lt_i32_e64 s1, v27, v9
	v_cmp_lt_f32_e64 s2, v11, v13
	s_and_b32 s0, s0, s1
	s_delay_alu instid0(VALU_DEP_1) | instid1(SALU_CYCLE_1)
	s_or_b32 s0, s2, s0
	s_delay_alu instid0(SALU_CYCLE_1) | instskip(SKIP_1) | instid1(VALU_DEP_2)
	v_cndmask_b32_e64 v11, v11, v13, s0
	v_cndmask_b32_e64 v13, v9, v27, s0
	v_mov_b32_dpp v9, v11 row_half_mirror row_mask:0xf bank_mask:0xf
	s_delay_alu instid0(VALU_DEP_2) | instskip(NEXT) | instid1(VALU_DEP_2)
	v_mov_b32_dpp v27, v13 row_half_mirror row_mask:0xf bank_mask:0xf
	v_cmp_eq_f32_e64 s0, v11, v9
	s_delay_alu instid0(VALU_DEP_2) | instskip(SKIP_1) | instid1(VALU_DEP_2)
	v_cmp_lt_i32_e64 s1, v27, v13
	v_cmp_lt_f32_e64 s2, v11, v9
	s_and_b32 s0, s0, s1
	s_delay_alu instid0(VALU_DEP_1) | instid1(SALU_CYCLE_1)
	s_or_b32 s0, s2, s0
	s_delay_alu instid0(SALU_CYCLE_1) | instskip(SKIP_1) | instid1(VALU_DEP_2)
	v_cndmask_b32_e64 v9, v11, v9, s0
	v_cndmask_b32_e64 v13, v13, v27, s0
	v_mov_b32_dpp v11, v9 row_mirror row_mask:0xf bank_mask:0xf
	s_delay_alu instid0(VALU_DEP_2) | instskip(NEXT) | instid1(VALU_DEP_2)
	v_mov_b32_dpp v27, v13 row_mirror row_mask:0xf bank_mask:0xf
	v_cmp_eq_f32_e64 s0, v9, v11
	s_delay_alu instid0(VALU_DEP_2) | instskip(SKIP_1) | instid1(VALU_DEP_2)
	v_cmp_lt_i32_e64 s1, v27, v13
	v_cmp_lt_f32_e64 s2, v9, v11
	s_and_b32 s0, s0, s1
	s_delay_alu instid0(VALU_DEP_1) | instid1(SALU_CYCLE_1)
	s_or_b32 s0, s2, s0
	s_delay_alu instid0(SALU_CYCLE_1)
	v_cndmask_b32_e64 v27, v13, v27, s0
	s_and_saveexec_b32 s2, vcc_lo
	s_cbranch_execz .LBB80_16
; %bb.15:                               ;   in Loop: Header=BB80_14 Depth=1
	v_cndmask_b32_e64 v9, v9, v11, s0
	s_delay_alu instid0(VALU_DEP_2) | instskip(SKIP_4) | instid1(VALU_DEP_4)
	v_cmp_le_i32_e64 s0, s5, v27
	v_cmp_gt_i32_e64 s1, s6, v27
	v_ashrrev_i32_e32 v13, 31, v12
	v_subrev_nc_u32_e32 v35, s5, v27
	v_sub_f32_e32 v34, v9, v17
	s_and_b32 s0, s0, s1
	s_delay_alu instid0(SALU_CYCLE_1) | instskip(NEXT) | instid1(VALU_DEP_1)
	s_and_b32 s0, s17, s0
	v_mul_f32_e32 v9, 0x3fb8aa3b, v34
	s_delay_alu instid0(VALU_DEP_1) | instskip(SKIP_1) | instid1(VALU_DEP_2)
	v_fma_f32 v11, 0x3fb8aa3b, v34, -v9
	v_rndne_f32_e32 v28, v9
	v_fmac_f32_e32 v11, 0x32a5705f, v34
	s_delay_alu instid0(VALU_DEP_2) | instskip(SKIP_2) | instid1(VALU_DEP_3)
	v_sub_f32_e32 v9, v9, v28
	v_cvt_i32_f32_e32 v33, v28
	v_lshlrev_b64 v[28:29], 2, v[12:13]
	v_add_f32_e32 v9, v9, v11
	v_ashrrev_i32_e32 v11, 31, v10
	s_delay_alu instid0(VALU_DEP_2) | instskip(SKIP_1) | instid1(VALU_DEP_2)
	v_exp_f32_e32 v32, v9
	v_ashrrev_i32_e32 v9, 31, v8
	v_lshlrev_b64 v[30:31], 2, v[10:11]
	s_waitcnt_depctr 0xfff
	v_ldexp_f32 v11, v32, v33
	v_lshlrev_b64 v[32:33], 2, v[8:9]
	v_cndmask_b32_e64 v9, 0x80, v35, s0
	v_cmp_ngt_f32_e64 s0, 0xc2ce8ed0, v34
	s_delay_alu instid0(VALU_DEP_1) | instskip(SKIP_1) | instid1(VALU_DEP_1)
	v_cndmask_b32_e64 v11, 0, v11, s0
	v_add_co_u32 v28, s0, s12, v28
	v_add_co_ci_u32_e64 v29, s0, s13, v29, s0
	v_cmp_nlt_f32_e64 s0, 0x42b17218, v34
	s_delay_alu instid0(VALU_DEP_1) | instskip(SKIP_2) | instid1(VALU_DEP_1)
	v_cndmask_b32_e64 v11, 0x7f800000, v11, s0
	s_waitcnt lgkmcnt(0)
	v_add_co_u32 v30, s0, s8, v30
	v_add_co_ci_u32_e64 v31, s0, s9, v31, s0
	s_delay_alu instid0(VALU_DEP_3) | instskip(SKIP_1) | instid1(VALU_DEP_1)
	v_add_f32_e32 v14, v14, v11
	v_add_co_u32 v32, s0, s10, v32
	v_add_co_ci_u32_e64 v33, s0, s11, v33, s0
	global_store_b32 v[28:29], v11, off
	global_store_b32 v[30:31], v9, off
	;; [unrolled: 1-line block ×3, first 2 shown]
.LBB80_16:                              ;   in Loop: Header=BB80_14 Depth=1
	s_or_b32 exec_lo, exec_lo, s2
	s_delay_alu instid0(VALU_DEP_1) | instskip(SKIP_1) | instid1(VALU_DEP_1)
	v_ashrrev_i32_e32 v11, 31, v27
	s_mov_b32 s1, exec_lo
	v_lshrrev_b32_e32 v9, 29, v11
	s_delay_alu instid0(VALU_DEP_1) | instskip(NEXT) | instid1(VALU_DEP_1)
	v_add_nc_u32_e32 v9, v27, v9
	v_ashrrev_i32_e32 v9, 3, v9
	s_delay_alu instid0(VALU_DEP_1) | instskip(NEXT) | instid1(VALU_DEP_1)
	v_lshrrev_b32_e32 v13, 28, v9
	v_add_nc_u32_e32 v13, v9, v13
	s_delay_alu instid0(VALU_DEP_1) | instskip(NEXT) | instid1(VALU_DEP_1)
	v_and_b32_e32 v13, -16, v13
	v_sub_nc_u32_e32 v13, v9, v13
	s_delay_alu instid0(VALU_DEP_1)
	v_cmpx_eq_u32_e64 v16, v13
	s_cbranch_execz .LBB80_13
; %bb.17:                               ;   in Loop: Header=BB80_14 Depth=1
	v_lshrrev_b32_e32 v11, 25, v11
	v_lshlrev_b32_e32 v9, 3, v9
	s_delay_alu instid0(VALU_DEP_2) | instskip(NEXT) | instid1(VALU_DEP_2)
	v_add_nc_u32_e32 v11, v27, v11
	v_sub_nc_u32_e32 v9, v27, v9
	s_delay_alu instid0(VALU_DEP_2) | instskip(NEXT) | instid1(VALU_DEP_1)
	v_ashrrev_i32_e32 v11, 7, v11
	v_lshl_add_u32 v9, v11, 3, v9
	s_delay_alu instid0(VALU_DEP_1) | instskip(NEXT) | instid1(VALU_DEP_1)
	v_cmp_ne_u32_e64 s0, 7, v9
	v_cndmask_b32_e64 v3, 0xff800000, v3, s0
	v_cmp_ne_u32_e64 s0, 6, v9
	s_delay_alu instid0(VALU_DEP_1) | instskip(SKIP_1) | instid1(VALU_DEP_1)
	v_cndmask_b32_e64 v2, 0xff800000, v2, s0
	v_cmp_ne_u32_e64 s0, 5, v9
	v_cndmask_b32_e64 v1, 0xff800000, v1, s0
	v_cmp_ne_u32_e64 s0, 4, v9
	s_delay_alu instid0(VALU_DEP_1) | instskip(SKIP_1) | instid1(VALU_DEP_1)
	v_cndmask_b32_e64 v0, 0xff800000, v0, s0
	v_cmp_ne_u32_e64 s0, 3, v9
	v_cndmask_b32_e64 v7, 0xff800000, v7, s0
	v_cmp_ne_u32_e64 s0, 2, v9
	s_delay_alu instid0(VALU_DEP_1) | instskip(SKIP_1) | instid1(VALU_DEP_1)
	v_cndmask_b32_e64 v6, 0xff800000, v6, s0
	v_cmp_ne_u32_e64 s0, 1, v9
	v_cndmask_b32_e64 v5, 0xff800000, v5, s0
	v_cmp_ne_u32_e64 s0, 0, v9
	s_delay_alu instid0(VALU_DEP_1)
	v_cndmask_b32_e64 v4, 0xff800000, v4, s0
	s_branch .LBB80_13
.LBB80_18:
	s_delay_alu instid0(VALU_DEP_1)
	v_sub_f32_e32 v7, v7, v17
	v_sub_f32_e32 v4, v4, v17
	;; [unrolled: 1-line block ×5, first 2 shown]
	v_mul_f32_e32 v11, 0x3fb8aa3b, v7
	v_dual_sub_f32 v5, v5, v17 :: v_dual_mul_f32 v8, 0x3fb8aa3b, v4
	v_cmp_ngt_f32_e32 vcc_lo, 0xc2ce8ed0, v4
	v_sub_f32_e32 v3, v3, v17
	s_delay_alu instid0(VALU_DEP_4) | instskip(NEXT) | instid1(VALU_DEP_4)
	v_rndne_f32_e32 v23, v11
	v_fma_f32 v12, 0x3fb8aa3b, v4, -v8
	v_rndne_f32_e32 v13, v8
	s_delay_alu instid0(VALU_DEP_2) | instskip(NEXT) | instid1(VALU_DEP_2)
	v_fmac_f32_e32 v12, 0x32a5705f, v4
	v_sub_f32_e32 v8, v8, v13
	s_delay_alu instid0(VALU_DEP_1) | instskip(NEXT) | instid1(VALU_DEP_1)
	v_dual_mul_f32 v9, 0x3fb8aa3b, v5 :: v_dual_add_f32 v8, v8, v12
	v_rndne_f32_e32 v19, v9
	v_sub_f32_e32 v6, v6, v17
	v_fma_f32 v18, 0x3fb8aa3b, v5, -v9
	v_cvt_i32_f32_e32 v12, v13
	v_exp_f32_e32 v8, v8
	s_delay_alu instid0(VALU_DEP_3) | instskip(SKIP_3) | instid1(VALU_DEP_4)
	v_dual_sub_f32 v9, v9, v19 :: v_dual_mul_f32 v10, 0x3fb8aa3b, v6
	v_fma_f32 v22, 0x3fb8aa3b, v7, -v11
	v_sub_f32_e32 v11, v11, v23
	v_cvt_i32_f32_e32 v13, v19
	v_fma_f32 v20, 0x3fb8aa3b, v6, -v10
	s_delay_alu instid0(VALU_DEP_4) | instskip(SKIP_1) | instid1(TRANS32_DEP_1)
	v_fmac_f32_e32 v22, 0x32a5705f, v7
	v_fmac_f32_e32 v18, 0x32a5705f, v5
	v_ldexp_f32 v8, v8, v12
	v_rndne_f32_e32 v21, v10
	s_delay_alu instid0(VALU_DEP_4) | instskip(NEXT) | instid1(VALU_DEP_3)
	v_add_f32_e32 v11, v11, v22
	v_dual_add_f32 v9, v9, v18 :: v_dual_cndmask_b32 v8, 0, v8
	v_cmp_ngt_f32_e32 vcc_lo, 0xc2ce8ed0, v5
	s_delay_alu instid0(VALU_DEP_4) | instskip(SKIP_1) | instid1(VALU_DEP_4)
	v_sub_f32_e32 v10, v10, v21
	v_cvt_i32_f32_e32 v12, v21
	v_exp_f32_e32 v9, v9
	v_exp_f32_e32 v11, v11
	s_waitcnt_depctr 0xfff
	v_ldexp_f32 v9, v9, v13
	v_fmac_f32_e32 v20, 0x32a5705f, v6
	v_mul_f32_e32 v13, 0x3fb8aa3b, v3
	s_delay_alu instid0(VALU_DEP_3) | instskip(SKIP_1) | instid1(VALU_DEP_3)
	v_cndmask_b32_e32 v9, 0, v9, vcc_lo
	v_cmp_nlt_f32_e32 vcc_lo, 0x42b17218, v4
	v_rndne_f32_e32 v17, v13
	v_cndmask_b32_e32 v4, 0x7f800000, v8, vcc_lo
	v_cmp_nlt_f32_e32 vcc_lo, 0x42b17218, v5
	v_dual_add_f32 v10, v10, v20 :: v_dual_cndmask_b32 v5, 0x7f800000, v9
	s_delay_alu instid0(VALU_DEP_1) | instskip(SKIP_2) | instid1(VALU_DEP_3)
	v_exp_f32_e32 v10, v10
	v_cmp_ngt_f32_e32 vcc_lo, 0xc2ce8ed0, v6
	v_cvt_i32_f32_e32 v9, v23
	v_add_f32_e32 v4, v4, v5
	s_waitcnt_depctr 0xfff
	v_ldexp_f32 v10, v10, v12
	s_delay_alu instid0(VALU_DEP_1) | instskip(SKIP_2) | instid1(VALU_DEP_3)
	v_cndmask_b32_e32 v8, 0, v10, vcc_lo
	v_cmp_nlt_f32_e32 vcc_lo, 0x42b17218, v6
	v_mul_f32_e32 v10, 0x3fb8aa3b, v2
	v_cndmask_b32_e32 v5, 0x7f800000, v8, vcc_lo
	v_ldexp_f32 v8, v11, v9
	v_cmp_ngt_f32_e32 vcc_lo, 0xc2ce8ed0, v7
	s_delay_alu instid0(VALU_DEP_4)
	v_fma_f32 v11, 0x3fb8aa3b, v2, -v10
	v_rndne_f32_e32 v12, v10
	v_add_f32_e32 v4, v4, v5
	v_cndmask_b32_e32 v8, 0, v8, vcc_lo
	v_cmp_nlt_f32_e32 vcc_lo, 0x42b17218, v7
	v_fmac_f32_e32 v11, 0x32a5705f, v2
	s_delay_alu instid0(VALU_DEP_3) | instskip(SKIP_3) | instid1(VALU_DEP_4)
	v_cndmask_b32_e32 v7, 0x7f800000, v8, vcc_lo
	v_mul_f32_e32 v6, 0x3fb8aa3b, v0
	v_mul_f32_e32 v8, 0x3fb8aa3b, v1
	v_cmp_ngt_f32_e32 vcc_lo, 0xc2ce8ed0, v0
	v_add_f32_e32 v4, v4, v7
	s_delay_alu instid0(VALU_DEP_4) | instskip(SKIP_2) | instid1(VALU_DEP_2)
	v_fma_f32 v5, 0x3fb8aa3b, v0, -v6
	v_rndne_f32_e32 v9, v6
	v_rndne_f32_e32 v7, v8
	v_dual_fmac_f32 v5, 0x32a5705f, v0 :: v_dual_sub_f32 v6, v6, v9
	v_cvt_i32_f32_e32 v9, v9
	s_delay_alu instid0(VALU_DEP_2) | instskip(SKIP_3) | instid1(VALU_DEP_4)
	v_add_f32_e32 v5, v6, v5
	v_fma_f32 v6, 0x3fb8aa3b, v1, -v8
	v_sub_f32_e32 v8, v8, v7
	v_cvt_i32_f32_e32 v7, v7
	v_exp_f32_e32 v5, v5
	s_delay_alu instid0(VALU_DEP_3) | instskip(NEXT) | instid1(VALU_DEP_1)
	v_fmac_f32_e32 v6, 0x32a5705f, v1
	v_add_f32_e32 v6, v8, v6
	v_sub_f32_e32 v8, v10, v12
	v_fma_f32 v10, 0x3fb8aa3b, v3, -v13
	s_waitcnt_depctr 0xfff
	v_ldexp_f32 v5, v5, v9
	v_exp_f32_e32 v6, v6
	v_add_f32_e32 v8, v8, v11
	v_dual_fmac_f32 v10, 0x32a5705f, v3 :: v_dual_sub_f32 v9, v13, v17
	s_delay_alu instid0(VALU_DEP_3) | instskip(SKIP_1) | instid1(VALU_DEP_4)
	v_cndmask_b32_e32 v5, 0, v5, vcc_lo
	v_cmp_nlt_f32_e32 vcc_lo, 0x42b17218, v0
	v_exp_f32_e32 v8, v8
	s_delay_alu instid0(VALU_DEP_3) | instskip(NEXT) | instid1(TRANS32_DEP_2)
	v_add_f32_e32 v9, v9, v10
	v_ldexp_f32 v6, v6, v7
	v_cndmask_b32_e32 v0, 0x7f800000, v5, vcc_lo
	v_cmp_ngt_f32_e32 vcc_lo, 0xc2ce8ed0, v1
	v_cvt_i32_f32_e32 v5, v12
	v_exp_f32_e32 v7, v9
	s_delay_alu instid0(VALU_DEP_3) | instskip(SKIP_4) | instid1(VALU_DEP_4)
	v_add_f32_e32 v0, v4, v0
	v_cndmask_b32_e32 v6, 0, v6, vcc_lo
	v_cmp_nlt_f32_e32 vcc_lo, 0x42b17218, v1
	v_ldexp_f32 v4, v8, v5
	v_cvt_i32_f32_e32 v5, v17
	v_cndmask_b32_e32 v1, 0x7f800000, v6, vcc_lo
	v_cmp_ngt_f32_e32 vcc_lo, 0xc2ce8ed0, v2
	s_delay_alu instid0(TRANS32_DEP_1) | instid1(VALU_DEP_3)
	v_ldexp_f32 v5, v7, v5
	s_delay_alu instid0(VALU_DEP_3) | instskip(SKIP_2) | instid1(VALU_DEP_2)
	v_add_f32_e32 v0, v0, v1
	v_cndmask_b32_e32 v4, 0, v4, vcc_lo
	v_cmp_nlt_f32_e32 vcc_lo, 0x42b17218, v2
	v_cndmask_b32_e32 v1, 0x7f800000, v4, vcc_lo
	v_cmp_ngt_f32_e32 vcc_lo, 0xc2ce8ed0, v3
	s_delay_alu instid0(VALU_DEP_2) | instskip(SKIP_2) | instid1(VALU_DEP_2)
	v_add_f32_e32 v0, v0, v1
	v_cndmask_b32_e32 v2, 0, v5, vcc_lo
	v_cmp_nlt_f32_e32 vcc_lo, 0x42b17218, v3
	v_cndmask_b32_e32 v1, 0x7f800000, v2, vcc_lo
	v_cmp_eq_u32_e32 vcc_lo, 0, v16
	s_delay_alu instid0(VALU_DEP_2) | instskip(NEXT) | instid1(VALU_DEP_1)
	v_add_f32_e32 v0, v0, v1
	v_mov_b32_dpp v1, v0 quad_perm:[1,0,3,2] row_mask:0xf bank_mask:0xf
	s_delay_alu instid0(VALU_DEP_1) | instskip(NEXT) | instid1(VALU_DEP_1)
	v_add_f32_e32 v0, v0, v1
	v_mov_b32_dpp v1, v0 quad_perm:[2,3,0,1] row_mask:0xf bank_mask:0xf
	s_delay_alu instid0(VALU_DEP_1) | instskip(NEXT) | instid1(VALU_DEP_1)
	v_add_f32_e32 v0, v0, v1
	v_mov_b32_dpp v1, v0 row_half_mirror row_mask:0xf bank_mask:0xf
	s_delay_alu instid0(VALU_DEP_1) | instskip(NEXT) | instid1(VALU_DEP_1)
	v_add_f32_e32 v0, v0, v1
	v_mov_b32_dpp v1, v0 row_mirror row_mask:0xf bank_mask:0xf
	s_and_b32 exec_lo, exec_lo, vcc_lo
	s_cbranch_execz .LBB80_23
; %bb.19:
	s_delay_alu instid0(VALU_DEP_1) | instskip(NEXT) | instid1(VALU_DEP_1)
	v_add_f32_e32 v0, v0, v1
	v_add_f32_e32 v0, v14, v0
	s_delay_alu instid0(VALU_DEP_1)
	v_cmp_neq_f32_e32 vcc_lo, 0, v0
	s_and_b32 exec_lo, exec_lo, vcc_lo
	s_cbranch_execz .LBB80_23
; %bb.20:
	s_and_not1_b32 vcc_lo, exec_lo, s3
	s_cbranch_vccnz .LBB80_23
; %bb.21:
	v_div_scale_f32 v2, null, v0, v0, 1.0
	v_div_scale_f32 v4, vcc_lo, 1.0, v0, 1.0
	s_delay_alu instid0(VALU_DEP_2) | instskip(SKIP_2) | instid1(VALU_DEP_1)
	v_rcp_f32_e32 v3, v2
	s_waitcnt_depctr 0xfff
	v_fma_f32 v1, -v2, v3, 1.0
	v_fmac_f32_e32 v3, v1, v3
	v_mul_lo_u32 v1, v15, s7
	s_delay_alu instid0(VALU_DEP_2) | instskip(NEXT) | instid1(VALU_DEP_1)
	v_mul_f32_e32 v5, v4, v3
	v_fma_f32 v6, -v2, v5, v4
	s_delay_alu instid0(VALU_DEP_1) | instskip(NEXT) | instid1(VALU_DEP_1)
	v_fmac_f32_e32 v5, v6, v3
	v_fma_f32 v4, -v2, v5, v4
	v_ashrrev_i32_e32 v2, 31, v1
	s_delay_alu instid0(VALU_DEP_2) | instskip(NEXT) | instid1(VALU_DEP_2)
	v_div_fmas_f32 v5, v4, v3, v5
	v_lshlrev_b64 v[3:4], 2, v[1:2]
	s_delay_alu instid0(VALU_DEP_2) | instskip(NEXT) | instid1(VALU_DEP_2)
	v_div_fixup_f32 v2, v5, v0, 1.0
	v_add_co_u32 v0, vcc_lo, s12, v3
	s_delay_alu instid0(VALU_DEP_3)
	v_add_co_ci_u32_e32 v1, vcc_lo, s13, v4, vcc_lo
.LBB80_22:                              ; =>This Inner Loop Header: Depth=1
	global_load_b32 v3, v[0:1], off
	s_add_i32 s4, s4, -1
	s_delay_alu instid0(SALU_CYCLE_1)
	s_cmp_lg_u32 s4, 0
	s_waitcnt vmcnt(0)
	v_mul_f32_e32 v3, v2, v3
	global_store_b32 v[0:1], v3, off
	v_add_co_u32 v0, vcc_lo, v0, 4
	v_add_co_ci_u32_e32 v1, vcc_lo, 0, v1, vcc_lo
	s_cbranch_scc1 .LBB80_22
.LBB80_23:
	s_nop 0
	s_sendmsg sendmsg(MSG_DEALLOC_VGPRS)
	s_endpgm
	.section	.rodata,"a",@progbits
	.p2align	6, 0x0
	.amdhsa_kernel _ZN4vllm3moe17topkGatingSoftmaxIfLi8ELi128ELi8ELi32ELb0ELi8ELNS0_23SharedExpertScoringFuncE1EEEvPKT_PKbPfiPiS9_iiiiii
		.amdhsa_group_segment_fixed_size 0
		.amdhsa_private_segment_fixed_size 0
		.amdhsa_kernarg_size 72
		.amdhsa_user_sgpr_count 15
		.amdhsa_user_sgpr_dispatch_ptr 0
		.amdhsa_user_sgpr_queue_ptr 0
		.amdhsa_user_sgpr_kernarg_segment_ptr 1
		.amdhsa_user_sgpr_dispatch_id 0
		.amdhsa_user_sgpr_private_segment_size 0
		.amdhsa_wavefront_size32 1
		.amdhsa_uses_dynamic_stack 0
		.amdhsa_enable_private_segment 0
		.amdhsa_system_sgpr_workgroup_id_x 1
		.amdhsa_system_sgpr_workgroup_id_y 0
		.amdhsa_system_sgpr_workgroup_id_z 0
		.amdhsa_system_sgpr_workgroup_info 0
		.amdhsa_system_vgpr_workitem_id 1
		.amdhsa_next_free_vgpr 37
		.amdhsa_next_free_sgpr 19
		.amdhsa_reserve_vcc 1
		.amdhsa_float_round_mode_32 0
		.amdhsa_float_round_mode_16_64 0
		.amdhsa_float_denorm_mode_32 3
		.amdhsa_float_denorm_mode_16_64 3
		.amdhsa_dx10_clamp 1
		.amdhsa_ieee_mode 1
		.amdhsa_fp16_overflow 0
		.amdhsa_workgroup_processor_mode 1
		.amdhsa_memory_ordered 1
		.amdhsa_forward_progress 0
		.amdhsa_shared_vgpr_count 0
		.amdhsa_exception_fp_ieee_invalid_op 0
		.amdhsa_exception_fp_denorm_src 0
		.amdhsa_exception_fp_ieee_div_zero 0
		.amdhsa_exception_fp_ieee_overflow 0
		.amdhsa_exception_fp_ieee_underflow 0
		.amdhsa_exception_fp_ieee_inexact 0
		.amdhsa_exception_int_div_zero 0
	.end_amdhsa_kernel
	.section	.text._ZN4vllm3moe17topkGatingSoftmaxIfLi8ELi128ELi8ELi32ELb0ELi8ELNS0_23SharedExpertScoringFuncE1EEEvPKT_PKbPfiPiS9_iiiiii,"axG",@progbits,_ZN4vllm3moe17topkGatingSoftmaxIfLi8ELi128ELi8ELi32ELb0ELi8ELNS0_23SharedExpertScoringFuncE1EEEvPKT_PKbPfiPiS9_iiiiii,comdat
.Lfunc_end80:
	.size	_ZN4vllm3moe17topkGatingSoftmaxIfLi8ELi128ELi8ELi32ELb0ELi8ELNS0_23SharedExpertScoringFuncE1EEEvPKT_PKbPfiPiS9_iiiiii, .Lfunc_end80-_ZN4vllm3moe17topkGatingSoftmaxIfLi8ELi128ELi8ELi32ELb0ELi8ELNS0_23SharedExpertScoringFuncE1EEEvPKT_PKbPfiPiS9_iiiiii
                                        ; -- End function
	.section	.AMDGPU.csdata,"",@progbits
; Kernel info:
; codeLenInByte = 3988
; NumSgprs: 21
; NumVgprs: 37
; ScratchSize: 0
; MemoryBound: 0
; FloatMode: 240
; IeeeMode: 1
; LDSByteSize: 0 bytes/workgroup (compile time only)
; SGPRBlocks: 2
; VGPRBlocks: 4
; NumSGPRsForWavesPerEU: 21
; NumVGPRsForWavesPerEU: 37
; Occupancy: 16
; WaveLimiterHint : 0
; COMPUTE_PGM_RSRC2:SCRATCH_EN: 0
; COMPUTE_PGM_RSRC2:USER_SGPR: 15
; COMPUTE_PGM_RSRC2:TRAP_HANDLER: 0
; COMPUTE_PGM_RSRC2:TGID_X_EN: 1
; COMPUTE_PGM_RSRC2:TGID_Y_EN: 0
; COMPUTE_PGM_RSRC2:TGID_Z_EN: 0
; COMPUTE_PGM_RSRC2:TIDIG_COMP_CNT: 1
	.section	.text._ZN4vllm3moe17topkGatingSoftmaxIfLi8ELi256ELi8ELi32ELb1ELi0ELNS0_23SharedExpertScoringFuncE0EEEvPKT_PKbPfiPiS9_iiiiii,"axG",@progbits,_ZN4vllm3moe17topkGatingSoftmaxIfLi8ELi256ELi8ELi32ELb1ELi0ELNS0_23SharedExpertScoringFuncE0EEEvPKT_PKbPfiPiS9_iiiiii,comdat
	.protected	_ZN4vllm3moe17topkGatingSoftmaxIfLi8ELi256ELi8ELi32ELb1ELi0ELNS0_23SharedExpertScoringFuncE0EEEvPKT_PKbPfiPiS9_iiiiii ; -- Begin function _ZN4vllm3moe17topkGatingSoftmaxIfLi8ELi256ELi8ELi32ELb1ELi0ELNS0_23SharedExpertScoringFuncE0EEEvPKT_PKbPfiPiS9_iiiiii
	.globl	_ZN4vllm3moe17topkGatingSoftmaxIfLi8ELi256ELi8ELi32ELb1ELi0ELNS0_23SharedExpertScoringFuncE0EEEvPKT_PKbPfiPiS9_iiiiii
	.p2align	8
	.type	_ZN4vllm3moe17topkGatingSoftmaxIfLi8ELi256ELi8ELi32ELb1ELi0ELNS0_23SharedExpertScoringFuncE0EEEvPKT_PKbPfiPiS9_iiiiii,@function
_ZN4vllm3moe17topkGatingSoftmaxIfLi8ELi256ELi8ELi32ELb1ELi0ELNS0_23SharedExpertScoringFuncE0EEEvPKT_PKbPfiPiS9_iiiiii: ; @_ZN4vllm3moe17topkGatingSoftmaxIfLi8ELi256ELi8ELi32ELb1ELi0ELNS0_23SharedExpertScoringFuncE0EEEvPKT_PKbPfiPiS9_iiiiii
; %bb.0:
	s_load_b32 s16, s[0:1], 0x18
	v_and_b32_e32 v1, 0x3ff, v0
	v_bfe_u32 v8, v0, 10, 10
	s_lshl_b32 s18, s15, 3
	s_mov_b32 s2, exec_lo
	s_delay_alu instid0(VALU_DEP_2) | instskip(NEXT) | instid1(VALU_DEP_1)
	v_lshrrev_b32_e32 v26, 5, v1
	v_add3_u32 v15, s18, v8, v26
	s_waitcnt lgkmcnt(0)
	s_delay_alu instid0(VALU_DEP_1)
	v_cmpx_gt_i32_e64 s16, v15
	s_cbranch_execz .LBB81_20
; %bb.1:
	s_clause 0x1
	s_load_b128 s[4:7], s[0:1], 0x0
	s_load_b64 s[12:13], s[0:1], 0x10
	s_waitcnt lgkmcnt(0)
	s_cmp_eq_u64 s[6:7], 0
	s_cbranch_scc1 .LBB81_3
; %bb.2:
	v_ashrrev_i32_e32 v0, 31, v15
	v_add_co_u32 v2, vcc_lo, s6, v15
	s_delay_alu instid0(VALU_DEP_2) | instskip(SKIP_3) | instid1(VALU_DEP_1)
	v_add_co_ci_u32_e32 v3, vcc_lo, s7, v0, vcc_lo
	global_load_u8 v0, v[2:3], off
	s_waitcnt vmcnt(0)
	v_and_b32_e32 v0, 1, v0
	v_cmp_eq_u32_e32 vcc_lo, 1, v0
	s_xor_b32 s2, vcc_lo, -1
	s_delay_alu instid0(SALU_CYCLE_1)
	s_or_not1_b32 s17, s2, exec_lo
	s_branch .LBB81_4
.LBB81_3:
	s_mov_b32 s17, -1
.LBB81_4:
	s_clause 0x1
	s_load_b64 s[14:15], s[0:1], 0x40
	s_load_b128 s[8:11], s[0:1], 0x30
	v_and_b32_e32 v16, 31, v1
	s_delay_alu instid0(VALU_DEP_1) | instskip(NEXT) | instid1(VALU_DEP_1)
	v_dual_mov_b32 v14, 0 :: v_dual_lshlrev_b32 v17, 3, v16
	v_or_b32_e32 v19, 2, v17
	s_waitcnt lgkmcnt(0)
	v_mul_lo_u32 v2, v15, s15
	s_delay_alu instid0(VALU_DEP_1) | instskip(NEXT) | instid1(VALU_DEP_1)
	v_ashrrev_i32_e32 v3, 31, v2
	v_lshlrev_b64 v[0:1], 2, v[2:3]
	v_lshlrev_b32_e32 v2, 5, v16
	s_delay_alu instid0(VALU_DEP_2) | instskip(NEXT) | instid1(VALU_DEP_3)
	v_add_co_u32 v0, vcc_lo, s4, v0
	v_add_co_ci_u32_e32 v1, vcc_lo, s5, v1, vcc_lo
	s_delay_alu instid0(VALU_DEP_2) | instskip(NEXT) | instid1(VALU_DEP_2)
	v_add_co_u32 v4, vcc_lo, v0, v2
	v_add_co_ci_u32_e32 v5, vcc_lo, 0, v1, vcc_lo
	s_clause 0x1
	global_load_b128 v[0:3], v[4:5], off
	global_load_b128 v[4:7], v[4:5], off offset:16
	s_waitcnt vmcnt(1)
	v_cmp_lt_f32_e32 vcc_lo, v0, v1
	v_cndmask_b32_e32 v10, v0, v1, vcc_lo
	v_or_b32_e32 v18, 1, v17
	v_or_b32_e32 v20, 3, v17
	;; [unrolled: 1-line block ×5, first 2 shown]
	v_cndmask_b32_e32 v9, v17, v18, vcc_lo
	v_cmp_lt_f32_e32 vcc_lo, v10, v2
	v_or_b32_e32 v24, 7, v17
	s_delay_alu instid0(VALU_DEP_3) | instskip(NEXT) | instid1(VALU_DEP_1)
	v_dual_cndmask_b32 v9, v9, v19 :: v_dual_cndmask_b32 v10, v10, v2
	v_cmp_lt_f32_e32 vcc_lo, v10, v3
	s_delay_alu instid0(VALU_DEP_2) | instskip(SKIP_1) | instid1(VALU_DEP_1)
	v_dual_cndmask_b32 v9, v9, v20 :: v_dual_cndmask_b32 v10, v10, v3
	s_waitcnt vmcnt(0)
	v_cmp_lt_f32_e32 vcc_lo, v10, v4
	s_delay_alu instid0(VALU_DEP_2) | instskip(NEXT) | instid1(VALU_DEP_1)
	v_dual_cndmask_b32 v9, v9, v21 :: v_dual_cndmask_b32 v10, v10, v4
	v_cmp_lt_f32_e32 vcc_lo, v10, v5
	s_delay_alu instid0(VALU_DEP_2) | instskip(NEXT) | instid1(VALU_DEP_1)
	v_dual_cndmask_b32 v9, v9, v22 :: v_dual_cndmask_b32 v10, v10, v5
	;; [unrolled: 3-line block ×4, first 2 shown]
	v_mov_b32_dpp v11, v9 quad_perm:[1,0,3,2] row_mask:0xf bank_mask:0xf
	s_delay_alu instid0(VALU_DEP_2) | instskip(NEXT) | instid1(VALU_DEP_2)
	v_mov_b32_dpp v12, v10 quad_perm:[1,0,3,2] row_mask:0xf bank_mask:0xf
	v_cmp_lt_i32_e32 vcc_lo, v11, v9
	s_delay_alu instid0(VALU_DEP_2) | instskip(SKIP_1) | instid1(VALU_DEP_2)
	v_cmp_eq_f32_e64 s2, v10, v12
	v_cmp_lt_f32_e64 s3, v10, v12
	s_and_b32 s2, s2, vcc_lo
	s_delay_alu instid0(VALU_DEP_1) | instid1(SALU_CYCLE_1)
	s_or_b32 vcc_lo, s3, s2
	v_dual_cndmask_b32 v10, v10, v12 :: v_dual_cndmask_b32 v9, v9, v11
	s_delay_alu instid0(VALU_DEP_1) | instskip(NEXT) | instid1(VALU_DEP_2)
	v_mov_b32_dpp v11, v10 quad_perm:[2,3,0,1] row_mask:0xf bank_mask:0xf
	v_mov_b32_dpp v12, v9 quad_perm:[2,3,0,1] row_mask:0xf bank_mask:0xf
	s_delay_alu instid0(VALU_DEP_2) | instskip(NEXT) | instid1(VALU_DEP_2)
	v_cmp_eq_f32_e32 vcc_lo, v10, v11
	v_cmp_lt_i32_e64 s2, v12, v9
	v_cmp_lt_f32_e64 s3, v10, v11
	s_delay_alu instid0(VALU_DEP_2)
	s_and_b32 s2, vcc_lo, s2
	s_delay_alu instid0(VALU_DEP_1) | instid1(SALU_CYCLE_1)
	s_or_b32 vcc_lo, s3, s2
	v_dual_cndmask_b32 v10, v10, v11 :: v_dual_cndmask_b32 v11, v9, v12
	s_delay_alu instid0(VALU_DEP_1) | instskip(NEXT) | instid1(VALU_DEP_2)
	v_mov_b32_dpp v9, v10 row_xmask:7 row_mask:0xf bank_mask:0xf
	v_mov_b32_dpp v12, v11 row_xmask:7 row_mask:0xf bank_mask:0xf
	s_delay_alu instid0(VALU_DEP_2) | instskip(NEXT) | instid1(VALU_DEP_2)
	v_cmp_eq_f32_e32 vcc_lo, v10, v9
	v_cmp_lt_i32_e64 s2, v12, v11
	v_cmp_lt_f32_e64 s3, v10, v9
	s_delay_alu instid0(VALU_DEP_2)
	s_and_b32 s2, vcc_lo, s2
	s_delay_alu instid0(VALU_DEP_1) | instid1(SALU_CYCLE_1)
	s_or_b32 vcc_lo, s3, s2
	s_cmp_gt_i32 s8, 0
	v_dual_cndmask_b32 v9, v10, v9 :: v_dual_cndmask_b32 v10, v11, v12
	v_cmp_eq_u32_e32 vcc_lo, 0, v16
	s_cselect_b32 s15, -1, 0
	s_cmp_lt_i32 s8, 1
	s_delay_alu instid0(VALU_DEP_2) | instskip(SKIP_1) | instid1(VALU_DEP_2)
	v_mov_b32_dpp v12, v9 row_xmask:15 row_mask:0xf bank_mask:0xf
	v_mov_b32_dpp v11, v10 row_xmask:15 row_mask:0xf bank_mask:0xf
	v_cmp_lt_f32_e64 s2, v9, v12
	v_cmp_eq_f32_e64 s3, v9, v12
	s_delay_alu instid0(VALU_DEP_3)
	v_cmp_lt_i32_e64 s4, v11, v10
	s_cbranch_scc1 .LBB81_16
; %bb.5:
	s_delay_alu instid0(VALU_DEP_1)
	s_and_b32 s3, s3, s4
	s_load_b128 s[4:7], s[0:1], 0x20
	s_or_b32 s2, s2, s3
	v_mul_lo_u32 v13, v15, s8
	v_cndmask_b32_e64 v12, v9, v12, s2
	v_cndmask_b32_e64 v10, v10, v11, s2
	s_mov_b32 s2, 0x76543210
	v_mul_lo_u32 v9, v15, s11
	v_mul_lo_u32 v11, v15, s14
	v_permlanex16_b32 v14, v12, s2, 0xfedcba98 op_sel:[1,1]
	v_permlanex16_b32 v25, v10, s2, 0xfedcba98 op_sel:[1,1]
	s_delay_alu instid0(VALU_DEP_2) | instskip(NEXT) | instid1(VALU_DEP_2)
	v_cmp_eq_f32_e64 s0, v12, v14
	v_cmp_lt_i32_e64 s1, v25, v10
	v_cmp_lt_f32_e64 s2, v12, v14
	s_delay_alu instid0(VALU_DEP_2)
	s_and_b32 s0, s0, s1
	s_delay_alu instid0(VALU_DEP_1) | instid1(SALU_CYCLE_1)
	s_or_b32 s0, s2, s0
	s_delay_alu instid0(SALU_CYCLE_1)
	v_cndmask_b32_e64 v27, v10, v25, s0
	v_cndmask_b32_e64 v25, v12, v14, s0
	v_mov_b32_e32 v14, 0
	s_and_saveexec_b32 s2, vcc_lo
	s_cbranch_execz .LBB81_7
; %bb.6:
	s_delay_alu instid0(VALU_DEP_2)
	v_sub_f32_e32 v34, v25, v25
	v_cmp_le_i32_e64 s0, s9, v27
	v_cmp_gt_i32_e64 s1, s10, v27
	v_subrev_nc_u32_e32 v35, s9, v27
	v_ashrrev_i32_e32 v14, 31, v13
	v_mul_f32_e32 v10, 0x3fb8aa3b, v34
	s_delay_alu instid0(VALU_DEP_4) | instskip(NEXT) | instid1(SALU_CYCLE_1)
	s_and_b32 s0, s0, s1
	s_and_b32 s0, s17, s0
	s_delay_alu instid0(VALU_DEP_1) | instskip(SKIP_2) | instid1(VALU_DEP_3)
	v_rndne_f32_e32 v30, v10
	v_fma_f32 v12, 0x3fb8aa3b, v34, -v10
	v_lshlrev_b64 v[32:33], 2, v[13:14]
	v_sub_f32_e32 v10, v10, v30
	s_delay_alu instid0(VALU_DEP_3) | instskip(NEXT) | instid1(VALU_DEP_1)
	v_fmamk_f32 v12, v34, 0x32a5705f, v12
	v_add_f32_e32 v12, v10, v12
	v_ashrrev_i32_e32 v10, 31, v9
	s_delay_alu instid0(VALU_DEP_2) | instskip(NEXT) | instid1(VALU_DEP_1)
	v_exp_f32_e32 v36, v12
	v_lshlrev_b64 v[28:29], 2, v[9:10]
	v_ashrrev_i32_e32 v12, 31, v11
	v_cvt_i32_f32_e32 v10, v30
	s_delay_alu instid0(VALU_DEP_2) | instskip(SKIP_2) | instid1(VALU_DEP_1)
	v_lshlrev_b64 v[30:31], 2, v[11:12]
	v_cndmask_b32_e64 v12, 0x100, v35, s0
	v_add_co_u32 v28, s0, s12, v28
	v_add_co_ci_u32_e64 v29, s0, s13, v29, s0
	s_delay_alu instid0(TRANS32_DEP_1) | instskip(SKIP_1) | instid1(VALU_DEP_1)
	v_ldexp_f32 v10, v36, v10
	v_cmp_ngt_f32_e64 s0, 0xc2ce8ed0, v34
	v_cndmask_b32_e64 v10, 0, v10, s0
	s_waitcnt lgkmcnt(0)
	v_add_co_u32 v30, s0, s4, v30
	s_delay_alu instid0(VALU_DEP_1) | instskip(SKIP_1) | instid1(VALU_DEP_1)
	v_add_co_ci_u32_e64 v31, s0, s5, v31, s0
	v_cmp_nlt_f32_e64 s0, 0x42b17218, v34
	v_cndmask_b32_e64 v14, 0x7f800000, v10, s0
	v_add_co_u32 v32, s0, s6, v32
	s_delay_alu instid0(VALU_DEP_1)
	v_add_co_ci_u32_e64 v33, s0, s7, v33, s0
	global_store_b32 v[30:31], v12, off
	global_store_b32 v[28:29], v14, off
	global_store_b32 v[32:33], v15, off
.LBB81_7:
	s_or_b32 exec_lo, exec_lo, s2
	v_ashrrev_i32_e32 v10, 31, v27
	s_mov_b32 s1, exec_lo
	s_delay_alu instid0(VALU_DEP_1) | instskip(NEXT) | instid1(VALU_DEP_1)
	v_lshrrev_b32_e32 v12, 29, v10
	v_add_nc_u32_e32 v12, v27, v12
	s_delay_alu instid0(VALU_DEP_1) | instskip(SKIP_1) | instid1(VALU_DEP_2)
	v_ashrrev_i32_e32 v28, 31, v12
	v_ashrrev_i32_e32 v12, 3, v12
	v_lshrrev_b32_e32 v28, 27, v28
	s_delay_alu instid0(VALU_DEP_1) | instskip(NEXT) | instid1(VALU_DEP_1)
	v_add_nc_u32_e32 v28, v12, v28
	v_and_b32_e32 v28, 0xffffffe0, v28
	s_delay_alu instid0(VALU_DEP_1) | instskip(NEXT) | instid1(VALU_DEP_1)
	v_sub_nc_u32_e32 v28, v12, v28
	v_cmpx_eq_u32_e64 v16, v28
	s_cbranch_execz .LBB81_9
; %bb.8:
	v_lshrrev_b32_e32 v10, 24, v10
	v_lshlrev_b32_e32 v12, 3, v12
	s_delay_alu instid0(VALU_DEP_2) | instskip(NEXT) | instid1(VALU_DEP_2)
	v_add_nc_u32_e32 v10, v27, v10
	v_sub_nc_u32_e32 v12, v27, v12
	s_delay_alu instid0(VALU_DEP_2) | instskip(NEXT) | instid1(VALU_DEP_1)
	v_ashrrev_i32_e32 v10, 8, v10
	v_lshl_add_u32 v10, v10, 3, v12
	s_delay_alu instid0(VALU_DEP_1) | instskip(NEXT) | instid1(VALU_DEP_1)
	v_cmp_ne_u32_e64 s0, 7, v10
	v_cndmask_b32_e64 v7, 0xff800000, v7, s0
	v_cmp_ne_u32_e64 s0, 6, v10
	s_delay_alu instid0(VALU_DEP_1) | instskip(SKIP_1) | instid1(VALU_DEP_1)
	v_cndmask_b32_e64 v6, 0xff800000, v6, s0
	v_cmp_ne_u32_e64 s0, 5, v10
	v_cndmask_b32_e64 v5, 0xff800000, v5, s0
	v_cmp_ne_u32_e64 s0, 4, v10
	s_delay_alu instid0(VALU_DEP_1) | instskip(SKIP_1) | instid1(VALU_DEP_1)
	v_cndmask_b32_e64 v4, 0xff800000, v4, s0
	v_cmp_ne_u32_e64 s0, 3, v10
	v_cndmask_b32_e64 v3, 0xff800000, v3, s0
	v_cmp_ne_u32_e64 s0, 2, v10
	s_delay_alu instid0(VALU_DEP_1) | instskip(SKIP_1) | instid1(VALU_DEP_1)
	v_cndmask_b32_e64 v2, 0xff800000, v2, s0
	v_cmp_ne_u32_e64 s0, 1, v10
	v_cndmask_b32_e64 v1, 0xff800000, v1, s0
	v_cmp_ne_u32_e64 s0, 0, v10
	s_delay_alu instid0(VALU_DEP_1)
	v_cndmask_b32_e64 v0, 0xff800000, v0, s0
.LBB81_9:
	s_or_b32 exec_lo, exec_lo, s1
	s_cmp_eq_u32 s8, 1
	s_cbranch_scc1 .LBB81_16
; %bb.10:
	v_add_nc_u32_e32 v12, s16, v8
	v_add_nc_u32_e32 v8, 1, v13
	v_add_nc_u32_e32 v10, 1, v11
	s_add_i32 s3, s8, -1
	s_mov_b32 s14, 0x76543210
	v_add3_u32 v26, v12, v26, s18
	v_add_nc_u32_e32 v12, 1, v9
	s_branch .LBB81_12
.LBB81_11:                              ;   in Loop: Header=BB81_12 Depth=1
	s_or_b32 exec_lo, exec_lo, s1
	v_add_nc_u32_e32 v26, s16, v26
	v_add_nc_u32_e32 v8, 1, v8
	;; [unrolled: 1-line block ×4, first 2 shown]
	s_add_i32 s3, s3, -1
	s_delay_alu instid0(SALU_CYCLE_1)
	s_cmp_eq_u32 s3, 0
	s_cbranch_scc1 .LBB81_16
.LBB81_12:                              ; =>This Inner Loop Header: Depth=1
	v_cmp_gt_f32_e64 s0, v1, v0
	s_delay_alu instid0(VALU_DEP_1) | instskip(SKIP_1) | instid1(VALU_DEP_2)
	v_cndmask_b32_e64 v11, v0, v1, s0
	v_cndmask_b32_e64 v9, v17, v18, s0
	v_cmp_gt_f32_e64 s0, v2, v11
	s_delay_alu instid0(VALU_DEP_1) | instskip(NEXT) | instid1(VALU_DEP_3)
	v_cndmask_b32_e64 v11, v11, v2, s0
	v_cndmask_b32_e64 v9, v9, v19, s0
	s_delay_alu instid0(VALU_DEP_2) | instskip(NEXT) | instid1(VALU_DEP_1)
	v_cmp_gt_f32_e64 s0, v3, v11
	v_cndmask_b32_e64 v11, v11, v3, s0
	s_delay_alu instid0(VALU_DEP_3) | instskip(NEXT) | instid1(VALU_DEP_2)
	v_cndmask_b32_e64 v9, v9, v20, s0
	v_cmp_gt_f32_e64 s0, v4, v11
	s_delay_alu instid0(VALU_DEP_1) | instskip(NEXT) | instid1(VALU_DEP_3)
	v_cndmask_b32_e64 v11, v11, v4, s0
	v_cndmask_b32_e64 v9, v9, v21, s0
	s_delay_alu instid0(VALU_DEP_2) | instskip(NEXT) | instid1(VALU_DEP_1)
	v_cmp_gt_f32_e64 s0, v5, v11
	v_cndmask_b32_e64 v11, v11, v5, s0
	s_delay_alu instid0(VALU_DEP_3) | instskip(NEXT) | instid1(VALU_DEP_2)
	v_cndmask_b32_e64 v9, v9, v22, s0
	v_cmp_gt_f32_e64 s0, v6, v11
	s_delay_alu instid0(VALU_DEP_1) | instskip(NEXT) | instid1(VALU_DEP_3)
	v_cndmask_b32_e64 v11, v11, v6, s0
	v_cndmask_b32_e64 v9, v9, v23, s0
	s_delay_alu instid0(VALU_DEP_2) | instskip(NEXT) | instid1(VALU_DEP_1)
	v_cmp_gt_f32_e64 s0, v7, v11
	v_cndmask_b32_e64 v9, v9, v24, s0
	v_cndmask_b32_e64 v11, v11, v7, s0
	s_delay_alu instid0(VALU_DEP_2) | instskip(NEXT) | instid1(VALU_DEP_2)
	v_mov_b32_dpp v13, v9 quad_perm:[1,0,3,2] row_mask:0xf bank_mask:0xf
	v_mov_b32_dpp v27, v11 quad_perm:[1,0,3,2] row_mask:0xf bank_mask:0xf
	s_delay_alu instid0(VALU_DEP_2) | instskip(NEXT) | instid1(VALU_DEP_2)
	v_cmp_lt_i32_e64 s0, v13, v9
	v_cmp_eq_f32_e64 s1, v11, v27
	v_cmp_lt_f32_e64 s2, v11, v27
	s_delay_alu instid0(VALU_DEP_2)
	s_and_b32 s0, s1, s0
	s_delay_alu instid0(VALU_DEP_1) | instid1(SALU_CYCLE_1)
	s_or_b32 s0, s2, s0
	s_delay_alu instid0(SALU_CYCLE_1) | instskip(SKIP_1) | instid1(VALU_DEP_2)
	v_cndmask_b32_e64 v11, v11, v27, s0
	v_cndmask_b32_e64 v9, v9, v13, s0
	v_mov_b32_dpp v13, v11 quad_perm:[2,3,0,1] row_mask:0xf bank_mask:0xf
	s_delay_alu instid0(VALU_DEP_2) | instskip(NEXT) | instid1(VALU_DEP_2)
	v_mov_b32_dpp v27, v9 quad_perm:[2,3,0,1] row_mask:0xf bank_mask:0xf
	v_cmp_eq_f32_e64 s0, v11, v13
	s_delay_alu instid0(VALU_DEP_2) | instskip(SKIP_1) | instid1(VALU_DEP_2)
	v_cmp_lt_i32_e64 s1, v27, v9
	v_cmp_lt_f32_e64 s2, v11, v13
	s_and_b32 s0, s0, s1
	s_delay_alu instid0(VALU_DEP_1) | instid1(SALU_CYCLE_1)
	s_or_b32 s0, s2, s0
	s_delay_alu instid0(SALU_CYCLE_1) | instskip(SKIP_1) | instid1(VALU_DEP_2)
	v_cndmask_b32_e64 v11, v11, v13, s0
	v_cndmask_b32_e64 v9, v9, v27, s0
	v_mov_b32_dpp v13, v11 row_xmask:7 row_mask:0xf bank_mask:0xf
	s_delay_alu instid0(VALU_DEP_2) | instskip(NEXT) | instid1(VALU_DEP_2)
	v_mov_b32_dpp v27, v9 row_xmask:7 row_mask:0xf bank_mask:0xf
	v_cmp_eq_f32_e64 s0, v11, v13
	s_delay_alu instid0(VALU_DEP_2) | instskip(SKIP_1) | instid1(VALU_DEP_2)
	v_cmp_lt_i32_e64 s1, v27, v9
	v_cmp_lt_f32_e64 s2, v11, v13
	s_and_b32 s0, s0, s1
	s_delay_alu instid0(VALU_DEP_1) | instid1(SALU_CYCLE_1)
	s_or_b32 s0, s2, s0
	s_delay_alu instid0(SALU_CYCLE_1) | instskip(SKIP_1) | instid1(VALU_DEP_2)
	v_cndmask_b32_e64 v11, v11, v13, s0
	v_cndmask_b32_e64 v13, v9, v27, s0
	v_mov_b32_dpp v9, v11 row_xmask:15 row_mask:0xf bank_mask:0xf
	s_delay_alu instid0(VALU_DEP_2) | instskip(NEXT) | instid1(VALU_DEP_2)
	v_mov_b32_dpp v27, v13 row_xmask:15 row_mask:0xf bank_mask:0xf
	v_cmp_eq_f32_e64 s0, v11, v9
	s_delay_alu instid0(VALU_DEP_2) | instskip(SKIP_1) | instid1(VALU_DEP_2)
	v_cmp_lt_i32_e64 s1, v27, v13
	v_cmp_lt_f32_e64 s2, v11, v9
	s_and_b32 s0, s0, s1
	s_delay_alu instid0(VALU_DEP_1) | instid1(SALU_CYCLE_1)
	s_or_b32 s0, s2, s0
	s_delay_alu instid0(SALU_CYCLE_1) | instskip(SKIP_1) | instid1(VALU_DEP_2)
	v_cndmask_b32_e64 v9, v11, v9, s0
	v_cndmask_b32_e64 v13, v13, v27, s0
	v_permlanex16_b32 v11, v9, s14, 0xfedcba98 op_sel:[1,1]
	s_delay_alu instid0(VALU_DEP_2) | instskip(NEXT) | instid1(VALU_DEP_2)
	v_permlanex16_b32 v27, v13, s14, 0xfedcba98 op_sel:[1,1]
	v_cmp_eq_f32_e64 s0, v9, v11
	s_delay_alu instid0(VALU_DEP_2) | instskip(SKIP_1) | instid1(VALU_DEP_2)
	v_cmp_lt_i32_e64 s1, v27, v13
	v_cmp_lt_f32_e64 s2, v9, v11
	s_and_b32 s0, s0, s1
	s_delay_alu instid0(VALU_DEP_1) | instid1(SALU_CYCLE_1)
	s_or_b32 s0, s2, s0
	s_delay_alu instid0(SALU_CYCLE_1)
	v_cndmask_b32_e64 v27, v13, v27, s0
	s_and_saveexec_b32 s2, vcc_lo
	s_cbranch_execz .LBB81_14
; %bb.13:                               ;   in Loop: Header=BB81_12 Depth=1
	v_cndmask_b32_e64 v9, v9, v11, s0
	s_delay_alu instid0(VALU_DEP_2) | instskip(SKIP_4) | instid1(VALU_DEP_4)
	v_cmp_le_i32_e64 s0, s9, v27
	v_cmp_gt_i32_e64 s1, s10, v27
	v_ashrrev_i32_e32 v13, 31, v12
	v_subrev_nc_u32_e32 v35, s9, v27
	v_sub_f32_e32 v34, v9, v25
	s_and_b32 s0, s0, s1
	s_delay_alu instid0(SALU_CYCLE_1) | instskip(NEXT) | instid1(VALU_DEP_1)
	s_and_b32 s0, s17, s0
	v_mul_f32_e32 v9, 0x3fb8aa3b, v34
	s_delay_alu instid0(VALU_DEP_1) | instskip(SKIP_1) | instid1(VALU_DEP_2)
	v_fma_f32 v11, 0x3fb8aa3b, v34, -v9
	v_rndne_f32_e32 v28, v9
	v_fmac_f32_e32 v11, 0x32a5705f, v34
	s_delay_alu instid0(VALU_DEP_2) | instskip(SKIP_2) | instid1(VALU_DEP_3)
	v_sub_f32_e32 v9, v9, v28
	v_cvt_i32_f32_e32 v33, v28
	v_lshlrev_b64 v[28:29], 2, v[12:13]
	v_add_f32_e32 v9, v9, v11
	v_ashrrev_i32_e32 v11, 31, v10
	s_delay_alu instid0(VALU_DEP_2) | instskip(SKIP_1) | instid1(VALU_DEP_2)
	v_exp_f32_e32 v32, v9
	v_ashrrev_i32_e32 v9, 31, v8
	v_lshlrev_b64 v[30:31], 2, v[10:11]
	s_waitcnt_depctr 0xfff
	v_ldexp_f32 v11, v32, v33
	v_lshlrev_b64 v[32:33], 2, v[8:9]
	v_cndmask_b32_e64 v9, 0x100, v35, s0
	v_cmp_ngt_f32_e64 s0, 0xc2ce8ed0, v34
	s_delay_alu instid0(VALU_DEP_1) | instskip(SKIP_1) | instid1(VALU_DEP_1)
	v_cndmask_b32_e64 v11, 0, v11, s0
	v_add_co_u32 v28, s0, s12, v28
	v_add_co_ci_u32_e64 v29, s0, s13, v29, s0
	v_cmp_nlt_f32_e64 s0, 0x42b17218, v34
	s_delay_alu instid0(VALU_DEP_1) | instskip(SKIP_2) | instid1(VALU_DEP_1)
	v_cndmask_b32_e64 v11, 0x7f800000, v11, s0
	s_waitcnt lgkmcnt(0)
	v_add_co_u32 v30, s0, s4, v30
	v_add_co_ci_u32_e64 v31, s0, s5, v31, s0
	s_delay_alu instid0(VALU_DEP_3) | instskip(SKIP_1) | instid1(VALU_DEP_1)
	v_add_f32_e32 v14, v14, v11
	v_add_co_u32 v32, s0, s6, v32
	v_add_co_ci_u32_e64 v33, s0, s7, v33, s0
	global_store_b32 v[28:29], v11, off
	global_store_b32 v[30:31], v9, off
	;; [unrolled: 1-line block ×3, first 2 shown]
.LBB81_14:                              ;   in Loop: Header=BB81_12 Depth=1
	s_or_b32 exec_lo, exec_lo, s2
	s_delay_alu instid0(VALU_DEP_1) | instskip(SKIP_1) | instid1(VALU_DEP_1)
	v_ashrrev_i32_e32 v9, 31, v27
	s_mov_b32 s1, exec_lo
	v_lshrrev_b32_e32 v11, 29, v9
	s_delay_alu instid0(VALU_DEP_1) | instskip(NEXT) | instid1(VALU_DEP_1)
	v_add_nc_u32_e32 v11, v27, v11
	v_ashrrev_i32_e32 v13, 31, v11
	v_ashrrev_i32_e32 v11, 3, v11
	s_delay_alu instid0(VALU_DEP_2) | instskip(NEXT) | instid1(VALU_DEP_1)
	v_lshrrev_b32_e32 v13, 27, v13
	v_add_nc_u32_e32 v13, v11, v13
	s_delay_alu instid0(VALU_DEP_1) | instskip(NEXT) | instid1(VALU_DEP_1)
	v_and_b32_e32 v13, 0xffffffe0, v13
	v_sub_nc_u32_e32 v13, v11, v13
	s_delay_alu instid0(VALU_DEP_1)
	v_cmpx_eq_u32_e64 v16, v13
	s_cbranch_execz .LBB81_11
; %bb.15:                               ;   in Loop: Header=BB81_12 Depth=1
	v_lshrrev_b32_e32 v9, 24, v9
	v_lshlrev_b32_e32 v11, 3, v11
	s_delay_alu instid0(VALU_DEP_2) | instskip(NEXT) | instid1(VALU_DEP_2)
	v_add_nc_u32_e32 v9, v27, v9
	v_sub_nc_u32_e32 v11, v27, v11
	s_delay_alu instid0(VALU_DEP_2) | instskip(NEXT) | instid1(VALU_DEP_1)
	v_ashrrev_i32_e32 v9, 8, v9
	v_lshl_add_u32 v9, v9, 3, v11
	s_delay_alu instid0(VALU_DEP_1) | instskip(NEXT) | instid1(VALU_DEP_1)
	v_cmp_ne_u32_e64 s0, 7, v9
	v_cndmask_b32_e64 v7, 0xff800000, v7, s0
	v_cmp_ne_u32_e64 s0, 6, v9
	s_delay_alu instid0(VALU_DEP_1) | instskip(SKIP_1) | instid1(VALU_DEP_1)
	v_cndmask_b32_e64 v6, 0xff800000, v6, s0
	v_cmp_ne_u32_e64 s0, 5, v9
	v_cndmask_b32_e64 v5, 0xff800000, v5, s0
	v_cmp_ne_u32_e64 s0, 4, v9
	s_delay_alu instid0(VALU_DEP_1) | instskip(SKIP_1) | instid1(VALU_DEP_1)
	v_cndmask_b32_e64 v4, 0xff800000, v4, s0
	;; [unrolled: 5-line block ×3, first 2 shown]
	v_cmp_ne_u32_e64 s0, 1, v9
	v_cndmask_b32_e64 v1, 0xff800000, v1, s0
	v_cmp_ne_u32_e64 s0, 0, v9
	s_delay_alu instid0(VALU_DEP_1)
	v_cndmask_b32_e64 v0, 0xff800000, v0, s0
	s_branch .LBB81_11
.LBB81_16:
	v_cmp_eq_u32_e32 vcc_lo, 0, v16
	v_cmp_neq_f32_e64 s0, 0, v14
	s_delay_alu instid0(VALU_DEP_1) | instskip(NEXT) | instid1(SALU_CYCLE_1)
	s_and_b32 s0, vcc_lo, s0
	s_and_b32 exec_lo, exec_lo, s0
	s_cbranch_execz .LBB81_20
; %bb.17:
	s_and_not1_b32 vcc_lo, exec_lo, s15
	s_cbranch_vccnz .LBB81_20
; %bb.18:
	v_div_scale_f32 v1, null, v14, v14, 1.0
	v_div_scale_f32 v3, vcc_lo, 1.0, v14, 1.0
	s_delay_alu instid0(VALU_DEP_2) | instskip(SKIP_2) | instid1(VALU_DEP_1)
	v_rcp_f32_e32 v2, v1
	s_waitcnt_depctr 0xfff
	v_fma_f32 v0, -v1, v2, 1.0
	v_fmac_f32_e32 v2, v0, v2
	v_mul_lo_u32 v0, v15, s11
	s_delay_alu instid0(VALU_DEP_2) | instskip(NEXT) | instid1(VALU_DEP_1)
	v_mul_f32_e32 v4, v3, v2
	v_fma_f32 v5, -v1, v4, v3
	s_delay_alu instid0(VALU_DEP_1) | instskip(NEXT) | instid1(VALU_DEP_1)
	v_fmac_f32_e32 v4, v5, v2
	v_fma_f32 v3, -v1, v4, v3
	v_ashrrev_i32_e32 v1, 31, v0
	s_delay_alu instid0(VALU_DEP_2) | instskip(NEXT) | instid1(VALU_DEP_2)
	v_div_fmas_f32 v2, v3, v2, v4
	v_lshlrev_b64 v[0:1], 2, v[0:1]
	s_delay_alu instid0(VALU_DEP_2) | instskip(NEXT) | instid1(VALU_DEP_2)
	v_div_fixup_f32 v2, v2, v14, 1.0
	v_add_co_u32 v0, vcc_lo, s12, v0
	s_delay_alu instid0(VALU_DEP_3)
	v_add_co_ci_u32_e32 v1, vcc_lo, s13, v1, vcc_lo
.LBB81_19:                              ; =>This Inner Loop Header: Depth=1
	global_load_b32 v3, v[0:1], off
	s_add_i32 s8, s8, -1
	s_delay_alu instid0(SALU_CYCLE_1)
	s_cmp_lg_u32 s8, 0
	s_waitcnt vmcnt(0)
	v_mul_f32_e32 v3, v2, v3
	global_store_b32 v[0:1], v3, off
	v_add_co_u32 v0, vcc_lo, v0, 4
	v_add_co_ci_u32_e32 v1, vcc_lo, 0, v1, vcc_lo
	s_cbranch_scc1 .LBB81_19
.LBB81_20:
	s_nop 0
	s_sendmsg sendmsg(MSG_DEALLOC_VGPRS)
	s_endpgm
	.section	.rodata,"a",@progbits
	.p2align	6, 0x0
	.amdhsa_kernel _ZN4vllm3moe17topkGatingSoftmaxIfLi8ELi256ELi8ELi32ELb1ELi0ELNS0_23SharedExpertScoringFuncE0EEEvPKT_PKbPfiPiS9_iiiiii
		.amdhsa_group_segment_fixed_size 0
		.amdhsa_private_segment_fixed_size 0
		.amdhsa_kernarg_size 72
		.amdhsa_user_sgpr_count 15
		.amdhsa_user_sgpr_dispatch_ptr 0
		.amdhsa_user_sgpr_queue_ptr 0
		.amdhsa_user_sgpr_kernarg_segment_ptr 1
		.amdhsa_user_sgpr_dispatch_id 0
		.amdhsa_user_sgpr_private_segment_size 0
		.amdhsa_wavefront_size32 1
		.amdhsa_uses_dynamic_stack 0
		.amdhsa_enable_private_segment 0
		.amdhsa_system_sgpr_workgroup_id_x 1
		.amdhsa_system_sgpr_workgroup_id_y 0
		.amdhsa_system_sgpr_workgroup_id_z 0
		.amdhsa_system_sgpr_workgroup_info 0
		.amdhsa_system_vgpr_workitem_id 1
		.amdhsa_next_free_vgpr 37
		.amdhsa_next_free_sgpr 19
		.amdhsa_reserve_vcc 1
		.amdhsa_float_round_mode_32 0
		.amdhsa_float_round_mode_16_64 0
		.amdhsa_float_denorm_mode_32 3
		.amdhsa_float_denorm_mode_16_64 3
		.amdhsa_dx10_clamp 1
		.amdhsa_ieee_mode 1
		.amdhsa_fp16_overflow 0
		.amdhsa_workgroup_processor_mode 1
		.amdhsa_memory_ordered 1
		.amdhsa_forward_progress 0
		.amdhsa_shared_vgpr_count 0
		.amdhsa_exception_fp_ieee_invalid_op 0
		.amdhsa_exception_fp_denorm_src 0
		.amdhsa_exception_fp_ieee_div_zero 0
		.amdhsa_exception_fp_ieee_overflow 0
		.amdhsa_exception_fp_ieee_underflow 0
		.amdhsa_exception_fp_ieee_inexact 0
		.amdhsa_exception_int_div_zero 0
	.end_amdhsa_kernel
	.section	.text._ZN4vllm3moe17topkGatingSoftmaxIfLi8ELi256ELi8ELi32ELb1ELi0ELNS0_23SharedExpertScoringFuncE0EEEvPKT_PKbPfiPiS9_iiiiii,"axG",@progbits,_ZN4vllm3moe17topkGatingSoftmaxIfLi8ELi256ELi8ELi32ELb1ELi0ELNS0_23SharedExpertScoringFuncE0EEEvPKT_PKbPfiPiS9_iiiiii,comdat
.Lfunc_end81:
	.size	_ZN4vllm3moe17topkGatingSoftmaxIfLi8ELi256ELi8ELi32ELb1ELi0ELNS0_23SharedExpertScoringFuncE0EEEvPKT_PKbPfiPiS9_iiiiii, .Lfunc_end81-_ZN4vllm3moe17topkGatingSoftmaxIfLi8ELi256ELi8ELi32ELb1ELi0ELNS0_23SharedExpertScoringFuncE0EEEvPKT_PKbPfiPiS9_iiiiii
                                        ; -- End function
	.section	.AMDGPU.csdata,"",@progbits
; Kernel info:
; codeLenInByte = 2984
; NumSgprs: 21
; NumVgprs: 37
; ScratchSize: 0
; MemoryBound: 0
; FloatMode: 240
; IeeeMode: 1
; LDSByteSize: 0 bytes/workgroup (compile time only)
; SGPRBlocks: 2
; VGPRBlocks: 4
; NumSGPRsForWavesPerEU: 21
; NumVGPRsForWavesPerEU: 37
; Occupancy: 16
; WaveLimiterHint : 0
; COMPUTE_PGM_RSRC2:SCRATCH_EN: 0
; COMPUTE_PGM_RSRC2:USER_SGPR: 15
; COMPUTE_PGM_RSRC2:TRAP_HANDLER: 0
; COMPUTE_PGM_RSRC2:TGID_X_EN: 1
; COMPUTE_PGM_RSRC2:TGID_Y_EN: 0
; COMPUTE_PGM_RSRC2:TGID_Z_EN: 0
; COMPUTE_PGM_RSRC2:TIDIG_COMP_CNT: 1
	.section	.text._ZN4vllm3moe17topkGatingSoftmaxIfLi8ELi256ELi8ELi32ELb0ELi0ELNS0_23SharedExpertScoringFuncE0EEEvPKT_PKbPfiPiS9_iiiiii,"axG",@progbits,_ZN4vllm3moe17topkGatingSoftmaxIfLi8ELi256ELi8ELi32ELb0ELi0ELNS0_23SharedExpertScoringFuncE0EEEvPKT_PKbPfiPiS9_iiiiii,comdat
	.protected	_ZN4vllm3moe17topkGatingSoftmaxIfLi8ELi256ELi8ELi32ELb0ELi0ELNS0_23SharedExpertScoringFuncE0EEEvPKT_PKbPfiPiS9_iiiiii ; -- Begin function _ZN4vllm3moe17topkGatingSoftmaxIfLi8ELi256ELi8ELi32ELb0ELi0ELNS0_23SharedExpertScoringFuncE0EEEvPKT_PKbPfiPiS9_iiiiii
	.globl	_ZN4vllm3moe17topkGatingSoftmaxIfLi8ELi256ELi8ELi32ELb0ELi0ELNS0_23SharedExpertScoringFuncE0EEEvPKT_PKbPfiPiS9_iiiiii
	.p2align	8
	.type	_ZN4vllm3moe17topkGatingSoftmaxIfLi8ELi256ELi8ELi32ELb0ELi0ELNS0_23SharedExpertScoringFuncE0EEEvPKT_PKbPfiPiS9_iiiiii,@function
_ZN4vllm3moe17topkGatingSoftmaxIfLi8ELi256ELi8ELi32ELb0ELi0ELNS0_23SharedExpertScoringFuncE0EEEvPKT_PKbPfiPiS9_iiiiii: ; @_ZN4vllm3moe17topkGatingSoftmaxIfLi8ELi256ELi8ELi32ELb0ELi0ELNS0_23SharedExpertScoringFuncE0EEEvPKT_PKbPfiPiS9_iiiiii
; %bb.0:
	s_load_b32 s16, s[0:1], 0x18
	v_and_b32_e32 v1, 0x3ff, v0
	v_bfe_u32 v8, v0, 10, 10
	s_lshl_b32 s18, s15, 3
	s_mov_b32 s2, exec_lo
	s_delay_alu instid0(VALU_DEP_2) | instskip(NEXT) | instid1(VALU_DEP_1)
	v_lshrrev_b32_e32 v26, 5, v1
	v_add3_u32 v15, s18, v8, v26
	s_waitcnt lgkmcnt(0)
	s_delay_alu instid0(VALU_DEP_1)
	v_cmpx_gt_i32_e64 s16, v15
	s_cbranch_execz .LBB82_21
; %bb.1:
	s_clause 0x1
	s_load_b128 s[4:7], s[0:1], 0x0
	s_load_b64 s[12:13], s[0:1], 0x10
	s_waitcnt lgkmcnt(0)
	s_cmp_eq_u64 s[6:7], 0
	s_cbranch_scc1 .LBB82_3
; %bb.2:
	v_ashrrev_i32_e32 v0, 31, v15
	v_add_co_u32 v2, vcc_lo, s6, v15
	s_delay_alu instid0(VALU_DEP_2) | instskip(SKIP_3) | instid1(VALU_DEP_1)
	v_add_co_ci_u32_e32 v3, vcc_lo, s7, v0, vcc_lo
	global_load_u8 v0, v[2:3], off
	s_waitcnt vmcnt(0)
	v_and_b32_e32 v0, 1, v0
	v_cmp_eq_u32_e32 vcc_lo, 1, v0
	s_xor_b32 s2, vcc_lo, -1
	s_delay_alu instid0(SALU_CYCLE_1)
	s_or_not1_b32 s17, s2, exec_lo
	s_branch .LBB82_4
.LBB82_3:
	s_mov_b32 s17, -1
.LBB82_4:
	s_load_b64 s[14:15], s[0:1], 0x40
	v_and_b32_e32 v16, 31, v1
	v_mov_b32_e32 v14, 0
	s_delay_alu instid0(VALU_DEP_2) | instskip(NEXT) | instid1(VALU_DEP_1)
	v_lshlrev_b32_e32 v18, 3, v16
	v_or_b32_e32 v21, 3, v18
	v_or_b32_e32 v19, 1, v18
	;; [unrolled: 1-line block ×4, first 2 shown]
	s_waitcnt lgkmcnt(0)
	v_mul_lo_u32 v2, v15, s15
	s_delay_alu instid0(VALU_DEP_1) | instskip(NEXT) | instid1(VALU_DEP_1)
	v_ashrrev_i32_e32 v3, 31, v2
	v_lshlrev_b64 v[0:1], 2, v[2:3]
	v_lshlrev_b32_e32 v2, 5, v16
	s_delay_alu instid0(VALU_DEP_2) | instskip(NEXT) | instid1(VALU_DEP_3)
	v_add_co_u32 v0, vcc_lo, s4, v0
	v_add_co_ci_u32_e32 v1, vcc_lo, s5, v1, vcc_lo
	s_load_b128 s[4:7], s[0:1], 0x30
	s_delay_alu instid0(VALU_DEP_2) | instskip(NEXT) | instid1(VALU_DEP_2)
	v_add_co_u32 v0, vcc_lo, v0, v2
	v_add_co_ci_u32_e32 v1, vcc_lo, 0, v1, vcc_lo
	s_clause 0x1
	global_load_b128 v[4:7], v[0:1], off
	global_load_b128 v[0:3], v[0:1], off offset:16
	s_waitcnt vmcnt(1)
	v_cmp_lt_f32_e32 vcc_lo, v4, v5
	v_dual_cndmask_b32 v9, v18, v19 :: v_dual_cndmask_b32 v10, v4, v5
	s_delay_alu instid0(VALU_DEP_1) | instskip(NEXT) | instid1(VALU_DEP_2)
	v_cmp_lt_f32_e32 vcc_lo, v10, v6
	v_dual_cndmask_b32 v9, v9, v20 :: v_dual_cndmask_b32 v10, v10, v6
	s_delay_alu instid0(VALU_DEP_1) | instskip(NEXT) | instid1(VALU_DEP_2)
	v_cmp_lt_f32_e32 vcc_lo, v10, v7
	v_dual_cndmask_b32 v10, v10, v7 :: v_dual_cndmask_b32 v9, v9, v21
	s_waitcnt vmcnt(0)
	s_delay_alu instid0(VALU_DEP_1) | instskip(NEXT) | instid1(VALU_DEP_2)
	v_cmp_lt_f32_e32 vcc_lo, v10, v0
	v_cndmask_b32_e32 v9, v9, v22, vcc_lo
	v_or_b32_e32 v25, 7, v18
	v_cndmask_b32_e32 v10, v10, v0, vcc_lo
	v_or_b32_e32 v23, 5, v18
	v_or_b32_e32 v24, 6, v18
	s_delay_alu instid0(VALU_DEP_3) | instskip(NEXT) | instid1(VALU_DEP_3)
	v_cmp_lt_f32_e32 vcc_lo, v10, v1
	v_dual_cndmask_b32 v10, v10, v1 :: v_dual_cndmask_b32 v9, v9, v23
	s_delay_alu instid0(VALU_DEP_1) | instskip(NEXT) | instid1(VALU_DEP_2)
	v_cmp_lt_f32_e32 vcc_lo, v10, v2
	v_dual_cndmask_b32 v10, v10, v2 :: v_dual_cndmask_b32 v9, v9, v24
	s_delay_alu instid0(VALU_DEP_1) | instskip(NEXT) | instid1(VALU_DEP_2)
	;; [unrolled: 3-line block ×3, first 2 shown]
	v_mov_b32_dpp v11, v9 quad_perm:[1,0,3,2] row_mask:0xf bank_mask:0xf
	v_mov_b32_dpp v12, v10 quad_perm:[1,0,3,2] row_mask:0xf bank_mask:0xf
	s_delay_alu instid0(VALU_DEP_2) | instskip(NEXT) | instid1(VALU_DEP_2)
	v_cmp_lt_i32_e32 vcc_lo, v11, v9
	v_cmp_eq_f32_e64 s2, v10, v12
	v_cmp_lt_f32_e64 s3, v10, v12
	s_delay_alu instid0(VALU_DEP_2)
	s_and_b32 s2, s2, vcc_lo
	s_delay_alu instid0(VALU_DEP_1) | instid1(SALU_CYCLE_1)
	s_or_b32 vcc_lo, s3, s2
	v_dual_cndmask_b32 v10, v10, v12 :: v_dual_cndmask_b32 v9, v9, v11
	s_delay_alu instid0(VALU_DEP_1) | instskip(NEXT) | instid1(VALU_DEP_2)
	v_mov_b32_dpp v11, v10 quad_perm:[2,3,0,1] row_mask:0xf bank_mask:0xf
	v_mov_b32_dpp v12, v9 quad_perm:[2,3,0,1] row_mask:0xf bank_mask:0xf
	s_delay_alu instid0(VALU_DEP_2) | instskip(NEXT) | instid1(VALU_DEP_2)
	v_cmp_eq_f32_e32 vcc_lo, v10, v11
	v_cmp_lt_i32_e64 s2, v12, v9
	v_cmp_lt_f32_e64 s3, v10, v11
	s_delay_alu instid0(VALU_DEP_2)
	s_and_b32 s2, vcc_lo, s2
	s_delay_alu instid0(VALU_DEP_1) | instid1(SALU_CYCLE_1)
	s_or_b32 vcc_lo, s3, s2
	v_dual_cndmask_b32 v10, v10, v11 :: v_dual_cndmask_b32 v9, v9, v12
	s_delay_alu instid0(VALU_DEP_1) | instskip(NEXT) | instid1(VALU_DEP_2)
	v_mov_b32_dpp v11, v10 row_xmask:7 row_mask:0xf bank_mask:0xf
	v_mov_b32_dpp v12, v9 row_xmask:7 row_mask:0xf bank_mask:0xf
	s_delay_alu instid0(VALU_DEP_2) | instskip(NEXT) | instid1(VALU_DEP_2)
	v_cmp_eq_f32_e32 vcc_lo, v10, v11
	v_cmp_lt_i32_e64 s2, v12, v9
	v_cmp_lt_f32_e64 s3, v10, v11
	s_delay_alu instid0(VALU_DEP_2)
	s_and_b32 s2, vcc_lo, s2
	s_delay_alu instid0(VALU_DEP_1) | instid1(SALU_CYCLE_1)
	s_or_b32 vcc_lo, s3, s2
	v_dual_cndmask_b32 v9, v9, v12 :: v_dual_cndmask_b32 v10, v10, v11
	s_delay_alu instid0(VALU_DEP_1) | instskip(NEXT) | instid1(VALU_DEP_2)
	v_mov_b32_dpp v12, v9 row_xmask:15 row_mask:0xf bank_mask:0xf
	v_mov_b32_dpp v11, v10 row_xmask:15 row_mask:0xf bank_mask:0xf
	s_delay_alu instid0(VALU_DEP_2) | instskip(NEXT) | instid1(VALU_DEP_2)
	v_cmp_lt_i32_e64 s2, v12, v9
	v_cmp_eq_f32_e32 vcc_lo, v10, v11
	v_cmp_lt_f32_e64 s3, v10, v11
	s_delay_alu instid0(VALU_DEP_3)
	s_and_b32 s2, vcc_lo, s2
	s_delay_alu instid0(VALU_DEP_1) | instid1(SALU_CYCLE_1)
	s_or_b32 vcc_lo, s3, s2
	s_mov_b32 s2, 0x76543210
	v_dual_cndmask_b32 v11, v10, v11 :: v_dual_cndmask_b32 v10, v9, v12
	s_delay_alu instid0(VALU_DEP_1) | instskip(NEXT) | instid1(VALU_DEP_2)
	v_permlanex16_b32 v9, v11, s2, 0xfedcba98 op_sel:[1,1]
	v_permlanex16_b32 v12, v10, s2, 0xfedcba98 op_sel:[1,1]
	s_delay_alu instid0(VALU_DEP_2) | instskip(NEXT) | instid1(VALU_DEP_2)
	v_cmp_eq_f32_e32 vcc_lo, v11, v9
	v_cmp_lt_i32_e64 s2, v12, v10
	v_cmp_lt_f32_e64 s3, v11, v9
	s_delay_alu instid0(VALU_DEP_2) | instskip(SKIP_1) | instid1(VALU_DEP_2)
	s_and_b32 s2, vcc_lo, s2
	v_cmp_eq_u32_e32 vcc_lo, 0, v16
	s_or_b32 s2, s3, s2
	s_waitcnt lgkmcnt(0)
	s_cmp_gt_i32 s4, 0
	v_cndmask_b32_e64 v17, v11, v9, s2
	s_cselect_b32 s3, -1, 0
	s_cmp_lt_i32 s4, 1
	s_cbranch_scc1 .LBB82_16
; %bb.5:
	s_load_b128 s[8:11], s[0:1], 0x20
	v_mul_lo_u32 v9, v15, s7
	v_mul_lo_u32 v11, v15, s14
	;; [unrolled: 1-line block ×3, first 2 shown]
	v_cndmask_b32_e64 v27, v10, v12, s2
	v_mov_b32_e32 v14, 0
	s_and_saveexec_b32 s2, vcc_lo
	s_cbranch_execz .LBB82_7
; %bb.6:
	v_sub_f32_e32 v34, v17, v17
	v_cmp_le_i32_e64 s0, s5, v27
	v_cmp_gt_i32_e64 s1, s6, v27
	v_subrev_nc_u32_e32 v35, s5, v27
	v_ashrrev_i32_e32 v14, 31, v13
	v_mul_f32_e32 v10, 0x3fb8aa3b, v34
	s_delay_alu instid0(VALU_DEP_4) | instskip(NEXT) | instid1(SALU_CYCLE_1)
	s_and_b32 s0, s0, s1
	s_and_b32 s0, s17, s0
	s_delay_alu instid0(VALU_DEP_1) | instskip(SKIP_2) | instid1(VALU_DEP_3)
	v_rndne_f32_e32 v30, v10
	v_fma_f32 v12, 0x3fb8aa3b, v34, -v10
	v_lshlrev_b64 v[32:33], 2, v[13:14]
	v_sub_f32_e32 v10, v10, v30
	s_delay_alu instid0(VALU_DEP_3) | instskip(NEXT) | instid1(VALU_DEP_1)
	v_fmamk_f32 v12, v34, 0x32a5705f, v12
	v_add_f32_e32 v12, v10, v12
	v_ashrrev_i32_e32 v10, 31, v9
	s_delay_alu instid0(VALU_DEP_2) | instskip(NEXT) | instid1(VALU_DEP_1)
	v_exp_f32_e32 v36, v12
	v_lshlrev_b64 v[28:29], 2, v[9:10]
	v_ashrrev_i32_e32 v12, 31, v11
	v_cvt_i32_f32_e32 v10, v30
	s_delay_alu instid0(VALU_DEP_2) | instskip(SKIP_2) | instid1(VALU_DEP_1)
	v_lshlrev_b64 v[30:31], 2, v[11:12]
	v_cndmask_b32_e64 v12, 0x100, v35, s0
	v_add_co_u32 v28, s0, s12, v28
	v_add_co_ci_u32_e64 v29, s0, s13, v29, s0
	s_delay_alu instid0(TRANS32_DEP_1) | instskip(SKIP_1) | instid1(VALU_DEP_1)
	v_ldexp_f32 v10, v36, v10
	v_cmp_ngt_f32_e64 s0, 0xc2ce8ed0, v34
	v_cndmask_b32_e64 v10, 0, v10, s0
	s_waitcnt lgkmcnt(0)
	v_add_co_u32 v30, s0, s8, v30
	s_delay_alu instid0(VALU_DEP_1) | instskip(SKIP_1) | instid1(VALU_DEP_1)
	v_add_co_ci_u32_e64 v31, s0, s9, v31, s0
	v_cmp_nlt_f32_e64 s0, 0x42b17218, v34
	v_cndmask_b32_e64 v14, 0x7f800000, v10, s0
	v_add_co_u32 v32, s0, s10, v32
	s_delay_alu instid0(VALU_DEP_1)
	v_add_co_ci_u32_e64 v33, s0, s11, v33, s0
	global_store_b32 v[30:31], v12, off
	global_store_b32 v[28:29], v14, off
	;; [unrolled: 1-line block ×3, first 2 shown]
.LBB82_7:
	s_or_b32 exec_lo, exec_lo, s2
	v_ashrrev_i32_e32 v10, 31, v27
	s_mov_b32 s1, exec_lo
	s_delay_alu instid0(VALU_DEP_1) | instskip(NEXT) | instid1(VALU_DEP_1)
	v_lshrrev_b32_e32 v12, 29, v10
	v_add_nc_u32_e32 v12, v27, v12
	s_delay_alu instid0(VALU_DEP_1) | instskip(SKIP_1) | instid1(VALU_DEP_2)
	v_ashrrev_i32_e32 v28, 31, v12
	v_ashrrev_i32_e32 v12, 3, v12
	v_lshrrev_b32_e32 v28, 27, v28
	s_delay_alu instid0(VALU_DEP_1) | instskip(NEXT) | instid1(VALU_DEP_1)
	v_add_nc_u32_e32 v28, v12, v28
	v_and_b32_e32 v28, 0xffffffe0, v28
	s_delay_alu instid0(VALU_DEP_1) | instskip(NEXT) | instid1(VALU_DEP_1)
	v_sub_nc_u32_e32 v28, v12, v28
	v_cmpx_eq_u32_e64 v16, v28
	s_cbranch_execz .LBB82_9
; %bb.8:
	v_lshrrev_b32_e32 v10, 24, v10
	v_lshlrev_b32_e32 v12, 3, v12
	s_delay_alu instid0(VALU_DEP_2) | instskip(NEXT) | instid1(VALU_DEP_2)
	v_add_nc_u32_e32 v10, v27, v10
	v_sub_nc_u32_e32 v12, v27, v12
	s_delay_alu instid0(VALU_DEP_2) | instskip(NEXT) | instid1(VALU_DEP_1)
	v_ashrrev_i32_e32 v10, 8, v10
	v_lshl_add_u32 v10, v10, 3, v12
	s_delay_alu instid0(VALU_DEP_1) | instskip(NEXT) | instid1(VALU_DEP_1)
	v_cmp_ne_u32_e64 s0, 7, v10
	v_cndmask_b32_e64 v3, 0xff800000, v3, s0
	v_cmp_ne_u32_e64 s0, 6, v10
	s_delay_alu instid0(VALU_DEP_1) | instskip(SKIP_1) | instid1(VALU_DEP_1)
	v_cndmask_b32_e64 v2, 0xff800000, v2, s0
	v_cmp_ne_u32_e64 s0, 5, v10
	v_cndmask_b32_e64 v1, 0xff800000, v1, s0
	v_cmp_ne_u32_e64 s0, 4, v10
	s_delay_alu instid0(VALU_DEP_1) | instskip(SKIP_1) | instid1(VALU_DEP_1)
	v_cndmask_b32_e64 v0, 0xff800000, v0, s0
	;; [unrolled: 5-line block ×3, first 2 shown]
	v_cmp_ne_u32_e64 s0, 1, v10
	v_cndmask_b32_e64 v5, 0xff800000, v5, s0
	v_cmp_ne_u32_e64 s0, 0, v10
	s_delay_alu instid0(VALU_DEP_1)
	v_cndmask_b32_e64 v4, 0xff800000, v4, s0
.LBB82_9:
	s_or_b32 exec_lo, exec_lo, s1
	s_cmp_eq_u32 s4, 1
	s_cbranch_scc1 .LBB82_16
; %bb.10:
	v_add_nc_u32_e32 v12, s16, v8
	v_add_nc_u32_e32 v8, 1, v13
	;; [unrolled: 1-line block ×3, first 2 shown]
	s_add_i32 s14, s4, -1
	s_mov_b32 s15, 0x76543210
	v_add3_u32 v26, v12, v26, s18
	v_add_nc_u32_e32 v12, 1, v9
	s_branch .LBB82_12
.LBB82_11:                              ;   in Loop: Header=BB82_12 Depth=1
	s_or_b32 exec_lo, exec_lo, s1
	v_add_nc_u32_e32 v26, s16, v26
	v_add_nc_u32_e32 v8, 1, v8
	;; [unrolled: 1-line block ×4, first 2 shown]
	s_add_i32 s14, s14, -1
	s_delay_alu instid0(SALU_CYCLE_1)
	s_cmp_eq_u32 s14, 0
	s_cbranch_scc1 .LBB82_16
.LBB82_12:                              ; =>This Inner Loop Header: Depth=1
	v_cmp_gt_f32_e64 s0, v5, v4
	s_delay_alu instid0(VALU_DEP_1) | instskip(SKIP_1) | instid1(VALU_DEP_2)
	v_cndmask_b32_e64 v11, v4, v5, s0
	v_cndmask_b32_e64 v9, v18, v19, s0
	v_cmp_gt_f32_e64 s0, v6, v11
	s_delay_alu instid0(VALU_DEP_1) | instskip(NEXT) | instid1(VALU_DEP_3)
	v_cndmask_b32_e64 v11, v11, v6, s0
	v_cndmask_b32_e64 v9, v9, v20, s0
	s_delay_alu instid0(VALU_DEP_2) | instskip(NEXT) | instid1(VALU_DEP_1)
	v_cmp_gt_f32_e64 s0, v7, v11
	v_cndmask_b32_e64 v11, v11, v7, s0
	s_delay_alu instid0(VALU_DEP_3) | instskip(NEXT) | instid1(VALU_DEP_2)
	v_cndmask_b32_e64 v9, v9, v21, s0
	v_cmp_gt_f32_e64 s0, v0, v11
	s_delay_alu instid0(VALU_DEP_1) | instskip(NEXT) | instid1(VALU_DEP_3)
	v_cndmask_b32_e64 v11, v11, v0, s0
	v_cndmask_b32_e64 v9, v9, v22, s0
	s_delay_alu instid0(VALU_DEP_2) | instskip(NEXT) | instid1(VALU_DEP_1)
	v_cmp_gt_f32_e64 s0, v1, v11
	v_cndmask_b32_e64 v11, v11, v1, s0
	s_delay_alu instid0(VALU_DEP_3) | instskip(NEXT) | instid1(VALU_DEP_2)
	v_cndmask_b32_e64 v9, v9, v23, s0
	v_cmp_gt_f32_e64 s0, v2, v11
	s_delay_alu instid0(VALU_DEP_1) | instskip(NEXT) | instid1(VALU_DEP_3)
	v_cndmask_b32_e64 v11, v11, v2, s0
	v_cndmask_b32_e64 v9, v9, v24, s0
	s_delay_alu instid0(VALU_DEP_2) | instskip(NEXT) | instid1(VALU_DEP_1)
	v_cmp_gt_f32_e64 s0, v3, v11
	v_cndmask_b32_e64 v9, v9, v25, s0
	v_cndmask_b32_e64 v11, v11, v3, s0
	s_delay_alu instid0(VALU_DEP_2) | instskip(NEXT) | instid1(VALU_DEP_2)
	v_mov_b32_dpp v13, v9 quad_perm:[1,0,3,2] row_mask:0xf bank_mask:0xf
	v_mov_b32_dpp v27, v11 quad_perm:[1,0,3,2] row_mask:0xf bank_mask:0xf
	s_delay_alu instid0(VALU_DEP_2) | instskip(NEXT) | instid1(VALU_DEP_2)
	v_cmp_lt_i32_e64 s0, v13, v9
	v_cmp_eq_f32_e64 s1, v11, v27
	v_cmp_lt_f32_e64 s2, v11, v27
	s_delay_alu instid0(VALU_DEP_2)
	s_and_b32 s0, s1, s0
	s_delay_alu instid0(VALU_DEP_1) | instid1(SALU_CYCLE_1)
	s_or_b32 s0, s2, s0
	s_delay_alu instid0(SALU_CYCLE_1) | instskip(SKIP_1) | instid1(VALU_DEP_2)
	v_cndmask_b32_e64 v11, v11, v27, s0
	v_cndmask_b32_e64 v9, v9, v13, s0
	v_mov_b32_dpp v13, v11 quad_perm:[2,3,0,1] row_mask:0xf bank_mask:0xf
	s_delay_alu instid0(VALU_DEP_2) | instskip(NEXT) | instid1(VALU_DEP_2)
	v_mov_b32_dpp v27, v9 quad_perm:[2,3,0,1] row_mask:0xf bank_mask:0xf
	v_cmp_eq_f32_e64 s0, v11, v13
	s_delay_alu instid0(VALU_DEP_2) | instskip(SKIP_1) | instid1(VALU_DEP_2)
	v_cmp_lt_i32_e64 s1, v27, v9
	v_cmp_lt_f32_e64 s2, v11, v13
	s_and_b32 s0, s0, s1
	s_delay_alu instid0(VALU_DEP_1) | instid1(SALU_CYCLE_1)
	s_or_b32 s0, s2, s0
	s_delay_alu instid0(SALU_CYCLE_1) | instskip(SKIP_1) | instid1(VALU_DEP_2)
	v_cndmask_b32_e64 v11, v11, v13, s0
	v_cndmask_b32_e64 v9, v9, v27, s0
	v_mov_b32_dpp v13, v11 row_xmask:7 row_mask:0xf bank_mask:0xf
	s_delay_alu instid0(VALU_DEP_2) | instskip(NEXT) | instid1(VALU_DEP_2)
	v_mov_b32_dpp v27, v9 row_xmask:7 row_mask:0xf bank_mask:0xf
	v_cmp_eq_f32_e64 s0, v11, v13
	s_delay_alu instid0(VALU_DEP_2) | instskip(SKIP_1) | instid1(VALU_DEP_2)
	v_cmp_lt_i32_e64 s1, v27, v9
	v_cmp_lt_f32_e64 s2, v11, v13
	s_and_b32 s0, s0, s1
	s_delay_alu instid0(VALU_DEP_1) | instid1(SALU_CYCLE_1)
	s_or_b32 s0, s2, s0
	s_delay_alu instid0(SALU_CYCLE_1) | instskip(SKIP_1) | instid1(VALU_DEP_2)
	v_cndmask_b32_e64 v11, v11, v13, s0
	v_cndmask_b32_e64 v13, v9, v27, s0
	v_mov_b32_dpp v9, v11 row_xmask:15 row_mask:0xf bank_mask:0xf
	s_delay_alu instid0(VALU_DEP_2) | instskip(NEXT) | instid1(VALU_DEP_2)
	v_mov_b32_dpp v27, v13 row_xmask:15 row_mask:0xf bank_mask:0xf
	v_cmp_eq_f32_e64 s0, v11, v9
	s_delay_alu instid0(VALU_DEP_2) | instskip(SKIP_1) | instid1(VALU_DEP_2)
	v_cmp_lt_i32_e64 s1, v27, v13
	v_cmp_lt_f32_e64 s2, v11, v9
	s_and_b32 s0, s0, s1
	s_delay_alu instid0(VALU_DEP_1) | instid1(SALU_CYCLE_1)
	s_or_b32 s0, s2, s0
	s_delay_alu instid0(SALU_CYCLE_1) | instskip(SKIP_1) | instid1(VALU_DEP_2)
	v_cndmask_b32_e64 v9, v11, v9, s0
	v_cndmask_b32_e64 v13, v13, v27, s0
	v_permlanex16_b32 v11, v9, s15, 0xfedcba98 op_sel:[1,1]
	s_delay_alu instid0(VALU_DEP_2) | instskip(NEXT) | instid1(VALU_DEP_2)
	v_permlanex16_b32 v27, v13, s15, 0xfedcba98 op_sel:[1,1]
	v_cmp_eq_f32_e64 s0, v9, v11
	s_delay_alu instid0(VALU_DEP_2) | instskip(SKIP_1) | instid1(VALU_DEP_2)
	v_cmp_lt_i32_e64 s1, v27, v13
	v_cmp_lt_f32_e64 s2, v9, v11
	s_and_b32 s0, s0, s1
	s_delay_alu instid0(VALU_DEP_1) | instid1(SALU_CYCLE_1)
	s_or_b32 s0, s2, s0
	s_delay_alu instid0(SALU_CYCLE_1)
	v_cndmask_b32_e64 v27, v13, v27, s0
	s_and_saveexec_b32 s2, vcc_lo
	s_cbranch_execz .LBB82_14
; %bb.13:                               ;   in Loop: Header=BB82_12 Depth=1
	v_cndmask_b32_e64 v9, v9, v11, s0
	s_delay_alu instid0(VALU_DEP_2) | instskip(SKIP_4) | instid1(VALU_DEP_4)
	v_cmp_le_i32_e64 s0, s5, v27
	v_cmp_gt_i32_e64 s1, s6, v27
	v_ashrrev_i32_e32 v13, 31, v12
	v_subrev_nc_u32_e32 v35, s5, v27
	v_sub_f32_e32 v34, v9, v17
	s_and_b32 s0, s0, s1
	s_delay_alu instid0(SALU_CYCLE_1) | instskip(NEXT) | instid1(VALU_DEP_1)
	s_and_b32 s0, s17, s0
	v_mul_f32_e32 v9, 0x3fb8aa3b, v34
	s_delay_alu instid0(VALU_DEP_1) | instskip(SKIP_1) | instid1(VALU_DEP_2)
	v_fma_f32 v11, 0x3fb8aa3b, v34, -v9
	v_rndne_f32_e32 v28, v9
	v_fmac_f32_e32 v11, 0x32a5705f, v34
	s_delay_alu instid0(VALU_DEP_2) | instskip(SKIP_2) | instid1(VALU_DEP_3)
	v_sub_f32_e32 v9, v9, v28
	v_cvt_i32_f32_e32 v33, v28
	v_lshlrev_b64 v[28:29], 2, v[12:13]
	v_add_f32_e32 v9, v9, v11
	v_ashrrev_i32_e32 v11, 31, v10
	s_delay_alu instid0(VALU_DEP_2) | instskip(SKIP_1) | instid1(VALU_DEP_2)
	v_exp_f32_e32 v32, v9
	v_ashrrev_i32_e32 v9, 31, v8
	v_lshlrev_b64 v[30:31], 2, v[10:11]
	s_waitcnt_depctr 0xfff
	v_ldexp_f32 v11, v32, v33
	v_lshlrev_b64 v[32:33], 2, v[8:9]
	v_cndmask_b32_e64 v9, 0x100, v35, s0
	v_cmp_ngt_f32_e64 s0, 0xc2ce8ed0, v34
	s_delay_alu instid0(VALU_DEP_1) | instskip(SKIP_1) | instid1(VALU_DEP_1)
	v_cndmask_b32_e64 v11, 0, v11, s0
	v_add_co_u32 v28, s0, s12, v28
	v_add_co_ci_u32_e64 v29, s0, s13, v29, s0
	v_cmp_nlt_f32_e64 s0, 0x42b17218, v34
	s_delay_alu instid0(VALU_DEP_1) | instskip(SKIP_2) | instid1(VALU_DEP_1)
	v_cndmask_b32_e64 v11, 0x7f800000, v11, s0
	s_waitcnt lgkmcnt(0)
	v_add_co_u32 v30, s0, s8, v30
	v_add_co_ci_u32_e64 v31, s0, s9, v31, s0
	s_delay_alu instid0(VALU_DEP_3) | instskip(SKIP_1) | instid1(VALU_DEP_1)
	v_add_f32_e32 v14, v14, v11
	v_add_co_u32 v32, s0, s10, v32
	v_add_co_ci_u32_e64 v33, s0, s11, v33, s0
	global_store_b32 v[28:29], v11, off
	global_store_b32 v[30:31], v9, off
	;; [unrolled: 1-line block ×3, first 2 shown]
.LBB82_14:                              ;   in Loop: Header=BB82_12 Depth=1
	s_or_b32 exec_lo, exec_lo, s2
	s_delay_alu instid0(VALU_DEP_1) | instskip(SKIP_1) | instid1(VALU_DEP_1)
	v_ashrrev_i32_e32 v9, 31, v27
	s_mov_b32 s1, exec_lo
	v_lshrrev_b32_e32 v11, 29, v9
	s_delay_alu instid0(VALU_DEP_1) | instskip(NEXT) | instid1(VALU_DEP_1)
	v_add_nc_u32_e32 v11, v27, v11
	v_ashrrev_i32_e32 v13, 31, v11
	v_ashrrev_i32_e32 v11, 3, v11
	s_delay_alu instid0(VALU_DEP_2) | instskip(NEXT) | instid1(VALU_DEP_1)
	v_lshrrev_b32_e32 v13, 27, v13
	v_add_nc_u32_e32 v13, v11, v13
	s_delay_alu instid0(VALU_DEP_1) | instskip(NEXT) | instid1(VALU_DEP_1)
	v_and_b32_e32 v13, 0xffffffe0, v13
	v_sub_nc_u32_e32 v13, v11, v13
	s_delay_alu instid0(VALU_DEP_1)
	v_cmpx_eq_u32_e64 v16, v13
	s_cbranch_execz .LBB82_11
; %bb.15:                               ;   in Loop: Header=BB82_12 Depth=1
	v_lshrrev_b32_e32 v9, 24, v9
	v_lshlrev_b32_e32 v11, 3, v11
	s_delay_alu instid0(VALU_DEP_2) | instskip(NEXT) | instid1(VALU_DEP_2)
	v_add_nc_u32_e32 v9, v27, v9
	v_sub_nc_u32_e32 v11, v27, v11
	s_delay_alu instid0(VALU_DEP_2) | instskip(NEXT) | instid1(VALU_DEP_1)
	v_ashrrev_i32_e32 v9, 8, v9
	v_lshl_add_u32 v9, v9, 3, v11
	s_delay_alu instid0(VALU_DEP_1) | instskip(NEXT) | instid1(VALU_DEP_1)
	v_cmp_ne_u32_e64 s0, 7, v9
	v_cndmask_b32_e64 v3, 0xff800000, v3, s0
	v_cmp_ne_u32_e64 s0, 6, v9
	s_delay_alu instid0(VALU_DEP_1) | instskip(SKIP_1) | instid1(VALU_DEP_1)
	v_cndmask_b32_e64 v2, 0xff800000, v2, s0
	v_cmp_ne_u32_e64 s0, 5, v9
	v_cndmask_b32_e64 v1, 0xff800000, v1, s0
	v_cmp_ne_u32_e64 s0, 4, v9
	s_delay_alu instid0(VALU_DEP_1) | instskip(SKIP_1) | instid1(VALU_DEP_1)
	v_cndmask_b32_e64 v0, 0xff800000, v0, s0
	;; [unrolled: 5-line block ×3, first 2 shown]
	v_cmp_ne_u32_e64 s0, 1, v9
	v_cndmask_b32_e64 v5, 0xff800000, v5, s0
	v_cmp_ne_u32_e64 s0, 0, v9
	s_delay_alu instid0(VALU_DEP_1)
	v_cndmask_b32_e64 v4, 0xff800000, v4, s0
	s_branch .LBB82_11
.LBB82_16:
	s_delay_alu instid0(VALU_DEP_1)
	v_sub_f32_e32 v7, v7, v17
	v_sub_f32_e32 v4, v4, v17
	;; [unrolled: 1-line block ×5, first 2 shown]
	v_mul_f32_e32 v11, 0x3fb8aa3b, v7
	v_dual_sub_f32 v5, v5, v17 :: v_dual_mul_f32 v8, 0x3fb8aa3b, v4
	v_cmp_ngt_f32_e32 vcc_lo, 0xc2ce8ed0, v4
	v_sub_f32_e32 v3, v3, v17
	s_delay_alu instid0(VALU_DEP_4) | instskip(NEXT) | instid1(VALU_DEP_4)
	v_rndne_f32_e32 v23, v11
	v_fma_f32 v12, 0x3fb8aa3b, v4, -v8
	v_rndne_f32_e32 v13, v8
	s_delay_alu instid0(VALU_DEP_2) | instskip(NEXT) | instid1(VALU_DEP_2)
	v_fmac_f32_e32 v12, 0x32a5705f, v4
	v_sub_f32_e32 v8, v8, v13
	s_delay_alu instid0(VALU_DEP_1) | instskip(NEXT) | instid1(VALU_DEP_1)
	v_dual_mul_f32 v9, 0x3fb8aa3b, v5 :: v_dual_add_f32 v8, v8, v12
	v_rndne_f32_e32 v19, v9
	v_sub_f32_e32 v6, v6, v17
	v_fma_f32 v18, 0x3fb8aa3b, v5, -v9
	v_cvt_i32_f32_e32 v12, v13
	v_exp_f32_e32 v8, v8
	s_delay_alu instid0(VALU_DEP_3) | instskip(SKIP_3) | instid1(VALU_DEP_4)
	v_dual_sub_f32 v9, v9, v19 :: v_dual_mul_f32 v10, 0x3fb8aa3b, v6
	v_fma_f32 v22, 0x3fb8aa3b, v7, -v11
	v_sub_f32_e32 v11, v11, v23
	v_cvt_i32_f32_e32 v13, v19
	v_fma_f32 v20, 0x3fb8aa3b, v6, -v10
	s_delay_alu instid0(VALU_DEP_4) | instskip(SKIP_1) | instid1(TRANS32_DEP_1)
	v_fmac_f32_e32 v22, 0x32a5705f, v7
	v_fmac_f32_e32 v18, 0x32a5705f, v5
	v_ldexp_f32 v8, v8, v12
	v_rndne_f32_e32 v21, v10
	s_delay_alu instid0(VALU_DEP_4) | instskip(NEXT) | instid1(VALU_DEP_3)
	v_add_f32_e32 v11, v11, v22
	v_dual_add_f32 v9, v9, v18 :: v_dual_cndmask_b32 v8, 0, v8
	v_cmp_ngt_f32_e32 vcc_lo, 0xc2ce8ed0, v5
	s_delay_alu instid0(VALU_DEP_4) | instskip(SKIP_1) | instid1(VALU_DEP_4)
	v_sub_f32_e32 v10, v10, v21
	v_cvt_i32_f32_e32 v12, v21
	v_exp_f32_e32 v9, v9
	v_exp_f32_e32 v11, v11
	s_waitcnt_depctr 0xfff
	v_ldexp_f32 v9, v9, v13
	v_fmac_f32_e32 v20, 0x32a5705f, v6
	v_mul_f32_e32 v13, 0x3fb8aa3b, v3
	s_delay_alu instid0(VALU_DEP_3) | instskip(SKIP_1) | instid1(VALU_DEP_3)
	v_cndmask_b32_e32 v9, 0, v9, vcc_lo
	v_cmp_nlt_f32_e32 vcc_lo, 0x42b17218, v4
	v_rndne_f32_e32 v17, v13
	v_cndmask_b32_e32 v4, 0x7f800000, v8, vcc_lo
	v_cmp_nlt_f32_e32 vcc_lo, 0x42b17218, v5
	v_dual_add_f32 v10, v10, v20 :: v_dual_cndmask_b32 v5, 0x7f800000, v9
	s_delay_alu instid0(VALU_DEP_1) | instskip(SKIP_2) | instid1(VALU_DEP_3)
	v_exp_f32_e32 v10, v10
	v_cmp_ngt_f32_e32 vcc_lo, 0xc2ce8ed0, v6
	v_cvt_i32_f32_e32 v9, v23
	v_add_f32_e32 v4, v4, v5
	s_waitcnt_depctr 0xfff
	v_ldexp_f32 v10, v10, v12
	s_delay_alu instid0(VALU_DEP_1) | instskip(SKIP_2) | instid1(VALU_DEP_3)
	v_cndmask_b32_e32 v8, 0, v10, vcc_lo
	v_cmp_nlt_f32_e32 vcc_lo, 0x42b17218, v6
	v_mul_f32_e32 v10, 0x3fb8aa3b, v2
	v_cndmask_b32_e32 v5, 0x7f800000, v8, vcc_lo
	v_ldexp_f32 v8, v11, v9
	v_cmp_ngt_f32_e32 vcc_lo, 0xc2ce8ed0, v7
	s_delay_alu instid0(VALU_DEP_4)
	v_fma_f32 v11, 0x3fb8aa3b, v2, -v10
	v_rndne_f32_e32 v12, v10
	v_add_f32_e32 v4, v4, v5
	v_cndmask_b32_e32 v8, 0, v8, vcc_lo
	v_cmp_nlt_f32_e32 vcc_lo, 0x42b17218, v7
	v_fmac_f32_e32 v11, 0x32a5705f, v2
	s_delay_alu instid0(VALU_DEP_3) | instskip(SKIP_3) | instid1(VALU_DEP_4)
	v_cndmask_b32_e32 v7, 0x7f800000, v8, vcc_lo
	v_mul_f32_e32 v6, 0x3fb8aa3b, v0
	v_mul_f32_e32 v8, 0x3fb8aa3b, v1
	v_cmp_ngt_f32_e32 vcc_lo, 0xc2ce8ed0, v0
	v_add_f32_e32 v4, v4, v7
	s_delay_alu instid0(VALU_DEP_4) | instskip(SKIP_2) | instid1(VALU_DEP_2)
	v_fma_f32 v5, 0x3fb8aa3b, v0, -v6
	v_rndne_f32_e32 v9, v6
	v_rndne_f32_e32 v7, v8
	v_dual_fmac_f32 v5, 0x32a5705f, v0 :: v_dual_sub_f32 v6, v6, v9
	v_cvt_i32_f32_e32 v9, v9
	s_delay_alu instid0(VALU_DEP_2) | instskip(SKIP_3) | instid1(VALU_DEP_4)
	v_add_f32_e32 v5, v6, v5
	v_fma_f32 v6, 0x3fb8aa3b, v1, -v8
	v_sub_f32_e32 v8, v8, v7
	v_cvt_i32_f32_e32 v7, v7
	v_exp_f32_e32 v5, v5
	s_delay_alu instid0(VALU_DEP_3) | instskip(NEXT) | instid1(VALU_DEP_1)
	v_fmac_f32_e32 v6, 0x32a5705f, v1
	v_add_f32_e32 v6, v8, v6
	v_sub_f32_e32 v8, v10, v12
	v_fma_f32 v10, 0x3fb8aa3b, v3, -v13
	s_waitcnt_depctr 0xfff
	v_ldexp_f32 v5, v5, v9
	v_exp_f32_e32 v6, v6
	v_add_f32_e32 v8, v8, v11
	v_dual_fmac_f32 v10, 0x32a5705f, v3 :: v_dual_sub_f32 v9, v13, v17
	s_delay_alu instid0(VALU_DEP_3) | instskip(SKIP_1) | instid1(VALU_DEP_4)
	v_cndmask_b32_e32 v5, 0, v5, vcc_lo
	v_cmp_nlt_f32_e32 vcc_lo, 0x42b17218, v0
	v_exp_f32_e32 v8, v8
	s_delay_alu instid0(VALU_DEP_3) | instskip(NEXT) | instid1(TRANS32_DEP_2)
	v_add_f32_e32 v9, v9, v10
	v_ldexp_f32 v6, v6, v7
	v_cndmask_b32_e32 v0, 0x7f800000, v5, vcc_lo
	v_cmp_ngt_f32_e32 vcc_lo, 0xc2ce8ed0, v1
	v_cvt_i32_f32_e32 v5, v12
	v_exp_f32_e32 v7, v9
	s_delay_alu instid0(VALU_DEP_3) | instskip(SKIP_4) | instid1(VALU_DEP_4)
	v_add_f32_e32 v0, v4, v0
	v_cndmask_b32_e32 v6, 0, v6, vcc_lo
	v_cmp_nlt_f32_e32 vcc_lo, 0x42b17218, v1
	v_ldexp_f32 v4, v8, v5
	v_cvt_i32_f32_e32 v5, v17
	v_cndmask_b32_e32 v1, 0x7f800000, v6, vcc_lo
	v_cmp_ngt_f32_e32 vcc_lo, 0xc2ce8ed0, v2
	s_delay_alu instid0(TRANS32_DEP_1) | instid1(VALU_DEP_3)
	v_ldexp_f32 v5, v7, v5
	s_delay_alu instid0(VALU_DEP_3) | instskip(SKIP_2) | instid1(VALU_DEP_2)
	v_add_f32_e32 v0, v0, v1
	v_cndmask_b32_e32 v4, 0, v4, vcc_lo
	v_cmp_nlt_f32_e32 vcc_lo, 0x42b17218, v2
	v_cndmask_b32_e32 v1, 0x7f800000, v4, vcc_lo
	v_cmp_ngt_f32_e32 vcc_lo, 0xc2ce8ed0, v3
	s_delay_alu instid0(VALU_DEP_2) | instskip(SKIP_2) | instid1(VALU_DEP_2)
	v_add_f32_e32 v0, v0, v1
	v_cndmask_b32_e32 v2, 0, v5, vcc_lo
	v_cmp_nlt_f32_e32 vcc_lo, 0x42b17218, v3
	v_cndmask_b32_e32 v1, 0x7f800000, v2, vcc_lo
	v_cmp_eq_u32_e32 vcc_lo, 0, v16
	s_delay_alu instid0(VALU_DEP_2) | instskip(NEXT) | instid1(VALU_DEP_1)
	v_add_f32_e32 v0, v0, v1
	v_mov_b32_dpp v1, v0 quad_perm:[1,0,3,2] row_mask:0xf bank_mask:0xf
	s_delay_alu instid0(VALU_DEP_1) | instskip(NEXT) | instid1(VALU_DEP_1)
	v_add_f32_e32 v0, v0, v1
	v_mov_b32_dpp v1, v0 quad_perm:[2,3,0,1] row_mask:0xf bank_mask:0xf
	s_delay_alu instid0(VALU_DEP_1) | instskip(NEXT) | instid1(VALU_DEP_1)
	v_add_f32_e32 v0, v0, v1
	v_mov_b32_dpp v1, v0 row_xmask:7 row_mask:0xf bank_mask:0xf
	s_delay_alu instid0(VALU_DEP_1) | instskip(NEXT) | instid1(VALU_DEP_1)
	v_add_f32_e32 v0, v0, v1
	v_mov_b32_dpp v1, v0 row_xmask:15 row_mask:0xf bank_mask:0xf
	s_and_b32 exec_lo, exec_lo, vcc_lo
	s_cbranch_execz .LBB82_21
; %bb.17:
	s_delay_alu instid0(VALU_DEP_1)
	v_add_f32_e32 v0, v0, v1
	s_mov_b32 s0, 0x76543210
	s_delay_alu instid0(VALU_DEP_1) | instid1(SALU_CYCLE_1)
	v_permlanex16_b32 v1, v0, s0, 0xfedcba98 op_sel:[1,1]
	s_delay_alu instid0(VALU_DEP_1) | instskip(NEXT) | instid1(VALU_DEP_1)
	v_add_f32_e32 v0, v0, v1
	v_add_f32_e32 v0, v14, v0
	s_delay_alu instid0(VALU_DEP_1)
	v_cmp_neq_f32_e32 vcc_lo, 0, v0
	s_and_b32 exec_lo, exec_lo, vcc_lo
	s_cbranch_execz .LBB82_21
; %bb.18:
	s_and_not1_b32 vcc_lo, exec_lo, s3
	s_cbranch_vccnz .LBB82_21
; %bb.19:
	v_div_scale_f32 v2, null, v0, v0, 1.0
	v_div_scale_f32 v4, vcc_lo, 1.0, v0, 1.0
	s_delay_alu instid0(VALU_DEP_2) | instskip(SKIP_2) | instid1(VALU_DEP_1)
	v_rcp_f32_e32 v3, v2
	s_waitcnt_depctr 0xfff
	v_fma_f32 v1, -v2, v3, 1.0
	v_fmac_f32_e32 v3, v1, v3
	v_mul_lo_u32 v1, v15, s7
	s_delay_alu instid0(VALU_DEP_2) | instskip(NEXT) | instid1(VALU_DEP_1)
	v_mul_f32_e32 v5, v4, v3
	v_fma_f32 v6, -v2, v5, v4
	s_delay_alu instid0(VALU_DEP_1) | instskip(NEXT) | instid1(VALU_DEP_1)
	v_fmac_f32_e32 v5, v6, v3
	v_fma_f32 v4, -v2, v5, v4
	v_ashrrev_i32_e32 v2, 31, v1
	s_delay_alu instid0(VALU_DEP_2) | instskip(NEXT) | instid1(VALU_DEP_2)
	v_div_fmas_f32 v5, v4, v3, v5
	v_lshlrev_b64 v[3:4], 2, v[1:2]
	s_delay_alu instid0(VALU_DEP_2) | instskip(NEXT) | instid1(VALU_DEP_2)
	v_div_fixup_f32 v2, v5, v0, 1.0
	v_add_co_u32 v0, vcc_lo, s12, v3
	s_delay_alu instid0(VALU_DEP_3)
	v_add_co_ci_u32_e32 v1, vcc_lo, s13, v4, vcc_lo
.LBB82_20:                              ; =>This Inner Loop Header: Depth=1
	global_load_b32 v3, v[0:1], off
	s_add_i32 s4, s4, -1
	s_delay_alu instid0(SALU_CYCLE_1)
	s_cmp_lg_u32 s4, 0
	s_waitcnt vmcnt(0)
	v_mul_f32_e32 v3, v2, v3
	global_store_b32 v[0:1], v3, off
	v_add_co_u32 v0, vcc_lo, v0, 4
	v_add_co_ci_u32_e32 v1, vcc_lo, 0, v1, vcc_lo
	s_cbranch_scc1 .LBB82_20
.LBB82_21:
	s_nop 0
	s_sendmsg sendmsg(MSG_DEALLOC_VGPRS)
	s_endpgm
	.section	.rodata,"a",@progbits
	.p2align	6, 0x0
	.amdhsa_kernel _ZN4vllm3moe17topkGatingSoftmaxIfLi8ELi256ELi8ELi32ELb0ELi0ELNS0_23SharedExpertScoringFuncE0EEEvPKT_PKbPfiPiS9_iiiiii
		.amdhsa_group_segment_fixed_size 0
		.amdhsa_private_segment_fixed_size 0
		.amdhsa_kernarg_size 72
		.amdhsa_user_sgpr_count 15
		.amdhsa_user_sgpr_dispatch_ptr 0
		.amdhsa_user_sgpr_queue_ptr 0
		.amdhsa_user_sgpr_kernarg_segment_ptr 1
		.amdhsa_user_sgpr_dispatch_id 0
		.amdhsa_user_sgpr_private_segment_size 0
		.amdhsa_wavefront_size32 1
		.amdhsa_uses_dynamic_stack 0
		.amdhsa_enable_private_segment 0
		.amdhsa_system_sgpr_workgroup_id_x 1
		.amdhsa_system_sgpr_workgroup_id_y 0
		.amdhsa_system_sgpr_workgroup_id_z 0
		.amdhsa_system_sgpr_workgroup_info 0
		.amdhsa_system_vgpr_workitem_id 1
		.amdhsa_next_free_vgpr 37
		.amdhsa_next_free_sgpr 19
		.amdhsa_reserve_vcc 1
		.amdhsa_float_round_mode_32 0
		.amdhsa_float_round_mode_16_64 0
		.amdhsa_float_denorm_mode_32 3
		.amdhsa_float_denorm_mode_16_64 3
		.amdhsa_dx10_clamp 1
		.amdhsa_ieee_mode 1
		.amdhsa_fp16_overflow 0
		.amdhsa_workgroup_processor_mode 1
		.amdhsa_memory_ordered 1
		.amdhsa_forward_progress 0
		.amdhsa_shared_vgpr_count 0
		.amdhsa_exception_fp_ieee_invalid_op 0
		.amdhsa_exception_fp_denorm_src 0
		.amdhsa_exception_fp_ieee_div_zero 0
		.amdhsa_exception_fp_ieee_overflow 0
		.amdhsa_exception_fp_ieee_underflow 0
		.amdhsa_exception_fp_ieee_inexact 0
		.amdhsa_exception_int_div_zero 0
	.end_amdhsa_kernel
	.section	.text._ZN4vllm3moe17topkGatingSoftmaxIfLi8ELi256ELi8ELi32ELb0ELi0ELNS0_23SharedExpertScoringFuncE0EEEvPKT_PKbPfiPiS9_iiiiii,"axG",@progbits,_ZN4vllm3moe17topkGatingSoftmaxIfLi8ELi256ELi8ELi32ELb0ELi0ELNS0_23SharedExpertScoringFuncE0EEEvPKT_PKbPfiPiS9_iiiiii,comdat
.Lfunc_end82:
	.size	_ZN4vllm3moe17topkGatingSoftmaxIfLi8ELi256ELi8ELi32ELb0ELi0ELNS0_23SharedExpertScoringFuncE0EEEvPKT_PKbPfiPiS9_iiiiii, .Lfunc_end82-_ZN4vllm3moe17topkGatingSoftmaxIfLi8ELi256ELi8ELi32ELb0ELi0ELNS0_23SharedExpertScoringFuncE0EEEvPKT_PKbPfiPiS9_iiiiii
                                        ; -- End function
	.section	.AMDGPU.csdata,"",@progbits
; Kernel info:
; codeLenInByte = 3904
; NumSgprs: 21
; NumVgprs: 37
; ScratchSize: 0
; MemoryBound: 0
; FloatMode: 240
; IeeeMode: 1
; LDSByteSize: 0 bytes/workgroup (compile time only)
; SGPRBlocks: 2
; VGPRBlocks: 4
; NumSGPRsForWavesPerEU: 21
; NumVGPRsForWavesPerEU: 37
; Occupancy: 16
; WaveLimiterHint : 0
; COMPUTE_PGM_RSRC2:SCRATCH_EN: 0
; COMPUTE_PGM_RSRC2:USER_SGPR: 15
; COMPUTE_PGM_RSRC2:TRAP_HANDLER: 0
; COMPUTE_PGM_RSRC2:TGID_X_EN: 1
; COMPUTE_PGM_RSRC2:TGID_Y_EN: 0
; COMPUTE_PGM_RSRC2:TGID_Z_EN: 0
; COMPUTE_PGM_RSRC2:TIDIG_COMP_CNT: 1
	.section	.text._ZN4vllm3moe17topkGatingSoftmaxIfLi8ELi256ELi8ELi32ELb1ELi1ELNS0_23SharedExpertScoringFuncE1EEEvPKT_PKbPfiPiS9_iiiiii,"axG",@progbits,_ZN4vllm3moe17topkGatingSoftmaxIfLi8ELi256ELi8ELi32ELb1ELi1ELNS0_23SharedExpertScoringFuncE1EEEvPKT_PKbPfiPiS9_iiiiii,comdat
	.protected	_ZN4vllm3moe17topkGatingSoftmaxIfLi8ELi256ELi8ELi32ELb1ELi1ELNS0_23SharedExpertScoringFuncE1EEEvPKT_PKbPfiPiS9_iiiiii ; -- Begin function _ZN4vllm3moe17topkGatingSoftmaxIfLi8ELi256ELi8ELi32ELb1ELi1ELNS0_23SharedExpertScoringFuncE1EEEvPKT_PKbPfiPiS9_iiiiii
	.globl	_ZN4vllm3moe17topkGatingSoftmaxIfLi8ELi256ELi8ELi32ELb1ELi1ELNS0_23SharedExpertScoringFuncE1EEEvPKT_PKbPfiPiS9_iiiiii
	.p2align	8
	.type	_ZN4vllm3moe17topkGatingSoftmaxIfLi8ELi256ELi8ELi32ELb1ELi1ELNS0_23SharedExpertScoringFuncE1EEEvPKT_PKbPfiPiS9_iiiiii,@function
_ZN4vllm3moe17topkGatingSoftmaxIfLi8ELi256ELi8ELi32ELb1ELi1ELNS0_23SharedExpertScoringFuncE1EEEvPKT_PKbPfiPiS9_iiiiii: ; @_ZN4vllm3moe17topkGatingSoftmaxIfLi8ELi256ELi8ELi32ELb1ELi1ELNS0_23SharedExpertScoringFuncE1EEEvPKT_PKbPfiPiS9_iiiiii
; %bb.0:
	s_load_b32 s16, s[0:1], 0x18
	v_and_b32_e32 v1, 0x3ff, v0
	v_bfe_u32 v26, v0, 10, 10
	s_lshl_b32 s18, s15, 3
	s_mov_b32 s2, exec_lo
	s_delay_alu instid0(VALU_DEP_2) | instskip(NEXT) | instid1(VALU_DEP_1)
	v_lshrrev_b32_e32 v25, 5, v1
	v_add3_u32 v15, s18, v26, v25
	s_waitcnt lgkmcnt(0)
	s_delay_alu instid0(VALU_DEP_1)
	v_cmpx_gt_i32_e64 s16, v15
	s_cbranch_execz .LBB83_22
; %bb.1:
	s_clause 0x1
	s_load_b128 s[4:7], s[0:1], 0x0
	s_load_b64 s[12:13], s[0:1], 0x10
	s_waitcnt lgkmcnt(0)
	s_cmp_eq_u64 s[6:7], 0
	s_cbranch_scc1 .LBB83_3
; %bb.2:
	v_ashrrev_i32_e32 v0, 31, v15
	v_add_co_u32 v2, vcc_lo, s6, v15
	s_delay_alu instid0(VALU_DEP_2) | instskip(SKIP_3) | instid1(VALU_DEP_1)
	v_add_co_ci_u32_e32 v3, vcc_lo, s7, v0, vcc_lo
	global_load_u8 v0, v[2:3], off
	s_waitcnt vmcnt(0)
	v_and_b32_e32 v0, 1, v0
	v_cmp_eq_u32_e32 vcc_lo, 1, v0
	s_xor_b32 s2, vcc_lo, -1
	s_delay_alu instid0(SALU_CYCLE_1)
	s_or_not1_b32 s17, s2, exec_lo
	s_branch .LBB83_4
.LBB83_3:
	s_mov_b32 s17, -1
.LBB83_4:
	s_clause 0x1
	s_load_b64 s[14:15], s[0:1], 0x40
	s_load_b128 s[8:11], s[0:1], 0x30
	v_and_b32_e32 v16, 31, v1
	s_delay_alu instid0(VALU_DEP_1) | instskip(SKIP_3) | instid1(VALU_DEP_1)
	v_dual_mov_b32 v14, 0 :: v_dual_lshlrev_b32 v17, 3, v16
	v_cmp_eq_u32_e64 s2, 0, v16
	s_waitcnt lgkmcnt(0)
	v_mul_lo_u32 v2, v15, s15
	v_ashrrev_i32_e32 v3, 31, v2
	s_delay_alu instid0(VALU_DEP_1) | instskip(SKIP_1) | instid1(VALU_DEP_2)
	v_lshlrev_b64 v[0:1], 2, v[2:3]
	v_lshlrev_b32_e32 v2, 5, v16
	v_add_co_u32 v8, vcc_lo, s4, v0
	s_delay_alu instid0(VALU_DEP_3) | instskip(NEXT) | instid1(VALU_DEP_2)
	v_add_co_ci_u32_e32 v9, vcc_lo, s5, v1, vcc_lo
	v_add_co_u32 v4, vcc_lo, v8, v2
	s_delay_alu instid0(VALU_DEP_2)
	v_add_co_ci_u32_e32 v5, vcc_lo, 0, v9, vcc_lo
	s_clause 0x1
	global_load_b128 v[0:3], v[4:5], off offset:16
	global_load_b128 v[4:7], v[4:5], off
	s_and_saveexec_b32 s3, s2
	s_cbranch_execz .LBB83_6
; %bb.5:
	global_load_b32 v8, v[8:9], off offset:1024
	s_waitcnt vmcnt(0)
	v_mul_f32_e32 v9, 0xbfb8aa3b, v8
	v_cmp_nlt_f32_e32 vcc_lo, 0x42ce8ed0, v8
	s_delay_alu instid0(VALU_DEP_2) | instskip(SKIP_1) | instid1(VALU_DEP_2)
	v_rndne_f32_e32 v10, v9
	v_fma_f32 v11, 0xbfb8aa3b, v8, -v9
	v_sub_f32_e32 v9, v9, v10
	s_delay_alu instid0(VALU_DEP_2) | instskip(SKIP_1) | instid1(VALU_DEP_2)
	v_fmamk_f32 v11, v8, 0xb2a5705f, v11
	v_cvt_i32_f32_e32 v10, v10
	v_add_f32_e32 v9, v9, v11
	s_delay_alu instid0(VALU_DEP_1) | instskip(SKIP_2) | instid1(VALU_DEP_1)
	v_exp_f32_e32 v9, v9
	s_waitcnt_depctr 0xfff
	v_ldexp_f32 v9, v9, v10
	v_cndmask_b32_e32 v9, 0, v9, vcc_lo
	v_cmp_ngt_f32_e32 vcc_lo, 0xc2b17218, v8
	s_delay_alu instid0(VALU_DEP_2) | instskip(NEXT) | instid1(VALU_DEP_1)
	v_cndmask_b32_e32 v8, 0x7f800000, v9, vcc_lo
	v_add_f32_e32 v10, 1.0, v8
	s_delay_alu instid0(VALU_DEP_1) | instskip(SKIP_1) | instid1(VALU_DEP_2)
	v_div_scale_f32 v11, null, v10, v10, 1.0
	v_div_scale_f32 v13, vcc_lo, 1.0, v10, 1.0
	v_rcp_f32_e32 v12, v11
	s_waitcnt_depctr 0xfff
	v_fma_f32 v8, -v11, v12, 1.0
	s_delay_alu instid0(VALU_DEP_1) | instskip(SKIP_1) | instid1(VALU_DEP_2)
	v_fmac_f32_e32 v12, v8, v12
	v_mad_u64_u32 v[8:9], null, v15, s11, s[8:9]
	v_mul_f32_e32 v18, v13, v12
	s_delay_alu instid0(VALU_DEP_2) | instskip(NEXT) | instid1(VALU_DEP_2)
	v_ashrrev_i32_e32 v9, 31, v8
	v_fma_f32 v19, -v11, v18, v13
	s_delay_alu instid0(VALU_DEP_2) | instskip(NEXT) | instid1(VALU_DEP_2)
	v_lshlrev_b64 v[8:9], 2, v[8:9]
	v_fmac_f32_e32 v18, v19, v12
	s_delay_alu instid0(VALU_DEP_1) | instskip(NEXT) | instid1(VALU_DEP_1)
	v_fma_f32 v11, -v11, v18, v13
	v_div_fmas_f32 v11, v11, v12, v18
	s_delay_alu instid0(VALU_DEP_4) | instskip(SKIP_1) | instid1(VALU_DEP_3)
	v_add_co_u32 v8, vcc_lo, s12, v8
	v_add_co_ci_u32_e32 v9, vcc_lo, s13, v9, vcc_lo
	v_div_fixup_f32 v10, v11, v10, 1.0
	global_store_b32 v[8:9], v10, off
.LBB83_6:
	s_or_b32 exec_lo, exec_lo, s3
	v_or_b32_e32 v18, 1, v17
	s_waitcnt vmcnt(0)
	v_cmp_lt_f32_e32 vcc_lo, v4, v5
	v_or_b32_e32 v19, 2, v17
	v_or_b32_e32 v20, 3, v17
	;; [unrolled: 1-line block ×4, first 2 shown]
	v_dual_cndmask_b32 v8, v17, v18 :: v_dual_cndmask_b32 v9, v4, v5
	v_or_b32_e32 v23, 6, v17
	v_or_b32_e32 v24, 7, v17
	s_delay_alu instid0(VALU_DEP_3) | instskip(NEXT) | instid1(VALU_DEP_4)
	v_cmp_lt_f32_e32 vcc_lo, v9, v6
	v_dual_cndmask_b32 v8, v8, v19 :: v_dual_cndmask_b32 v9, v9, v6
	s_delay_alu instid0(VALU_DEP_1) | instskip(NEXT) | instid1(VALU_DEP_2)
	v_cmp_lt_f32_e32 vcc_lo, v9, v7
	v_dual_cndmask_b32 v8, v8, v20 :: v_dual_cndmask_b32 v9, v9, v7
	s_delay_alu instid0(VALU_DEP_1) | instskip(NEXT) | instid1(VALU_DEP_2)
	;; [unrolled: 3-line block ×6, first 2 shown]
	v_mov_b32_dpp v10, v8 quad_perm:[1,0,3,2] row_mask:0xf bank_mask:0xf
	v_mov_b32_dpp v11, v9 quad_perm:[1,0,3,2] row_mask:0xf bank_mask:0xf
	s_delay_alu instid0(VALU_DEP_2) | instskip(NEXT) | instid1(VALU_DEP_2)
	v_cmp_lt_i32_e32 vcc_lo, v10, v8
	v_cmp_eq_f32_e64 s3, v9, v11
	v_cmp_lt_f32_e64 s4, v9, v11
	s_delay_alu instid0(VALU_DEP_2)
	s_and_b32 s3, s3, vcc_lo
	s_delay_alu instid0(VALU_DEP_1) | instid1(SALU_CYCLE_1)
	s_or_b32 vcc_lo, s4, s3
	v_dual_cndmask_b32 v9, v9, v11 :: v_dual_cndmask_b32 v8, v8, v10
	s_delay_alu instid0(VALU_DEP_1) | instskip(NEXT) | instid1(VALU_DEP_2)
	v_mov_b32_dpp v10, v9 quad_perm:[2,3,0,1] row_mask:0xf bank_mask:0xf
	v_mov_b32_dpp v11, v8 quad_perm:[2,3,0,1] row_mask:0xf bank_mask:0xf
	s_delay_alu instid0(VALU_DEP_2) | instskip(NEXT) | instid1(VALU_DEP_2)
	v_cmp_eq_f32_e32 vcc_lo, v9, v10
	v_cmp_lt_i32_e64 s3, v11, v8
	v_cmp_lt_f32_e64 s4, v9, v10
	s_delay_alu instid0(VALU_DEP_2)
	s_and_b32 s3, vcc_lo, s3
	s_delay_alu instid0(VALU_DEP_1) | instid1(SALU_CYCLE_1)
	s_or_b32 vcc_lo, s4, s3
	v_dual_cndmask_b32 v9, v9, v10 :: v_dual_cndmask_b32 v10, v8, v11
	s_delay_alu instid0(VALU_DEP_1) | instskip(NEXT) | instid1(VALU_DEP_2)
	v_mov_b32_dpp v8, v9 row_xmask:7 row_mask:0xf bank_mask:0xf
	v_mov_b32_dpp v11, v10 row_xmask:7 row_mask:0xf bank_mask:0xf
	s_delay_alu instid0(VALU_DEP_2) | instskip(NEXT) | instid1(VALU_DEP_2)
	v_cmp_eq_f32_e32 vcc_lo, v9, v8
	v_cmp_lt_i32_e64 s3, v11, v10
	v_cmp_lt_f32_e64 s4, v9, v8
	s_delay_alu instid0(VALU_DEP_2)
	s_and_b32 s3, vcc_lo, s3
	s_delay_alu instid0(VALU_DEP_1) | instid1(SALU_CYCLE_1)
	s_or_b32 vcc_lo, s4, s3
	s_cmp_gt_i32 s8, 0
	v_dual_cndmask_b32 v8, v9, v8 :: v_dual_cndmask_b32 v9, v10, v11
	s_cselect_b32 s15, -1, 0
	s_delay_alu instid0(SALU_CYCLE_1) | instskip(NEXT) | instid1(VALU_DEP_1)
	s_and_b32 vcc_lo, exec_lo, s15
	v_mov_b32_dpp v10, v8 row_xmask:15 row_mask:0xf bank_mask:0xf
	s_delay_alu instid0(VALU_DEP_2) | instskip(NEXT) | instid1(VALU_DEP_2)
	v_mov_b32_dpp v11, v9 row_xmask:15 row_mask:0xf bank_mask:0xf
	v_cmp_lt_f32_e64 s3, v8, v10
	v_cmp_eq_f32_e64 s4, v8, v10
	s_delay_alu instid0(VALU_DEP_3)
	v_cmp_lt_i32_e64 s5, v11, v9
	s_cbranch_vccz .LBB83_18
; %bb.7:
	s_delay_alu instid0(VALU_DEP_1)
	s_and_b32 s4, s4, s5
	v_mul_lo_u32 v13, v15, s8
	s_or_b32 vcc_lo, s3, s4
	s_mov_b32 s3, 0x76543210
	v_cndmask_b32_e32 v10, v8, v10, vcc_lo
	s_load_b128 s[4:7], s[0:1], 0x20
	s_delay_alu instid0(VALU_DEP_1) | instskip(SKIP_3) | instid1(VALU_DEP_4)
	v_permlanex16_b32 v12, v10, s3, 0xfedcba98 op_sel:[1,1]
	v_cndmask_b32_e32 v8, v9, v11, vcc_lo
	v_mul_lo_u32 v9, v15, s11
	v_mul_lo_u32 v11, v15, s14
	v_cmp_eq_f32_e32 vcc_lo, v10, v12
	s_delay_alu instid0(VALU_DEP_4) | instskip(SKIP_1) | instid1(VALU_DEP_2)
	v_permlanex16_b32 v14, v8, s3, 0xfedcba98 op_sel:[1,1]
	v_cmp_lt_f32_e64 s1, v10, v12
	v_cmp_lt_i32_e64 s0, v14, v8
	s_delay_alu instid0(VALU_DEP_1)
	s_and_b32 s0, vcc_lo, s0
	s_delay_alu instid0(VALU_DEP_2) | instid1(SALU_CYCLE_1)
	s_or_b32 vcc_lo, s1, s0
	v_dual_cndmask_b32 v27, v10, v12 :: v_dual_cndmask_b32 v8, v8, v14
	v_mov_b32_e32 v14, 0
	s_and_saveexec_b32 s1, s2
	s_cbranch_execz .LBB83_9
; %bb.8:
	s_delay_alu instid0(VALU_DEP_2)
	v_sub_f32_e32 v34, v27, v27
	v_cmp_le_i32_e32 vcc_lo, s9, v8
	v_cmp_gt_i32_e64 s0, s10, v8
	v_subrev_nc_u32_e32 v35, s9, v8
	v_ashrrev_i32_e32 v14, 31, v13
	v_mul_f32_e32 v10, 0x3fb8aa3b, v34
	s_delay_alu instid0(VALU_DEP_4) | instskip(NEXT) | instid1(SALU_CYCLE_1)
	s_and_b32 s0, vcc_lo, s0
	s_and_b32 vcc_lo, s17, s0
	s_delay_alu instid0(VALU_DEP_1) | instskip(SKIP_2) | instid1(VALU_DEP_3)
	v_rndne_f32_e32 v30, v10
	v_fma_f32 v12, 0x3fb8aa3b, v34, -v10
	v_lshlrev_b64 v[32:33], 2, v[13:14]
	v_sub_f32_e32 v10, v10, v30
	s_delay_alu instid0(VALU_DEP_3) | instskip(NEXT) | instid1(VALU_DEP_1)
	v_fmamk_f32 v12, v34, 0x32a5705f, v12
	v_add_f32_e32 v12, v10, v12
	v_ashrrev_i32_e32 v10, 31, v9
	s_delay_alu instid0(VALU_DEP_2) | instskip(NEXT) | instid1(VALU_DEP_1)
	v_exp_f32_e32 v36, v12
	v_lshlrev_b64 v[28:29], 2, v[9:10]
	v_ashrrev_i32_e32 v12, 31, v11
	v_cvt_i32_f32_e32 v10, v30
	s_delay_alu instid0(VALU_DEP_2) | instskip(SKIP_3) | instid1(TRANS32_DEP_1)
	v_lshlrev_b64 v[30:31], 2, v[11:12]
	v_cndmask_b32_e32 v12, 0x100, v35, vcc_lo
	v_add_co_u32 v28, vcc_lo, s12, v28
	v_add_co_ci_u32_e32 v29, vcc_lo, s13, v29, vcc_lo
	v_ldexp_f32 v10, v36, v10
	v_cmp_ngt_f32_e32 vcc_lo, 0xc2ce8ed0, v34
	s_delay_alu instid0(VALU_DEP_2)
	v_cndmask_b32_e32 v10, 0, v10, vcc_lo
	s_waitcnt lgkmcnt(0)
	v_add_co_u32 v30, vcc_lo, s4, v30
	v_add_co_ci_u32_e32 v31, vcc_lo, s5, v31, vcc_lo
	v_cmp_nlt_f32_e32 vcc_lo, 0x42b17218, v34
	v_cndmask_b32_e32 v14, 0x7f800000, v10, vcc_lo
	v_add_co_u32 v32, vcc_lo, s6, v32
	v_add_co_ci_u32_e32 v33, vcc_lo, s7, v33, vcc_lo
	global_store_b32 v[30:31], v12, off
	global_store_b32 v[28:29], v14, off
	;; [unrolled: 1-line block ×3, first 2 shown]
.LBB83_9:
	s_or_b32 exec_lo, exec_lo, s1
	v_ashrrev_i32_e32 v10, 31, v8
	s_mov_b32 s0, exec_lo
	s_delay_alu instid0(VALU_DEP_1) | instskip(NEXT) | instid1(VALU_DEP_1)
	v_lshrrev_b32_e32 v12, 29, v10
	v_add_nc_u32_e32 v12, v8, v12
	s_delay_alu instid0(VALU_DEP_1) | instskip(SKIP_1) | instid1(VALU_DEP_2)
	v_ashrrev_i32_e32 v28, 31, v12
	v_ashrrev_i32_e32 v12, 3, v12
	v_lshrrev_b32_e32 v28, 27, v28
	s_delay_alu instid0(VALU_DEP_1) | instskip(NEXT) | instid1(VALU_DEP_1)
	v_add_nc_u32_e32 v28, v12, v28
	v_and_b32_e32 v28, 0xffffffe0, v28
	s_delay_alu instid0(VALU_DEP_1) | instskip(NEXT) | instid1(VALU_DEP_1)
	v_sub_nc_u32_e32 v28, v12, v28
	v_cmpx_eq_u32_e64 v16, v28
	s_cbranch_execz .LBB83_11
; %bb.10:
	v_lshrrev_b32_e32 v10, 24, v10
	v_lshlrev_b32_e32 v12, 3, v12
	s_delay_alu instid0(VALU_DEP_2) | instskip(NEXT) | instid1(VALU_DEP_2)
	v_add_nc_u32_e32 v10, v8, v10
	v_sub_nc_u32_e32 v8, v8, v12
	s_delay_alu instid0(VALU_DEP_2) | instskip(NEXT) | instid1(VALU_DEP_1)
	v_ashrrev_i32_e32 v10, 8, v10
	v_lshl_add_u32 v8, v10, 3, v8
	s_delay_alu instid0(VALU_DEP_1)
	v_cmp_ne_u32_e32 vcc_lo, 7, v8
	v_cndmask_b32_e32 v3, 0xff800000, v3, vcc_lo
	v_cmp_ne_u32_e32 vcc_lo, 6, v8
	v_cndmask_b32_e32 v2, 0xff800000, v2, vcc_lo
	;; [unrolled: 2-line block ×8, first 2 shown]
.LBB83_11:
	s_or_b32 exec_lo, exec_lo, s0
	s_cmp_eq_u32 s8, 1
	s_cbranch_scc1 .LBB83_18
; %bb.12:
	v_add_nc_u32_e32 v12, s16, v26
	v_add_nc_u32_e32 v8, 1, v13
	;; [unrolled: 1-line block ×3, first 2 shown]
	s_add_i32 s3, s8, -1
	s_mov_b32 s14, 0x76543210
	v_add3_u32 v25, v12, v25, s18
	v_add_nc_u32_e32 v12, 1, v9
	s_branch .LBB83_14
.LBB83_13:                              ;   in Loop: Header=BB83_14 Depth=1
	s_or_b32 exec_lo, exec_lo, s0
	v_add_nc_u32_e32 v25, s16, v25
	v_add_nc_u32_e32 v8, 1, v8
	;; [unrolled: 1-line block ×4, first 2 shown]
	s_add_i32 s3, s3, -1
	s_delay_alu instid0(SALU_CYCLE_1)
	s_cmp_eq_u32 s3, 0
	s_cbranch_scc1 .LBB83_18
.LBB83_14:                              ; =>This Inner Loop Header: Depth=1
	v_cmp_gt_f32_e32 vcc_lo, v5, v4
	v_cndmask_b32_e32 v11, v4, v5, vcc_lo
	v_cndmask_b32_e32 v9, v17, v18, vcc_lo
	s_delay_alu instid0(VALU_DEP_2) | instskip(SKIP_1) | instid1(VALU_DEP_3)
	v_cmp_gt_f32_e32 vcc_lo, v6, v11
	v_cndmask_b32_e32 v11, v11, v6, vcc_lo
	v_cndmask_b32_e32 v9, v9, v19, vcc_lo
	s_delay_alu instid0(VALU_DEP_2) | instskip(SKIP_1) | instid1(VALU_DEP_3)
	;; [unrolled: 4-line block ×5, first 2 shown]
	v_cmp_gt_f32_e32 vcc_lo, v2, v11
	v_cndmask_b32_e32 v11, v11, v2, vcc_lo
	v_cndmask_b32_e32 v9, v9, v23, vcc_lo
	s_delay_alu instid0(VALU_DEP_2) | instskip(NEXT) | instid1(VALU_DEP_2)
	v_cmp_gt_f32_e32 vcc_lo, v3, v11
	v_cndmask_b32_e32 v9, v9, v24, vcc_lo
	v_cndmask_b32_e32 v11, v11, v3, vcc_lo
	s_delay_alu instid0(VALU_DEP_2) | instskip(NEXT) | instid1(VALU_DEP_2)
	v_mov_b32_dpp v13, v9 quad_perm:[1,0,3,2] row_mask:0xf bank_mask:0xf
	v_mov_b32_dpp v26, v11 quad_perm:[1,0,3,2] row_mask:0xf bank_mask:0xf
	s_delay_alu instid0(VALU_DEP_2) | instskip(NEXT) | instid1(VALU_DEP_2)
	v_cmp_lt_i32_e32 vcc_lo, v13, v9
	v_cmp_eq_f32_e64 s0, v11, v26
	v_cmp_lt_f32_e64 s1, v11, v26
	s_delay_alu instid0(VALU_DEP_2)
	s_and_b32 s0, s0, vcc_lo
	s_delay_alu instid0(VALU_DEP_1) | instid1(SALU_CYCLE_1)
	s_or_b32 vcc_lo, s1, s0
	v_cndmask_b32_e32 v11, v11, v26, vcc_lo
	v_cndmask_b32_e32 v9, v9, v13, vcc_lo
	s_delay_alu instid0(VALU_DEP_2) | instskip(NEXT) | instid1(VALU_DEP_2)
	v_mov_b32_dpp v13, v11 quad_perm:[2,3,0,1] row_mask:0xf bank_mask:0xf
	v_mov_b32_dpp v26, v9 quad_perm:[2,3,0,1] row_mask:0xf bank_mask:0xf
	s_delay_alu instid0(VALU_DEP_2) | instskip(NEXT) | instid1(VALU_DEP_2)
	v_cmp_eq_f32_e32 vcc_lo, v11, v13
	v_cmp_lt_i32_e64 s0, v26, v9
	v_cmp_lt_f32_e64 s1, v11, v13
	s_delay_alu instid0(VALU_DEP_2)
	s_and_b32 s0, vcc_lo, s0
	s_delay_alu instid0(VALU_DEP_1) | instid1(SALU_CYCLE_1)
	s_or_b32 vcc_lo, s1, s0
	v_cndmask_b32_e32 v11, v11, v13, vcc_lo
	v_cndmask_b32_e32 v9, v9, v26, vcc_lo
	s_delay_alu instid0(VALU_DEP_2) | instskip(NEXT) | instid1(VALU_DEP_2)
	v_mov_b32_dpp v13, v11 row_xmask:7 row_mask:0xf bank_mask:0xf
	v_mov_b32_dpp v26, v9 row_xmask:7 row_mask:0xf bank_mask:0xf
	s_delay_alu instid0(VALU_DEP_2) | instskip(NEXT) | instid1(VALU_DEP_2)
	v_cmp_eq_f32_e32 vcc_lo, v11, v13
	v_cmp_lt_i32_e64 s0, v26, v9
	v_cmp_lt_f32_e64 s1, v11, v13
	s_delay_alu instid0(VALU_DEP_2)
	s_and_b32 s0, vcc_lo, s0
	s_delay_alu instid0(VALU_DEP_1) | instid1(SALU_CYCLE_1)
	s_or_b32 vcc_lo, s1, s0
	v_cndmask_b32_e32 v11, v11, v13, vcc_lo
	v_cndmask_b32_e32 v13, v9, v26, vcc_lo
	s_delay_alu instid0(VALU_DEP_2) | instskip(NEXT) | instid1(VALU_DEP_2)
	v_mov_b32_dpp v9, v11 row_xmask:15 row_mask:0xf bank_mask:0xf
	v_mov_b32_dpp v26, v13 row_xmask:15 row_mask:0xf bank_mask:0xf
	s_delay_alu instid0(VALU_DEP_2) | instskip(NEXT) | instid1(VALU_DEP_2)
	v_cmp_eq_f32_e32 vcc_lo, v11, v9
	v_cmp_lt_i32_e64 s0, v26, v13
	v_cmp_lt_f32_e64 s1, v11, v9
	s_delay_alu instid0(VALU_DEP_2)
	s_and_b32 s0, vcc_lo, s0
	s_delay_alu instid0(VALU_DEP_1) | instid1(SALU_CYCLE_1)
	s_or_b32 vcc_lo, s1, s0
	v_cndmask_b32_e32 v9, v11, v9, vcc_lo
	v_cndmask_b32_e32 v13, v13, v26, vcc_lo
	s_delay_alu instid0(VALU_DEP_2) | instskip(NEXT) | instid1(VALU_DEP_2)
	v_permlanex16_b32 v11, v9, s14, 0xfedcba98 op_sel:[1,1]
	v_permlanex16_b32 v26, v13, s14, 0xfedcba98 op_sel:[1,1]
	s_delay_alu instid0(VALU_DEP_2) | instskip(NEXT) | instid1(VALU_DEP_2)
	v_cmp_eq_f32_e32 vcc_lo, v9, v11
	v_cmp_lt_i32_e64 s0, v26, v13
	v_cmp_lt_f32_e64 s1, v9, v11
	s_delay_alu instid0(VALU_DEP_2)
	s_and_b32 s0, vcc_lo, s0
	s_delay_alu instid0(VALU_DEP_1) | instid1(SALU_CYCLE_1)
	s_or_b32 vcc_lo, s1, s0
	v_cndmask_b32_e32 v26, v13, v26, vcc_lo
	s_and_saveexec_b32 s1, s2
	s_cbranch_execz .LBB83_16
; %bb.15:                               ;   in Loop: Header=BB83_14 Depth=1
	v_cndmask_b32_e32 v9, v9, v11, vcc_lo
	s_delay_alu instid0(VALU_DEP_2) | instskip(SKIP_4) | instid1(VALU_DEP_4)
	v_cmp_le_i32_e32 vcc_lo, s9, v26
	v_cmp_gt_i32_e64 s0, s10, v26
	v_ashrrev_i32_e32 v13, 31, v12
	v_subrev_nc_u32_e32 v35, s9, v26
	v_sub_f32_e32 v34, v9, v27
	s_and_b32 s0, vcc_lo, s0
	s_delay_alu instid0(SALU_CYCLE_1) | instskip(NEXT) | instid1(VALU_DEP_1)
	s_and_b32 vcc_lo, s17, s0
	v_mul_f32_e32 v9, 0x3fb8aa3b, v34
	s_delay_alu instid0(VALU_DEP_1) | instskip(SKIP_1) | instid1(VALU_DEP_2)
	v_fma_f32 v11, 0x3fb8aa3b, v34, -v9
	v_rndne_f32_e32 v28, v9
	v_fmac_f32_e32 v11, 0x32a5705f, v34
	s_delay_alu instid0(VALU_DEP_2) | instskip(SKIP_2) | instid1(VALU_DEP_3)
	v_sub_f32_e32 v9, v9, v28
	v_cvt_i32_f32_e32 v33, v28
	v_lshlrev_b64 v[28:29], 2, v[12:13]
	v_add_f32_e32 v9, v9, v11
	v_ashrrev_i32_e32 v11, 31, v10
	s_delay_alu instid0(VALU_DEP_2) | instskip(SKIP_1) | instid1(VALU_DEP_2)
	v_exp_f32_e32 v32, v9
	v_ashrrev_i32_e32 v9, 31, v8
	v_lshlrev_b64 v[30:31], 2, v[10:11]
	s_waitcnt_depctr 0xfff
	v_ldexp_f32 v11, v32, v33
	v_lshlrev_b64 v[32:33], 2, v[8:9]
	v_cndmask_b32_e32 v9, 0x100, v35, vcc_lo
	v_cmp_ngt_f32_e32 vcc_lo, 0xc2ce8ed0, v34
	s_delay_alu instid0(VALU_DEP_4) | instskip(SKIP_3) | instid1(VALU_DEP_4)
	v_cndmask_b32_e32 v11, 0, v11, vcc_lo
	v_add_co_u32 v28, vcc_lo, s12, v28
	v_add_co_ci_u32_e32 v29, vcc_lo, s13, v29, vcc_lo
	v_cmp_nlt_f32_e32 vcc_lo, 0x42b17218, v34
	v_cndmask_b32_e32 v11, 0x7f800000, v11, vcc_lo
	s_waitcnt lgkmcnt(0)
	v_add_co_u32 v30, vcc_lo, s4, v30
	v_add_co_ci_u32_e32 v31, vcc_lo, s5, v31, vcc_lo
	s_delay_alu instid0(VALU_DEP_3)
	v_add_f32_e32 v14, v14, v11
	v_add_co_u32 v32, vcc_lo, s6, v32
	v_add_co_ci_u32_e32 v33, vcc_lo, s7, v33, vcc_lo
	global_store_b32 v[28:29], v11, off
	global_store_b32 v[30:31], v9, off
	;; [unrolled: 1-line block ×3, first 2 shown]
.LBB83_16:                              ;   in Loop: Header=BB83_14 Depth=1
	s_or_b32 exec_lo, exec_lo, s1
	s_delay_alu instid0(VALU_DEP_1) | instskip(SKIP_1) | instid1(VALU_DEP_1)
	v_ashrrev_i32_e32 v9, 31, v26
	s_mov_b32 s0, exec_lo
	v_lshrrev_b32_e32 v11, 29, v9
	s_delay_alu instid0(VALU_DEP_1) | instskip(NEXT) | instid1(VALU_DEP_1)
	v_add_nc_u32_e32 v11, v26, v11
	v_ashrrev_i32_e32 v13, 31, v11
	v_ashrrev_i32_e32 v11, 3, v11
	s_delay_alu instid0(VALU_DEP_2) | instskip(NEXT) | instid1(VALU_DEP_1)
	v_lshrrev_b32_e32 v13, 27, v13
	v_add_nc_u32_e32 v13, v11, v13
	s_delay_alu instid0(VALU_DEP_1) | instskip(NEXT) | instid1(VALU_DEP_1)
	v_and_b32_e32 v13, 0xffffffe0, v13
	v_sub_nc_u32_e32 v13, v11, v13
	s_delay_alu instid0(VALU_DEP_1)
	v_cmpx_eq_u32_e64 v16, v13
	s_cbranch_execz .LBB83_13
; %bb.17:                               ;   in Loop: Header=BB83_14 Depth=1
	v_lshrrev_b32_e32 v9, 24, v9
	v_lshlrev_b32_e32 v11, 3, v11
	s_delay_alu instid0(VALU_DEP_2) | instskip(NEXT) | instid1(VALU_DEP_2)
	v_add_nc_u32_e32 v9, v26, v9
	v_sub_nc_u32_e32 v11, v26, v11
	s_delay_alu instid0(VALU_DEP_2) | instskip(NEXT) | instid1(VALU_DEP_1)
	v_ashrrev_i32_e32 v9, 8, v9
	v_lshl_add_u32 v9, v9, 3, v11
	s_delay_alu instid0(VALU_DEP_1)
	v_cmp_ne_u32_e32 vcc_lo, 7, v9
	v_cndmask_b32_e32 v3, 0xff800000, v3, vcc_lo
	v_cmp_ne_u32_e32 vcc_lo, 6, v9
	v_cndmask_b32_e32 v2, 0xff800000, v2, vcc_lo
	;; [unrolled: 2-line block ×8, first 2 shown]
	s_branch .LBB83_13
.LBB83_18:
	v_cmp_neq_f32_e32 vcc_lo, 0, v14
	s_and_b32 s0, s2, vcc_lo
	s_delay_alu instid0(SALU_CYCLE_1)
	s_and_b32 exec_lo, exec_lo, s0
	s_cbranch_execz .LBB83_22
; %bb.19:
	s_and_not1_b32 vcc_lo, exec_lo, s15
	s_cbranch_vccnz .LBB83_22
; %bb.20:
	v_div_scale_f32 v1, null, v14, v14, 1.0
	v_div_scale_f32 v3, vcc_lo, 1.0, v14, 1.0
	s_delay_alu instid0(VALU_DEP_2) | instskip(SKIP_2) | instid1(VALU_DEP_1)
	v_rcp_f32_e32 v2, v1
	s_waitcnt_depctr 0xfff
	v_fma_f32 v0, -v1, v2, 1.0
	v_fmac_f32_e32 v2, v0, v2
	v_mul_lo_u32 v0, v15, s11
	s_delay_alu instid0(VALU_DEP_2) | instskip(NEXT) | instid1(VALU_DEP_1)
	v_mul_f32_e32 v4, v3, v2
	v_fma_f32 v5, -v1, v4, v3
	s_delay_alu instid0(VALU_DEP_1) | instskip(NEXT) | instid1(VALU_DEP_1)
	v_fmac_f32_e32 v4, v5, v2
	v_fma_f32 v3, -v1, v4, v3
	v_ashrrev_i32_e32 v1, 31, v0
	s_delay_alu instid0(VALU_DEP_2) | instskip(NEXT) | instid1(VALU_DEP_2)
	v_div_fmas_f32 v2, v3, v2, v4
	v_lshlrev_b64 v[0:1], 2, v[0:1]
	s_delay_alu instid0(VALU_DEP_2) | instskip(NEXT) | instid1(VALU_DEP_2)
	v_div_fixup_f32 v2, v2, v14, 1.0
	v_add_co_u32 v0, vcc_lo, s12, v0
	s_delay_alu instid0(VALU_DEP_3)
	v_add_co_ci_u32_e32 v1, vcc_lo, s13, v1, vcc_lo
.LBB83_21:                              ; =>This Inner Loop Header: Depth=1
	global_load_b32 v3, v[0:1], off
	s_add_i32 s8, s8, -1
	s_delay_alu instid0(SALU_CYCLE_1)
	s_cmp_lg_u32 s8, 0
	s_waitcnt vmcnt(0)
	v_mul_f32_e32 v3, v2, v3
	global_store_b32 v[0:1], v3, off
	v_add_co_u32 v0, vcc_lo, v0, 4
	v_add_co_ci_u32_e32 v1, vcc_lo, 0, v1, vcc_lo
	s_cbranch_scc1 .LBB83_21
.LBB83_22:
	s_nop 0
	s_sendmsg sendmsg(MSG_DEALLOC_VGPRS)
	s_endpgm
	.section	.rodata,"a",@progbits
	.p2align	6, 0x0
	.amdhsa_kernel _ZN4vllm3moe17topkGatingSoftmaxIfLi8ELi256ELi8ELi32ELb1ELi1ELNS0_23SharedExpertScoringFuncE1EEEvPKT_PKbPfiPiS9_iiiiii
		.amdhsa_group_segment_fixed_size 0
		.amdhsa_private_segment_fixed_size 0
		.amdhsa_kernarg_size 72
		.amdhsa_user_sgpr_count 15
		.amdhsa_user_sgpr_dispatch_ptr 0
		.amdhsa_user_sgpr_queue_ptr 0
		.amdhsa_user_sgpr_kernarg_segment_ptr 1
		.amdhsa_user_sgpr_dispatch_id 0
		.amdhsa_user_sgpr_private_segment_size 0
		.amdhsa_wavefront_size32 1
		.amdhsa_uses_dynamic_stack 0
		.amdhsa_enable_private_segment 0
		.amdhsa_system_sgpr_workgroup_id_x 1
		.amdhsa_system_sgpr_workgroup_id_y 0
		.amdhsa_system_sgpr_workgroup_id_z 0
		.amdhsa_system_sgpr_workgroup_info 0
		.amdhsa_system_vgpr_workitem_id 1
		.amdhsa_next_free_vgpr 37
		.amdhsa_next_free_sgpr 19
		.amdhsa_reserve_vcc 1
		.amdhsa_float_round_mode_32 0
		.amdhsa_float_round_mode_16_64 0
		.amdhsa_float_denorm_mode_32 3
		.amdhsa_float_denorm_mode_16_64 3
		.amdhsa_dx10_clamp 1
		.amdhsa_ieee_mode 1
		.amdhsa_fp16_overflow 0
		.amdhsa_workgroup_processor_mode 1
		.amdhsa_memory_ordered 1
		.amdhsa_forward_progress 0
		.amdhsa_shared_vgpr_count 0
		.amdhsa_exception_fp_ieee_invalid_op 0
		.amdhsa_exception_fp_denorm_src 0
		.amdhsa_exception_fp_ieee_div_zero 0
		.amdhsa_exception_fp_ieee_overflow 0
		.amdhsa_exception_fp_ieee_underflow 0
		.amdhsa_exception_fp_ieee_inexact 0
		.amdhsa_exception_int_div_zero 0
	.end_amdhsa_kernel
	.section	.text._ZN4vllm3moe17topkGatingSoftmaxIfLi8ELi256ELi8ELi32ELb1ELi1ELNS0_23SharedExpertScoringFuncE1EEEvPKT_PKbPfiPiS9_iiiiii,"axG",@progbits,_ZN4vllm3moe17topkGatingSoftmaxIfLi8ELi256ELi8ELi32ELb1ELi1ELNS0_23SharedExpertScoringFuncE1EEEvPKT_PKbPfiPiS9_iiiiii,comdat
.Lfunc_end83:
	.size	_ZN4vllm3moe17topkGatingSoftmaxIfLi8ELi256ELi8ELi32ELb1ELi1ELNS0_23SharedExpertScoringFuncE1EEEvPKT_PKbPfiPiS9_iiiiii, .Lfunc_end83-_ZN4vllm3moe17topkGatingSoftmaxIfLi8ELi256ELi8ELi32ELb1ELi1ELNS0_23SharedExpertScoringFuncE1EEEvPKT_PKbPfiPiS9_iiiiii
                                        ; -- End function
	.section	.AMDGPU.csdata,"",@progbits
; Kernel info:
; codeLenInByte = 2832
; NumSgprs: 21
; NumVgprs: 37
; ScratchSize: 0
; MemoryBound: 0
; FloatMode: 240
; IeeeMode: 1
; LDSByteSize: 0 bytes/workgroup (compile time only)
; SGPRBlocks: 2
; VGPRBlocks: 4
; NumSGPRsForWavesPerEU: 21
; NumVGPRsForWavesPerEU: 37
; Occupancy: 16
; WaveLimiterHint : 0
; COMPUTE_PGM_RSRC2:SCRATCH_EN: 0
; COMPUTE_PGM_RSRC2:USER_SGPR: 15
; COMPUTE_PGM_RSRC2:TRAP_HANDLER: 0
; COMPUTE_PGM_RSRC2:TGID_X_EN: 1
; COMPUTE_PGM_RSRC2:TGID_Y_EN: 0
; COMPUTE_PGM_RSRC2:TGID_Z_EN: 0
; COMPUTE_PGM_RSRC2:TIDIG_COMP_CNT: 1
	.section	.text._ZN4vllm3moe17topkGatingSoftmaxIfLi8ELi256ELi8ELi32ELb0ELi1ELNS0_23SharedExpertScoringFuncE1EEEvPKT_PKbPfiPiS9_iiiiii,"axG",@progbits,_ZN4vllm3moe17topkGatingSoftmaxIfLi8ELi256ELi8ELi32ELb0ELi1ELNS0_23SharedExpertScoringFuncE1EEEvPKT_PKbPfiPiS9_iiiiii,comdat
	.protected	_ZN4vllm3moe17topkGatingSoftmaxIfLi8ELi256ELi8ELi32ELb0ELi1ELNS0_23SharedExpertScoringFuncE1EEEvPKT_PKbPfiPiS9_iiiiii ; -- Begin function _ZN4vllm3moe17topkGatingSoftmaxIfLi8ELi256ELi8ELi32ELb0ELi1ELNS0_23SharedExpertScoringFuncE1EEEvPKT_PKbPfiPiS9_iiiiii
	.globl	_ZN4vllm3moe17topkGatingSoftmaxIfLi8ELi256ELi8ELi32ELb0ELi1ELNS0_23SharedExpertScoringFuncE1EEEvPKT_PKbPfiPiS9_iiiiii
	.p2align	8
	.type	_ZN4vllm3moe17topkGatingSoftmaxIfLi8ELi256ELi8ELi32ELb0ELi1ELNS0_23SharedExpertScoringFuncE1EEEvPKT_PKbPfiPiS9_iiiiii,@function
_ZN4vllm3moe17topkGatingSoftmaxIfLi8ELi256ELi8ELi32ELb0ELi1ELNS0_23SharedExpertScoringFuncE1EEEvPKT_PKbPfiPiS9_iiiiii: ; @_ZN4vllm3moe17topkGatingSoftmaxIfLi8ELi256ELi8ELi32ELb0ELi1ELNS0_23SharedExpertScoringFuncE1EEEvPKT_PKbPfiPiS9_iiiiii
; %bb.0:
	s_load_b32 s16, s[0:1], 0x18
	v_and_b32_e32 v1, 0x3ff, v0
	v_bfe_u32 v27, v0, 10, 10
	s_lshl_b32 s18, s15, 3
	s_mov_b32 s2, exec_lo
	s_delay_alu instid0(VALU_DEP_2) | instskip(NEXT) | instid1(VALU_DEP_1)
	v_lshrrev_b32_e32 v26, 5, v1
	v_add3_u32 v15, s18, v27, v26
	s_waitcnt lgkmcnt(0)
	s_delay_alu instid0(VALU_DEP_1)
	v_cmpx_gt_i32_e64 s16, v15
	s_cbranch_execz .LBB84_23
; %bb.1:
	s_clause 0x1
	s_load_b128 s[4:7], s[0:1], 0x0
	s_load_b64 s[12:13], s[0:1], 0x10
	s_waitcnt lgkmcnt(0)
	s_cmp_eq_u64 s[6:7], 0
	s_cbranch_scc1 .LBB84_3
; %bb.2:
	v_ashrrev_i32_e32 v0, 31, v15
	v_add_co_u32 v2, vcc_lo, s6, v15
	s_delay_alu instid0(VALU_DEP_2) | instskip(SKIP_3) | instid1(VALU_DEP_1)
	v_add_co_ci_u32_e32 v3, vcc_lo, s7, v0, vcc_lo
	global_load_u8 v0, v[2:3], off
	s_waitcnt vmcnt(0)
	v_and_b32_e32 v0, 1, v0
	v_cmp_eq_u32_e32 vcc_lo, 1, v0
	s_xor_b32 s2, vcc_lo, -1
	s_delay_alu instid0(SALU_CYCLE_1)
	s_or_not1_b32 s17, s2, exec_lo
	s_branch .LBB84_4
.LBB84_3:
	s_mov_b32 s17, -1
.LBB84_4:
	s_clause 0x1
	s_load_b64 s[14:15], s[0:1], 0x40
	s_load_b128 s[8:11], s[0:1], 0x30
	v_dual_mov_b32 v14, 0 :: v_dual_and_b32 v17, 31, v1
	s_delay_alu instid0(VALU_DEP_1) | instskip(SKIP_3) | instid1(VALU_DEP_1)
	v_lshlrev_b32_e32 v18, 3, v17
	v_cmp_eq_u32_e64 s2, 0, v17
	s_waitcnt lgkmcnt(0)
	v_mul_lo_u32 v2, v15, s15
	v_ashrrev_i32_e32 v3, 31, v2
	s_delay_alu instid0(VALU_DEP_1) | instskip(SKIP_1) | instid1(VALU_DEP_2)
	v_lshlrev_b64 v[0:1], 2, v[2:3]
	v_lshlrev_b32_e32 v2, 5, v17
	v_add_co_u32 v8, vcc_lo, s4, v0
	s_delay_alu instid0(VALU_DEP_3) | instskip(NEXT) | instid1(VALU_DEP_2)
	v_add_co_ci_u32_e32 v9, vcc_lo, s5, v1, vcc_lo
	v_add_co_u32 v4, vcc_lo, v8, v2
	s_delay_alu instid0(VALU_DEP_2)
	v_add_co_ci_u32_e32 v5, vcc_lo, 0, v9, vcc_lo
	s_clause 0x1
	global_load_b128 v[0:3], v[4:5], off offset:16
	global_load_b128 v[4:7], v[4:5], off
	s_and_saveexec_b32 s3, s2
	s_cbranch_execz .LBB84_6
; %bb.5:
	global_load_b32 v8, v[8:9], off offset:1024
	s_waitcnt vmcnt(0)
	v_mul_f32_e32 v9, 0xbfb8aa3b, v8
	v_cmp_nlt_f32_e32 vcc_lo, 0x42ce8ed0, v8
	s_delay_alu instid0(VALU_DEP_2) | instskip(SKIP_1) | instid1(VALU_DEP_2)
	v_rndne_f32_e32 v10, v9
	v_fma_f32 v11, 0xbfb8aa3b, v8, -v9
	v_sub_f32_e32 v9, v9, v10
	s_delay_alu instid0(VALU_DEP_2) | instskip(SKIP_1) | instid1(VALU_DEP_2)
	v_fmamk_f32 v11, v8, 0xb2a5705f, v11
	v_cvt_i32_f32_e32 v10, v10
	v_add_f32_e32 v9, v9, v11
	s_delay_alu instid0(VALU_DEP_1) | instskip(SKIP_2) | instid1(VALU_DEP_1)
	v_exp_f32_e32 v9, v9
	s_waitcnt_depctr 0xfff
	v_ldexp_f32 v9, v9, v10
	v_cndmask_b32_e32 v9, 0, v9, vcc_lo
	v_cmp_ngt_f32_e32 vcc_lo, 0xc2b17218, v8
	s_delay_alu instid0(VALU_DEP_2) | instskip(NEXT) | instid1(VALU_DEP_1)
	v_cndmask_b32_e32 v8, 0x7f800000, v9, vcc_lo
	v_add_f32_e32 v10, 1.0, v8
	s_delay_alu instid0(VALU_DEP_1) | instskip(SKIP_1) | instid1(VALU_DEP_2)
	v_div_scale_f32 v11, null, v10, v10, 1.0
	v_div_scale_f32 v13, vcc_lo, 1.0, v10, 1.0
	v_rcp_f32_e32 v12, v11
	s_waitcnt_depctr 0xfff
	v_fma_f32 v8, -v11, v12, 1.0
	s_delay_alu instid0(VALU_DEP_1) | instskip(SKIP_1) | instid1(VALU_DEP_2)
	v_fmac_f32_e32 v12, v8, v12
	v_mad_u64_u32 v[8:9], null, v15, s11, s[8:9]
	v_mul_f32_e32 v16, v13, v12
	s_delay_alu instid0(VALU_DEP_2) | instskip(NEXT) | instid1(VALU_DEP_2)
	v_ashrrev_i32_e32 v9, 31, v8
	v_fma_f32 v19, -v11, v16, v13
	s_delay_alu instid0(VALU_DEP_2) | instskip(NEXT) | instid1(VALU_DEP_2)
	v_lshlrev_b64 v[8:9], 2, v[8:9]
	v_fmac_f32_e32 v16, v19, v12
	s_delay_alu instid0(VALU_DEP_1) | instskip(NEXT) | instid1(VALU_DEP_1)
	v_fma_f32 v11, -v11, v16, v13
	v_div_fmas_f32 v11, v11, v12, v16
	s_delay_alu instid0(VALU_DEP_4) | instskip(SKIP_1) | instid1(VALU_DEP_3)
	v_add_co_u32 v8, vcc_lo, s12, v8
	v_add_co_ci_u32_e32 v9, vcc_lo, s13, v9, vcc_lo
	v_div_fixup_f32 v10, v11, v10, 1.0
	global_store_b32 v[8:9], v10, off
.LBB84_6:
	s_or_b32 exec_lo, exec_lo, s3
	v_or_b32_e32 v19, 1, v18
	s_waitcnt vmcnt(0)
	v_cmp_lt_f32_e32 vcc_lo, v4, v5
	v_or_b32_e32 v20, 2, v18
	v_or_b32_e32 v21, 3, v18
	;; [unrolled: 1-line block ×4, first 2 shown]
	v_dual_cndmask_b32 v8, v18, v19 :: v_dual_cndmask_b32 v9, v4, v5
	v_or_b32_e32 v24, 6, v18
	v_or_b32_e32 v25, 7, v18
	s_delay_alu instid0(VALU_DEP_3) | instskip(NEXT) | instid1(VALU_DEP_4)
	v_cmp_lt_f32_e32 vcc_lo, v9, v6
	v_dual_cndmask_b32 v8, v8, v20 :: v_dual_cndmask_b32 v9, v9, v6
	s_delay_alu instid0(VALU_DEP_1) | instskip(NEXT) | instid1(VALU_DEP_2)
	v_cmp_lt_f32_e32 vcc_lo, v9, v7
	v_dual_cndmask_b32 v8, v8, v21 :: v_dual_cndmask_b32 v9, v9, v7
	s_delay_alu instid0(VALU_DEP_1) | instskip(NEXT) | instid1(VALU_DEP_2)
	v_cmp_lt_f32_e32 vcc_lo, v9, v0
	v_dual_cndmask_b32 v8, v8, v22 :: v_dual_cndmask_b32 v9, v9, v0
	s_delay_alu instid0(VALU_DEP_1) | instskip(NEXT) | instid1(VALU_DEP_2)
	v_cmp_lt_f32_e32 vcc_lo, v9, v1
	v_dual_cndmask_b32 v8, v8, v23 :: v_dual_cndmask_b32 v9, v9, v1
	s_delay_alu instid0(VALU_DEP_1) | instskip(NEXT) | instid1(VALU_DEP_2)
	v_cmp_lt_f32_e32 vcc_lo, v9, v2
	v_dual_cndmask_b32 v8, v8, v24 :: v_dual_cndmask_b32 v9, v9, v2
	s_delay_alu instid0(VALU_DEP_1) | instskip(NEXT) | instid1(VALU_DEP_2)
	v_cmp_lt_f32_e32 vcc_lo, v9, v3
	v_dual_cndmask_b32 v8, v8, v25 :: v_dual_cndmask_b32 v9, v9, v3
	s_delay_alu instid0(VALU_DEP_1) | instskip(NEXT) | instid1(VALU_DEP_2)
	v_mov_b32_dpp v11, v8 quad_perm:[1,0,3,2] row_mask:0xf bank_mask:0xf
	v_mov_b32_dpp v10, v9 quad_perm:[1,0,3,2] row_mask:0xf bank_mask:0xf
	s_delay_alu instid0(VALU_DEP_2) | instskip(NEXT) | instid1(VALU_DEP_2)
	v_cmp_lt_i32_e64 s3, v11, v8
	v_cmp_eq_f32_e32 vcc_lo, v9, v10
	v_cmp_lt_f32_e64 s4, v9, v10
	s_delay_alu instid0(VALU_DEP_3)
	s_and_b32 s3, vcc_lo, s3
	s_delay_alu instid0(VALU_DEP_1) | instid1(SALU_CYCLE_1)
	s_or_b32 vcc_lo, s4, s3
	v_dual_cndmask_b32 v9, v9, v10 :: v_dual_cndmask_b32 v8, v8, v11
	s_delay_alu instid0(VALU_DEP_1) | instskip(NEXT) | instid1(VALU_DEP_2)
	v_mov_b32_dpp v10, v9 quad_perm:[2,3,0,1] row_mask:0xf bank_mask:0xf
	v_mov_b32_dpp v11, v8 quad_perm:[2,3,0,1] row_mask:0xf bank_mask:0xf
	s_delay_alu instid0(VALU_DEP_2) | instskip(NEXT) | instid1(VALU_DEP_2)
	v_cmp_eq_f32_e32 vcc_lo, v9, v10
	v_cmp_lt_i32_e64 s3, v11, v8
	v_cmp_lt_f32_e64 s4, v9, v10
	s_delay_alu instid0(VALU_DEP_2)
	s_and_b32 s3, vcc_lo, s3
	s_delay_alu instid0(VALU_DEP_1) | instid1(SALU_CYCLE_1)
	s_or_b32 vcc_lo, s4, s3
	v_dual_cndmask_b32 v9, v9, v10 :: v_dual_cndmask_b32 v8, v8, v11
	s_delay_alu instid0(VALU_DEP_1) | instskip(NEXT) | instid1(VALU_DEP_2)
	v_mov_b32_dpp v10, v9 row_xmask:7 row_mask:0xf bank_mask:0xf
	v_mov_b32_dpp v11, v8 row_xmask:7 row_mask:0xf bank_mask:0xf
	s_delay_alu instid0(VALU_DEP_2) | instskip(NEXT) | instid1(VALU_DEP_2)
	v_cmp_eq_f32_e32 vcc_lo, v9, v10
	v_cmp_lt_i32_e64 s3, v11, v8
	v_cmp_lt_f32_e64 s4, v9, v10
	s_delay_alu instid0(VALU_DEP_2)
	s_and_b32 s3, vcc_lo, s3
	s_delay_alu instid0(VALU_DEP_1) | instid1(SALU_CYCLE_1)
	s_or_b32 vcc_lo, s4, s3
	v_dual_cndmask_b32 v9, v9, v10 :: v_dual_cndmask_b32 v8, v8, v11
	s_delay_alu instid0(VALU_DEP_1) | instskip(NEXT) | instid1(VALU_DEP_2)
	v_mov_b32_dpp v10, v9 row_xmask:15 row_mask:0xf bank_mask:0xf
	v_mov_b32_dpp v11, v8 row_xmask:15 row_mask:0xf bank_mask:0xf
	s_delay_alu instid0(VALU_DEP_2) | instskip(NEXT) | instid1(VALU_DEP_2)
	v_cmp_eq_f32_e32 vcc_lo, v9, v10
	v_cmp_lt_i32_e64 s3, v11, v8
	v_cmp_lt_f32_e64 s4, v9, v10
	s_delay_alu instid0(VALU_DEP_2)
	s_and_b32 s3, vcc_lo, s3
	s_delay_alu instid0(VALU_DEP_1) | instid1(SALU_CYCLE_1)
	s_or_b32 vcc_lo, s4, s3
	s_mov_b32 s3, 0x76543210
	v_dual_cndmask_b32 v9, v9, v10 :: v_dual_cndmask_b32 v8, v8, v11
	s_delay_alu instid0(VALU_DEP_1) | instskip(NEXT) | instid1(VALU_DEP_2)
	v_permlanex16_b32 v11, v9, s3, 0xfedcba98 op_sel:[1,1]
	v_permlanex16_b32 v10, v8, s3, 0xfedcba98 op_sel:[1,1]
	s_delay_alu instid0(VALU_DEP_2) | instskip(NEXT) | instid1(VALU_DEP_2)
	v_cmp_eq_f32_e32 vcc_lo, v9, v11
	v_cmp_lt_i32_e64 s3, v10, v8
	v_cmp_lt_f32_e64 s4, v9, v11
	s_delay_alu instid0(VALU_DEP_2)
	s_and_b32 s3, vcc_lo, s3
	s_delay_alu instid0(VALU_DEP_1) | instid1(SALU_CYCLE_1)
	s_or_b32 s3, s4, s3
	s_cmp_gt_i32 s8, 0
	v_cndmask_b32_e64 v16, v9, v11, s3
	s_cselect_b32 s15, -1, 0
	s_delay_alu instid0(SALU_CYCLE_1)
	s_and_b32 vcc_lo, exec_lo, s15
	s_cbranch_vccz .LBB84_18
; %bb.7:
	s_load_b128 s[4:7], s[0:1], 0x20
	v_mul_lo_u32 v9, v15, s11
	v_mul_lo_u32 v11, v15, s14
	;; [unrolled: 1-line block ×3, first 2 shown]
	v_cndmask_b32_e64 v8, v8, v10, s3
	v_mov_b32_e32 v14, 0
	s_and_saveexec_b32 s1, s2
	s_cbranch_execz .LBB84_9
; %bb.8:
	v_sub_f32_e32 v34, v16, v16
	v_cmp_le_i32_e32 vcc_lo, s9, v8
	v_cmp_gt_i32_e64 s0, s10, v8
	v_subrev_nc_u32_e32 v35, s9, v8
	v_ashrrev_i32_e32 v14, 31, v13
	v_mul_f32_e32 v10, 0x3fb8aa3b, v34
	s_delay_alu instid0(VALU_DEP_4) | instskip(NEXT) | instid1(SALU_CYCLE_1)
	s_and_b32 s0, vcc_lo, s0
	s_and_b32 vcc_lo, s17, s0
	s_delay_alu instid0(VALU_DEP_1) | instskip(SKIP_2) | instid1(VALU_DEP_3)
	v_rndne_f32_e32 v30, v10
	v_fma_f32 v12, 0x3fb8aa3b, v34, -v10
	v_lshlrev_b64 v[32:33], 2, v[13:14]
	v_sub_f32_e32 v10, v10, v30
	s_delay_alu instid0(VALU_DEP_3) | instskip(NEXT) | instid1(VALU_DEP_1)
	v_fmamk_f32 v12, v34, 0x32a5705f, v12
	v_add_f32_e32 v12, v10, v12
	v_ashrrev_i32_e32 v10, 31, v9
	s_delay_alu instid0(VALU_DEP_2) | instskip(NEXT) | instid1(VALU_DEP_1)
	v_exp_f32_e32 v36, v12
	v_lshlrev_b64 v[28:29], 2, v[9:10]
	v_ashrrev_i32_e32 v12, 31, v11
	v_cvt_i32_f32_e32 v10, v30
	s_delay_alu instid0(VALU_DEP_2) | instskip(SKIP_3) | instid1(TRANS32_DEP_1)
	v_lshlrev_b64 v[30:31], 2, v[11:12]
	v_cndmask_b32_e32 v12, 0x100, v35, vcc_lo
	v_add_co_u32 v28, vcc_lo, s12, v28
	v_add_co_ci_u32_e32 v29, vcc_lo, s13, v29, vcc_lo
	v_ldexp_f32 v10, v36, v10
	v_cmp_ngt_f32_e32 vcc_lo, 0xc2ce8ed0, v34
	s_delay_alu instid0(VALU_DEP_2)
	v_cndmask_b32_e32 v10, 0, v10, vcc_lo
	s_waitcnt lgkmcnt(0)
	v_add_co_u32 v30, vcc_lo, s4, v30
	v_add_co_ci_u32_e32 v31, vcc_lo, s5, v31, vcc_lo
	v_cmp_nlt_f32_e32 vcc_lo, 0x42b17218, v34
	v_cndmask_b32_e32 v14, 0x7f800000, v10, vcc_lo
	v_add_co_u32 v32, vcc_lo, s6, v32
	v_add_co_ci_u32_e32 v33, vcc_lo, s7, v33, vcc_lo
	global_store_b32 v[30:31], v12, off
	global_store_b32 v[28:29], v14, off
	;; [unrolled: 1-line block ×3, first 2 shown]
.LBB84_9:
	s_or_b32 exec_lo, exec_lo, s1
	v_ashrrev_i32_e32 v10, 31, v8
	s_mov_b32 s0, exec_lo
	s_delay_alu instid0(VALU_DEP_1) | instskip(NEXT) | instid1(VALU_DEP_1)
	v_lshrrev_b32_e32 v12, 29, v10
	v_add_nc_u32_e32 v12, v8, v12
	s_delay_alu instid0(VALU_DEP_1) | instskip(SKIP_1) | instid1(VALU_DEP_2)
	v_ashrrev_i32_e32 v28, 31, v12
	v_ashrrev_i32_e32 v12, 3, v12
	v_lshrrev_b32_e32 v28, 27, v28
	s_delay_alu instid0(VALU_DEP_1) | instskip(NEXT) | instid1(VALU_DEP_1)
	v_add_nc_u32_e32 v28, v12, v28
	v_and_b32_e32 v28, 0xffffffe0, v28
	s_delay_alu instid0(VALU_DEP_1) | instskip(NEXT) | instid1(VALU_DEP_1)
	v_sub_nc_u32_e32 v28, v12, v28
	v_cmpx_eq_u32_e64 v17, v28
	s_cbranch_execz .LBB84_11
; %bb.10:
	v_lshrrev_b32_e32 v10, 24, v10
	v_lshlrev_b32_e32 v12, 3, v12
	s_delay_alu instid0(VALU_DEP_2) | instskip(NEXT) | instid1(VALU_DEP_2)
	v_add_nc_u32_e32 v10, v8, v10
	v_sub_nc_u32_e32 v8, v8, v12
	s_delay_alu instid0(VALU_DEP_2) | instskip(NEXT) | instid1(VALU_DEP_1)
	v_ashrrev_i32_e32 v10, 8, v10
	v_lshl_add_u32 v8, v10, 3, v8
	s_delay_alu instid0(VALU_DEP_1)
	v_cmp_ne_u32_e32 vcc_lo, 7, v8
	v_cndmask_b32_e32 v3, 0xff800000, v3, vcc_lo
	v_cmp_ne_u32_e32 vcc_lo, 6, v8
	v_cndmask_b32_e32 v2, 0xff800000, v2, vcc_lo
	;; [unrolled: 2-line block ×8, first 2 shown]
.LBB84_11:
	s_or_b32 exec_lo, exec_lo, s0
	s_cmp_eq_u32 s8, 1
	s_cbranch_scc1 .LBB84_18
; %bb.12:
	v_add_nc_u32_e32 v12, s16, v27
	v_add_nc_u32_e32 v8, 1, v13
	;; [unrolled: 1-line block ×3, first 2 shown]
	s_add_i32 s3, s8, -1
	s_mov_b32 s14, 0x76543210
	v_add3_u32 v26, v12, v26, s18
	v_add_nc_u32_e32 v12, 1, v9
	s_branch .LBB84_14
.LBB84_13:                              ;   in Loop: Header=BB84_14 Depth=1
	s_or_b32 exec_lo, exec_lo, s0
	v_add_nc_u32_e32 v26, s16, v26
	v_add_nc_u32_e32 v8, 1, v8
	;; [unrolled: 1-line block ×4, first 2 shown]
	s_add_i32 s3, s3, -1
	s_delay_alu instid0(SALU_CYCLE_1)
	s_cmp_eq_u32 s3, 0
	s_cbranch_scc1 .LBB84_18
.LBB84_14:                              ; =>This Inner Loop Header: Depth=1
	v_cmp_gt_f32_e32 vcc_lo, v5, v4
	v_cndmask_b32_e32 v11, v4, v5, vcc_lo
	v_cndmask_b32_e32 v9, v18, v19, vcc_lo
	s_delay_alu instid0(VALU_DEP_2) | instskip(SKIP_1) | instid1(VALU_DEP_3)
	v_cmp_gt_f32_e32 vcc_lo, v6, v11
	v_cndmask_b32_e32 v11, v11, v6, vcc_lo
	v_cndmask_b32_e32 v9, v9, v20, vcc_lo
	s_delay_alu instid0(VALU_DEP_2) | instskip(SKIP_1) | instid1(VALU_DEP_3)
	v_cmp_gt_f32_e32 vcc_lo, v7, v11
	v_cndmask_b32_e32 v11, v11, v7, vcc_lo
	v_cndmask_b32_e32 v9, v9, v21, vcc_lo
	s_delay_alu instid0(VALU_DEP_2) | instskip(SKIP_1) | instid1(VALU_DEP_3)
	v_cmp_gt_f32_e32 vcc_lo, v0, v11
	v_cndmask_b32_e32 v11, v11, v0, vcc_lo
	v_cndmask_b32_e32 v9, v9, v22, vcc_lo
	s_delay_alu instid0(VALU_DEP_2) | instskip(SKIP_1) | instid1(VALU_DEP_3)
	v_cmp_gt_f32_e32 vcc_lo, v1, v11
	v_cndmask_b32_e32 v11, v11, v1, vcc_lo
	v_cndmask_b32_e32 v9, v9, v23, vcc_lo
	s_delay_alu instid0(VALU_DEP_2) | instskip(SKIP_1) | instid1(VALU_DEP_3)
	v_cmp_gt_f32_e32 vcc_lo, v2, v11
	v_cndmask_b32_e32 v11, v11, v2, vcc_lo
	v_cndmask_b32_e32 v9, v9, v24, vcc_lo
	s_delay_alu instid0(VALU_DEP_2) | instskip(NEXT) | instid1(VALU_DEP_2)
	v_cmp_gt_f32_e32 vcc_lo, v3, v11
	v_cndmask_b32_e32 v9, v9, v25, vcc_lo
	v_cndmask_b32_e32 v11, v11, v3, vcc_lo
	s_delay_alu instid0(VALU_DEP_2) | instskip(NEXT) | instid1(VALU_DEP_2)
	v_mov_b32_dpp v13, v9 quad_perm:[1,0,3,2] row_mask:0xf bank_mask:0xf
	v_mov_b32_dpp v27, v11 quad_perm:[1,0,3,2] row_mask:0xf bank_mask:0xf
	s_delay_alu instid0(VALU_DEP_2) | instskip(NEXT) | instid1(VALU_DEP_2)
	v_cmp_lt_i32_e32 vcc_lo, v13, v9
	v_cmp_eq_f32_e64 s0, v11, v27
	v_cmp_lt_f32_e64 s1, v11, v27
	s_delay_alu instid0(VALU_DEP_2)
	s_and_b32 s0, s0, vcc_lo
	s_delay_alu instid0(VALU_DEP_1) | instid1(SALU_CYCLE_1)
	s_or_b32 vcc_lo, s1, s0
	v_cndmask_b32_e32 v11, v11, v27, vcc_lo
	v_cndmask_b32_e32 v9, v9, v13, vcc_lo
	s_delay_alu instid0(VALU_DEP_2) | instskip(NEXT) | instid1(VALU_DEP_2)
	v_mov_b32_dpp v13, v11 quad_perm:[2,3,0,1] row_mask:0xf bank_mask:0xf
	v_mov_b32_dpp v27, v9 quad_perm:[2,3,0,1] row_mask:0xf bank_mask:0xf
	s_delay_alu instid0(VALU_DEP_2) | instskip(NEXT) | instid1(VALU_DEP_2)
	v_cmp_eq_f32_e32 vcc_lo, v11, v13
	v_cmp_lt_i32_e64 s0, v27, v9
	v_cmp_lt_f32_e64 s1, v11, v13
	s_delay_alu instid0(VALU_DEP_2)
	s_and_b32 s0, vcc_lo, s0
	s_delay_alu instid0(VALU_DEP_1) | instid1(SALU_CYCLE_1)
	s_or_b32 vcc_lo, s1, s0
	v_cndmask_b32_e32 v11, v11, v13, vcc_lo
	v_cndmask_b32_e32 v9, v9, v27, vcc_lo
	s_delay_alu instid0(VALU_DEP_2) | instskip(NEXT) | instid1(VALU_DEP_2)
	v_mov_b32_dpp v13, v11 row_xmask:7 row_mask:0xf bank_mask:0xf
	v_mov_b32_dpp v27, v9 row_xmask:7 row_mask:0xf bank_mask:0xf
	s_delay_alu instid0(VALU_DEP_2) | instskip(NEXT) | instid1(VALU_DEP_2)
	v_cmp_eq_f32_e32 vcc_lo, v11, v13
	v_cmp_lt_i32_e64 s0, v27, v9
	v_cmp_lt_f32_e64 s1, v11, v13
	s_delay_alu instid0(VALU_DEP_2)
	s_and_b32 s0, vcc_lo, s0
	s_delay_alu instid0(VALU_DEP_1) | instid1(SALU_CYCLE_1)
	s_or_b32 vcc_lo, s1, s0
	v_cndmask_b32_e32 v11, v11, v13, vcc_lo
	v_cndmask_b32_e32 v13, v9, v27, vcc_lo
	s_delay_alu instid0(VALU_DEP_2) | instskip(NEXT) | instid1(VALU_DEP_2)
	v_mov_b32_dpp v9, v11 row_xmask:15 row_mask:0xf bank_mask:0xf
	v_mov_b32_dpp v27, v13 row_xmask:15 row_mask:0xf bank_mask:0xf
	s_delay_alu instid0(VALU_DEP_2) | instskip(NEXT) | instid1(VALU_DEP_2)
	v_cmp_eq_f32_e32 vcc_lo, v11, v9
	v_cmp_lt_i32_e64 s0, v27, v13
	v_cmp_lt_f32_e64 s1, v11, v9
	s_delay_alu instid0(VALU_DEP_2)
	s_and_b32 s0, vcc_lo, s0
	s_delay_alu instid0(VALU_DEP_1) | instid1(SALU_CYCLE_1)
	s_or_b32 vcc_lo, s1, s0
	v_cndmask_b32_e32 v9, v11, v9, vcc_lo
	v_cndmask_b32_e32 v13, v13, v27, vcc_lo
	s_delay_alu instid0(VALU_DEP_2) | instskip(NEXT) | instid1(VALU_DEP_2)
	v_permlanex16_b32 v11, v9, s14, 0xfedcba98 op_sel:[1,1]
	v_permlanex16_b32 v27, v13, s14, 0xfedcba98 op_sel:[1,1]
	s_delay_alu instid0(VALU_DEP_2) | instskip(NEXT) | instid1(VALU_DEP_2)
	v_cmp_eq_f32_e32 vcc_lo, v9, v11
	v_cmp_lt_i32_e64 s0, v27, v13
	v_cmp_lt_f32_e64 s1, v9, v11
	s_delay_alu instid0(VALU_DEP_2)
	s_and_b32 s0, vcc_lo, s0
	s_delay_alu instid0(VALU_DEP_1) | instid1(SALU_CYCLE_1)
	s_or_b32 vcc_lo, s1, s0
	v_cndmask_b32_e32 v27, v13, v27, vcc_lo
	s_and_saveexec_b32 s1, s2
	s_cbranch_execz .LBB84_16
; %bb.15:                               ;   in Loop: Header=BB84_14 Depth=1
	v_cndmask_b32_e32 v9, v9, v11, vcc_lo
	s_delay_alu instid0(VALU_DEP_2) | instskip(SKIP_3) | instid1(VALU_DEP_3)
	v_cmp_le_i32_e32 vcc_lo, s9, v27
	v_cmp_gt_i32_e64 s0, s10, v27
	v_subrev_nc_u32_e32 v35, s9, v27
	v_ashrrev_i32_e32 v13, 31, v12
	s_and_b32 s0, vcc_lo, s0
	s_delay_alu instid0(SALU_CYCLE_1) | instskip(SKIP_1) | instid1(VALU_DEP_1)
	s_and_b32 vcc_lo, s17, s0
	v_sub_f32_e32 v34, v9, v16
	v_mul_f32_e32 v9, 0x3fb8aa3b, v34
	s_delay_alu instid0(VALU_DEP_1) | instskip(SKIP_1) | instid1(VALU_DEP_2)
	v_fma_f32 v11, 0x3fb8aa3b, v34, -v9
	v_rndne_f32_e32 v28, v9
	v_fmac_f32_e32 v11, 0x32a5705f, v34
	s_delay_alu instid0(VALU_DEP_2) | instskip(SKIP_2) | instid1(VALU_DEP_3)
	v_sub_f32_e32 v9, v9, v28
	v_cvt_i32_f32_e32 v33, v28
	v_lshlrev_b64 v[28:29], 2, v[12:13]
	v_add_f32_e32 v9, v9, v11
	v_ashrrev_i32_e32 v11, 31, v10
	s_delay_alu instid0(VALU_DEP_2) | instskip(SKIP_1) | instid1(VALU_DEP_2)
	v_exp_f32_e32 v32, v9
	v_ashrrev_i32_e32 v9, 31, v8
	v_lshlrev_b64 v[30:31], 2, v[10:11]
	s_waitcnt_depctr 0xfff
	v_ldexp_f32 v11, v32, v33
	v_lshlrev_b64 v[32:33], 2, v[8:9]
	v_cndmask_b32_e32 v9, 0x100, v35, vcc_lo
	v_cmp_ngt_f32_e32 vcc_lo, 0xc2ce8ed0, v34
	s_delay_alu instid0(VALU_DEP_4) | instskip(SKIP_3) | instid1(VALU_DEP_4)
	v_cndmask_b32_e32 v11, 0, v11, vcc_lo
	v_add_co_u32 v28, vcc_lo, s12, v28
	v_add_co_ci_u32_e32 v29, vcc_lo, s13, v29, vcc_lo
	v_cmp_nlt_f32_e32 vcc_lo, 0x42b17218, v34
	v_cndmask_b32_e32 v11, 0x7f800000, v11, vcc_lo
	s_waitcnt lgkmcnt(0)
	v_add_co_u32 v30, vcc_lo, s4, v30
	v_add_co_ci_u32_e32 v31, vcc_lo, s5, v31, vcc_lo
	s_delay_alu instid0(VALU_DEP_3)
	v_add_f32_e32 v14, v14, v11
	v_add_co_u32 v32, vcc_lo, s6, v32
	v_add_co_ci_u32_e32 v33, vcc_lo, s7, v33, vcc_lo
	global_store_b32 v[28:29], v11, off
	global_store_b32 v[30:31], v9, off
	;; [unrolled: 1-line block ×3, first 2 shown]
.LBB84_16:                              ;   in Loop: Header=BB84_14 Depth=1
	s_or_b32 exec_lo, exec_lo, s1
	s_delay_alu instid0(VALU_DEP_1) | instskip(SKIP_1) | instid1(VALU_DEP_1)
	v_ashrrev_i32_e32 v9, 31, v27
	s_mov_b32 s0, exec_lo
	v_lshrrev_b32_e32 v11, 29, v9
	s_delay_alu instid0(VALU_DEP_1) | instskip(NEXT) | instid1(VALU_DEP_1)
	v_add_nc_u32_e32 v11, v27, v11
	v_ashrrev_i32_e32 v13, 31, v11
	v_ashrrev_i32_e32 v11, 3, v11
	s_delay_alu instid0(VALU_DEP_2) | instskip(NEXT) | instid1(VALU_DEP_1)
	v_lshrrev_b32_e32 v13, 27, v13
	v_add_nc_u32_e32 v13, v11, v13
	s_delay_alu instid0(VALU_DEP_1) | instskip(NEXT) | instid1(VALU_DEP_1)
	v_and_b32_e32 v13, 0xffffffe0, v13
	v_sub_nc_u32_e32 v13, v11, v13
	s_delay_alu instid0(VALU_DEP_1)
	v_cmpx_eq_u32_e64 v17, v13
	s_cbranch_execz .LBB84_13
; %bb.17:                               ;   in Loop: Header=BB84_14 Depth=1
	v_lshrrev_b32_e32 v9, 24, v9
	v_lshlrev_b32_e32 v11, 3, v11
	s_delay_alu instid0(VALU_DEP_2) | instskip(NEXT) | instid1(VALU_DEP_2)
	v_add_nc_u32_e32 v9, v27, v9
	v_sub_nc_u32_e32 v11, v27, v11
	s_delay_alu instid0(VALU_DEP_2) | instskip(NEXT) | instid1(VALU_DEP_1)
	v_ashrrev_i32_e32 v9, 8, v9
	v_lshl_add_u32 v9, v9, 3, v11
	s_delay_alu instid0(VALU_DEP_1)
	v_cmp_ne_u32_e32 vcc_lo, 7, v9
	v_cndmask_b32_e32 v3, 0xff800000, v3, vcc_lo
	v_cmp_ne_u32_e32 vcc_lo, 6, v9
	v_cndmask_b32_e32 v2, 0xff800000, v2, vcc_lo
	;; [unrolled: 2-line block ×8, first 2 shown]
	s_branch .LBB84_13
.LBB84_18:
	s_delay_alu instid0(VALU_DEP_1)
	v_sub_f32_e32 v7, v7, v16
	v_sub_f32_e32 v6, v6, v16
	;; [unrolled: 1-line block ×5, first 2 shown]
	v_mul_f32_e32 v11, 0x3fb8aa3b, v7
	v_dual_sub_f32 v5, v5, v16 :: v_dual_mul_f32 v10, 0x3fb8aa3b, v6
	v_sub_f32_e32 v4, v4, v16
	s_delay_alu instid0(VALU_DEP_3) | instskip(NEXT) | instid1(VALU_DEP_3)
	v_rndne_f32_e32 v22, v11
	v_mul_f32_e32 v9, 0x3fb8aa3b, v5
	s_delay_alu instid0(VALU_DEP_4) | instskip(SKIP_2) | instid1(VALU_DEP_4)
	v_fma_f32 v19, 0x3fb8aa3b, v6, -v10
	v_rndne_f32_e32 v20, v10
	v_cmp_ngt_f32_e32 vcc_lo, 0xc2ce8ed0, v4
	v_rndne_f32_e32 v18, v9
	v_mul_f32_e32 v8, 0x3fb8aa3b, v4
	v_fma_f32 v17, 0x3fb8aa3b, v5, -v9
	v_dual_fmac_f32 v19, 0x32a5705f, v6 :: v_dual_sub_f32 v10, v10, v20
	s_delay_alu instid0(VALU_DEP_4) | instskip(NEXT) | instid1(VALU_DEP_4)
	v_sub_f32_e32 v9, v9, v18
	v_fma_f32 v12, 0x3fb8aa3b, v4, -v8
	v_rndne_f32_e32 v13, v8
	s_delay_alu instid0(VALU_DEP_4) | instskip(NEXT) | instid1(VALU_DEP_3)
	v_dual_fmac_f32 v17, 0x32a5705f, v5 :: v_dual_add_f32 v10, v10, v19
	v_fmac_f32_e32 v12, 0x32a5705f, v4
	s_delay_alu instid0(VALU_DEP_3) | instskip(NEXT) | instid1(VALU_DEP_3)
	v_sub_f32_e32 v8, v8, v13
	v_add_f32_e32 v9, v9, v17
	v_fma_f32 v21, 0x3fb8aa3b, v7, -v11
	v_sub_f32_e32 v11, v11, v22
	v_exp_f32_e32 v10, v10
	v_add_f32_e32 v8, v8, v12
	v_exp_f32_e32 v9, v9
	v_cvt_i32_f32_e32 v12, v13
	v_cvt_i32_f32_e32 v13, v18
	s_delay_alu instid0(VALU_DEP_3)
	v_exp_f32_e32 v8, v8
	s_waitcnt_depctr 0xfff
	v_ldexp_f32 v9, v9, v13
	v_mul_f32_e32 v13, 0x3fb8aa3b, v3
	v_ldexp_f32 v8, v8, v12
	v_fmac_f32_e32 v21, 0x32a5705f, v7
	v_cvt_i32_f32_e32 v12, v20
	s_delay_alu instid0(VALU_DEP_3) | instskip(SKIP_1) | instid1(VALU_DEP_3)
	v_cndmask_b32_e32 v8, 0, v8, vcc_lo
	v_cmp_ngt_f32_e32 vcc_lo, 0xc2ce8ed0, v5
	v_ldexp_f32 v10, v10, v12
	v_cndmask_b32_e32 v9, 0, v9, vcc_lo
	v_cmp_nlt_f32_e32 vcc_lo, 0x42b17218, v4
	v_dual_add_f32 v11, v11, v21 :: v_dual_cndmask_b32 v4, 0x7f800000, v8
	v_cmp_nlt_f32_e32 vcc_lo, 0x42b17218, v5
	s_delay_alu instid0(VALU_DEP_2)
	v_exp_f32_e32 v11, v11
	v_cndmask_b32_e32 v5, 0x7f800000, v9, vcc_lo
	v_cmp_ngt_f32_e32 vcc_lo, 0xc2ce8ed0, v6
	v_cvt_i32_f32_e32 v9, v22
	v_cndmask_b32_e32 v8, 0, v10, vcc_lo
	v_cmp_nlt_f32_e32 vcc_lo, 0x42b17218, v6
	v_add_f32_e32 v4, v4, v5
	v_mul_f32_e32 v6, 0x3fb8aa3b, v0
	s_delay_alu instid0(VALU_DEP_4) | instskip(NEXT) | instid1(TRANS32_DEP_1)
	v_cndmask_b32_e32 v5, 0x7f800000, v8, vcc_lo
	v_ldexp_f32 v8, v11, v9
	s_delay_alu instid0(VALU_DEP_3) | instskip(SKIP_1) | instid1(VALU_DEP_4)
	v_rndne_f32_e32 v9, v6
	v_cmp_ngt_f32_e32 vcc_lo, 0xc2ce8ed0, v7
	v_add_f32_e32 v4, v4, v5
	v_fma_f32 v5, 0x3fb8aa3b, v0, -v6
	s_delay_alu instid0(VALU_DEP_4) | instskip(SKIP_1) | instid1(VALU_DEP_3)
	v_sub_f32_e32 v6, v6, v9
	v_cvt_i32_f32_e32 v9, v9
	v_fmac_f32_e32 v5, 0x32a5705f, v0
	v_cndmask_b32_e32 v8, 0, v8, vcc_lo
	v_cmp_nlt_f32_e32 vcc_lo, 0x42b17218, v7
	s_delay_alu instid0(VALU_DEP_3) | instskip(NEXT) | instid1(VALU_DEP_3)
	v_add_f32_e32 v5, v6, v5
	v_cndmask_b32_e32 v7, 0x7f800000, v8, vcc_lo
	v_cmp_ngt_f32_e32 vcc_lo, 0xc2ce8ed0, v0
	s_delay_alu instid0(VALU_DEP_3)
	v_exp_f32_e32 v5, v5
	s_waitcnt_depctr 0xfff
	v_ldexp_f32 v5, v5, v9
	v_sub_f32_e32 v2, v2, v16
	v_rndne_f32_e32 v16, v13
	v_mul_f32_e32 v8, 0x3fb8aa3b, v1
	s_delay_alu instid0(VALU_DEP_3) | instskip(NEXT) | instid1(VALU_DEP_3)
	v_dual_cndmask_b32 v5, 0, v5 :: v_dual_mul_f32 v10, 0x3fb8aa3b, v2
	v_sub_f32_e32 v9, v13, v16
	s_delay_alu instid0(VALU_DEP_3) | instskip(SKIP_1) | instid1(VALU_DEP_4)
	v_fma_f32 v6, 0x3fb8aa3b, v1, -v8
	v_cmp_nlt_f32_e32 vcc_lo, 0x42b17218, v0
	v_fma_f32 v11, 0x3fb8aa3b, v2, -v10
	v_add_f32_e32 v4, v4, v7
	v_rndne_f32_e32 v7, v8
	v_fmac_f32_e32 v6, 0x32a5705f, v1
	v_rndne_f32_e32 v12, v10
	v_fmac_f32_e32 v11, 0x32a5705f, v2
	v_cndmask_b32_e32 v0, 0x7f800000, v5, vcc_lo
	v_sub_f32_e32 v8, v8, v7
	v_cvt_i32_f32_e32 v7, v7
	v_cmp_ngt_f32_e32 vcc_lo, 0xc2ce8ed0, v1
	v_cvt_i32_f32_e32 v5, v12
	v_add_f32_e32 v0, v4, v0
	v_add_f32_e32 v6, v8, v6
	s_delay_alu instid0(VALU_DEP_1) | instskip(SKIP_2) | instid1(VALU_DEP_1)
	v_exp_f32_e32 v6, v6
	s_waitcnt_depctr 0xfff
	v_ldexp_f32 v6, v6, v7
	v_cndmask_b32_e32 v6, 0, v6, vcc_lo
	v_cmp_nlt_f32_e32 vcc_lo, 0x42b17218, v1
	v_sub_f32_e32 v8, v10, v12
	v_fma_f32 v10, 0x3fb8aa3b, v3, -v13
	s_delay_alu instid0(VALU_DEP_2) | instskip(NEXT) | instid1(VALU_DEP_2)
	v_dual_cndmask_b32 v1, 0x7f800000, v6 :: v_dual_add_f32 v8, v8, v11
	v_fmac_f32_e32 v10, 0x32a5705f, v3
	v_cmp_ngt_f32_e32 vcc_lo, 0xc2ce8ed0, v2
	s_delay_alu instid0(VALU_DEP_3) | instskip(NEXT) | instid1(VALU_DEP_4)
	v_add_f32_e32 v0, v0, v1
	v_exp_f32_e32 v8, v8
	s_delay_alu instid0(VALU_DEP_3) | instskip(NEXT) | instid1(VALU_DEP_1)
	v_add_f32_e32 v9, v9, v10
	v_exp_f32_e32 v7, v9
	s_waitcnt_depctr 0xfff
	v_ldexp_f32 v4, v8, v5
	v_cvt_i32_f32_e32 v5, v16
	s_delay_alu instid0(VALU_DEP_2) | instskip(SKIP_1) | instid1(VALU_DEP_3)
	v_cndmask_b32_e32 v4, 0, v4, vcc_lo
	v_cmp_nlt_f32_e32 vcc_lo, 0x42b17218, v2
	v_ldexp_f32 v5, v7, v5
	s_delay_alu instid0(VALU_DEP_3) | instskip(SKIP_1) | instid1(VALU_DEP_2)
	v_cndmask_b32_e32 v1, 0x7f800000, v4, vcc_lo
	v_cmp_ngt_f32_e32 vcc_lo, 0xc2ce8ed0, v3
	v_add_f32_e32 v0, v0, v1
	s_delay_alu instid0(VALU_DEP_4) | instskip(SKIP_1) | instid1(VALU_DEP_2)
	v_cndmask_b32_e32 v2, 0, v5, vcc_lo
	v_cmp_nlt_f32_e32 vcc_lo, 0x42b17218, v3
	v_cndmask_b32_e32 v1, 0x7f800000, v2, vcc_lo
	s_delay_alu instid0(VALU_DEP_1) | instskip(NEXT) | instid1(VALU_DEP_1)
	v_add_f32_e32 v0, v0, v1
	v_mov_b32_dpp v1, v0 quad_perm:[1,0,3,2] row_mask:0xf bank_mask:0xf
	s_delay_alu instid0(VALU_DEP_1) | instskip(NEXT) | instid1(VALU_DEP_1)
	v_add_f32_e32 v0, v0, v1
	v_mov_b32_dpp v1, v0 quad_perm:[2,3,0,1] row_mask:0xf bank_mask:0xf
	s_delay_alu instid0(VALU_DEP_1) | instskip(NEXT) | instid1(VALU_DEP_1)
	v_add_f32_e32 v0, v0, v1
	v_mov_b32_dpp v1, v0 row_xmask:7 row_mask:0xf bank_mask:0xf
	s_delay_alu instid0(VALU_DEP_1) | instskip(NEXT) | instid1(VALU_DEP_1)
	v_add_f32_e32 v0, v0, v1
	v_mov_b32_dpp v1, v0 row_xmask:15 row_mask:0xf bank_mask:0xf
	s_and_b32 exec_lo, exec_lo, s2
	s_cbranch_execz .LBB84_23
; %bb.19:
	s_delay_alu instid0(VALU_DEP_1)
	v_add_f32_e32 v0, v0, v1
	s_mov_b32 s0, 0x76543210
	s_delay_alu instid0(VALU_DEP_1) | instid1(SALU_CYCLE_1)
	v_permlanex16_b32 v1, v0, s0, 0xfedcba98 op_sel:[1,1]
	s_delay_alu instid0(VALU_DEP_1) | instskip(NEXT) | instid1(VALU_DEP_1)
	v_add_f32_e32 v0, v0, v1
	v_add_f32_e32 v0, v14, v0
	s_delay_alu instid0(VALU_DEP_1)
	v_cmp_neq_f32_e32 vcc_lo, 0, v0
	s_and_b32 exec_lo, exec_lo, vcc_lo
	s_cbranch_execz .LBB84_23
; %bb.20:
	s_and_not1_b32 vcc_lo, exec_lo, s15
	s_cbranch_vccnz .LBB84_23
; %bb.21:
	v_div_scale_f32 v2, null, v0, v0, 1.0
	v_div_scale_f32 v4, vcc_lo, 1.0, v0, 1.0
	s_delay_alu instid0(VALU_DEP_2) | instskip(SKIP_2) | instid1(VALU_DEP_1)
	v_rcp_f32_e32 v3, v2
	s_waitcnt_depctr 0xfff
	v_fma_f32 v1, -v2, v3, 1.0
	v_fmac_f32_e32 v3, v1, v3
	v_mul_lo_u32 v1, v15, s11
	s_delay_alu instid0(VALU_DEP_2) | instskip(NEXT) | instid1(VALU_DEP_1)
	v_mul_f32_e32 v5, v4, v3
	v_fma_f32 v6, -v2, v5, v4
	s_delay_alu instid0(VALU_DEP_1) | instskip(NEXT) | instid1(VALU_DEP_1)
	v_fmac_f32_e32 v5, v6, v3
	v_fma_f32 v4, -v2, v5, v4
	v_ashrrev_i32_e32 v2, 31, v1
	s_delay_alu instid0(VALU_DEP_2) | instskip(NEXT) | instid1(VALU_DEP_2)
	v_div_fmas_f32 v5, v4, v3, v5
	v_lshlrev_b64 v[3:4], 2, v[1:2]
	s_delay_alu instid0(VALU_DEP_2) | instskip(NEXT) | instid1(VALU_DEP_2)
	v_div_fixup_f32 v2, v5, v0, 1.0
	v_add_co_u32 v0, vcc_lo, s12, v3
	s_delay_alu instid0(VALU_DEP_3)
	v_add_co_ci_u32_e32 v1, vcc_lo, s13, v4, vcc_lo
.LBB84_22:                              ; =>This Inner Loop Header: Depth=1
	global_load_b32 v3, v[0:1], off
	s_add_i32 s8, s8, -1
	s_delay_alu instid0(SALU_CYCLE_1)
	s_cmp_lg_u32 s8, 0
	s_waitcnt vmcnt(0)
	v_mul_f32_e32 v3, v2, v3
	global_store_b32 v[0:1], v3, off
	v_add_co_u32 v0, vcc_lo, v0, 4
	v_add_co_ci_u32_e32 v1, vcc_lo, 0, v1, vcc_lo
	s_cbranch_scc1 .LBB84_22
.LBB84_23:
	s_nop 0
	s_sendmsg sendmsg(MSG_DEALLOC_VGPRS)
	s_endpgm
	.section	.rodata,"a",@progbits
	.p2align	6, 0x0
	.amdhsa_kernel _ZN4vllm3moe17topkGatingSoftmaxIfLi8ELi256ELi8ELi32ELb0ELi1ELNS0_23SharedExpertScoringFuncE1EEEvPKT_PKbPfiPiS9_iiiiii
		.amdhsa_group_segment_fixed_size 0
		.amdhsa_private_segment_fixed_size 0
		.amdhsa_kernarg_size 72
		.amdhsa_user_sgpr_count 15
		.amdhsa_user_sgpr_dispatch_ptr 0
		.amdhsa_user_sgpr_queue_ptr 0
		.amdhsa_user_sgpr_kernarg_segment_ptr 1
		.amdhsa_user_sgpr_dispatch_id 0
		.amdhsa_user_sgpr_private_segment_size 0
		.amdhsa_wavefront_size32 1
		.amdhsa_uses_dynamic_stack 0
		.amdhsa_enable_private_segment 0
		.amdhsa_system_sgpr_workgroup_id_x 1
		.amdhsa_system_sgpr_workgroup_id_y 0
		.amdhsa_system_sgpr_workgroup_id_z 0
		.amdhsa_system_sgpr_workgroup_info 0
		.amdhsa_system_vgpr_workitem_id 1
		.amdhsa_next_free_vgpr 37
		.amdhsa_next_free_sgpr 19
		.amdhsa_reserve_vcc 1
		.amdhsa_float_round_mode_32 0
		.amdhsa_float_round_mode_16_64 0
		.amdhsa_float_denorm_mode_32 3
		.amdhsa_float_denorm_mode_16_64 3
		.amdhsa_dx10_clamp 1
		.amdhsa_ieee_mode 1
		.amdhsa_fp16_overflow 0
		.amdhsa_workgroup_processor_mode 1
		.amdhsa_memory_ordered 1
		.amdhsa_forward_progress 0
		.amdhsa_shared_vgpr_count 0
		.amdhsa_exception_fp_ieee_invalid_op 0
		.amdhsa_exception_fp_denorm_src 0
		.amdhsa_exception_fp_ieee_div_zero 0
		.amdhsa_exception_fp_ieee_overflow 0
		.amdhsa_exception_fp_ieee_underflow 0
		.amdhsa_exception_fp_ieee_inexact 0
		.amdhsa_exception_int_div_zero 0
	.end_amdhsa_kernel
	.section	.text._ZN4vllm3moe17topkGatingSoftmaxIfLi8ELi256ELi8ELi32ELb0ELi1ELNS0_23SharedExpertScoringFuncE1EEEvPKT_PKbPfiPiS9_iiiiii,"axG",@progbits,_ZN4vllm3moe17topkGatingSoftmaxIfLi8ELi256ELi8ELi32ELb0ELi1ELNS0_23SharedExpertScoringFuncE1EEEvPKT_PKbPfiPiS9_iiiiii,comdat
.Lfunc_end84:
	.size	_ZN4vllm3moe17topkGatingSoftmaxIfLi8ELi256ELi8ELi32ELb0ELi1ELNS0_23SharedExpertScoringFuncE1EEEvPKT_PKbPfiPiS9_iiiiii, .Lfunc_end84-_ZN4vllm3moe17topkGatingSoftmaxIfLi8ELi256ELi8ELi32ELb0ELi1ELNS0_23SharedExpertScoringFuncE1EEEvPKT_PKbPfiPiS9_iiiiii
                                        ; -- End function
	.section	.AMDGPU.csdata,"",@progbits
; Kernel info:
; codeLenInByte = 3784
; NumSgprs: 21
; NumVgprs: 37
; ScratchSize: 0
; MemoryBound: 0
; FloatMode: 240
; IeeeMode: 1
; LDSByteSize: 0 bytes/workgroup (compile time only)
; SGPRBlocks: 2
; VGPRBlocks: 4
; NumSGPRsForWavesPerEU: 21
; NumVGPRsForWavesPerEU: 37
; Occupancy: 16
; WaveLimiterHint : 0
; COMPUTE_PGM_RSRC2:SCRATCH_EN: 0
; COMPUTE_PGM_RSRC2:USER_SGPR: 15
; COMPUTE_PGM_RSRC2:TRAP_HANDLER: 0
; COMPUTE_PGM_RSRC2:TGID_X_EN: 1
; COMPUTE_PGM_RSRC2:TGID_Y_EN: 0
; COMPUTE_PGM_RSRC2:TGID_Z_EN: 0
; COMPUTE_PGM_RSRC2:TIDIG_COMP_CNT: 1
	.section	.text._ZN4vllm3moe17topkGatingSoftmaxIfLi8ELi256ELi8ELi32ELb1ELi2ELNS0_23SharedExpertScoringFuncE1EEEvPKT_PKbPfiPiS9_iiiiii,"axG",@progbits,_ZN4vllm3moe17topkGatingSoftmaxIfLi8ELi256ELi8ELi32ELb1ELi2ELNS0_23SharedExpertScoringFuncE1EEEvPKT_PKbPfiPiS9_iiiiii,comdat
	.protected	_ZN4vllm3moe17topkGatingSoftmaxIfLi8ELi256ELi8ELi32ELb1ELi2ELNS0_23SharedExpertScoringFuncE1EEEvPKT_PKbPfiPiS9_iiiiii ; -- Begin function _ZN4vllm3moe17topkGatingSoftmaxIfLi8ELi256ELi8ELi32ELb1ELi2ELNS0_23SharedExpertScoringFuncE1EEEvPKT_PKbPfiPiS9_iiiiii
	.globl	_ZN4vllm3moe17topkGatingSoftmaxIfLi8ELi256ELi8ELi32ELb1ELi2ELNS0_23SharedExpertScoringFuncE1EEEvPKT_PKbPfiPiS9_iiiiii
	.p2align	8
	.type	_ZN4vllm3moe17topkGatingSoftmaxIfLi8ELi256ELi8ELi32ELb1ELi2ELNS0_23SharedExpertScoringFuncE1EEEvPKT_PKbPfiPiS9_iiiiii,@function
_ZN4vllm3moe17topkGatingSoftmaxIfLi8ELi256ELi8ELi32ELb1ELi2ELNS0_23SharedExpertScoringFuncE1EEEvPKT_PKbPfiPiS9_iiiiii: ; @_ZN4vllm3moe17topkGatingSoftmaxIfLi8ELi256ELi8ELi32ELb1ELi2ELNS0_23SharedExpertScoringFuncE1EEEvPKT_PKbPfiPiS9_iiiiii
; %bb.0:
	s_load_b32 s16, s[0:1], 0x18
	v_and_b32_e32 v1, 0x3ff, v0
	v_bfe_u32 v8, v0, 10, 10
	s_lshl_b32 s18, s15, 3
	s_mov_b32 s2, exec_lo
	s_delay_alu instid0(VALU_DEP_2) | instskip(NEXT) | instid1(VALU_DEP_1)
	v_lshrrev_b32_e32 v25, 5, v1
	v_add3_u32 v15, s18, v8, v25
	s_waitcnt lgkmcnt(0)
	s_delay_alu instid0(VALU_DEP_1)
	v_cmpx_gt_i32_e64 s16, v15
	s_cbranch_execz .LBB85_22
; %bb.1:
	s_clause 0x1
	s_load_b128 s[4:7], s[0:1], 0x0
	s_load_b64 s[12:13], s[0:1], 0x10
	s_waitcnt lgkmcnt(0)
	s_cmp_eq_u64 s[6:7], 0
	s_cbranch_scc1 .LBB85_3
; %bb.2:
	v_ashrrev_i32_e32 v0, 31, v15
	v_add_co_u32 v2, vcc_lo, s6, v15
	s_delay_alu instid0(VALU_DEP_2) | instskip(SKIP_3) | instid1(VALU_DEP_1)
	v_add_co_ci_u32_e32 v3, vcc_lo, s7, v0, vcc_lo
	global_load_u8 v0, v[2:3], off
	s_waitcnt vmcnt(0)
	v_and_b32_e32 v0, 1, v0
	v_cmp_eq_u32_e32 vcc_lo, 1, v0
	s_xor_b32 s2, vcc_lo, -1
	s_delay_alu instid0(SALU_CYCLE_1)
	s_or_not1_b32 s17, s2, exec_lo
	s_branch .LBB85_4
.LBB85_3:
	s_mov_b32 s17, -1
.LBB85_4:
	s_clause 0x1
	s_load_b64 s[14:15], s[0:1], 0x40
	s_load_b128 s[8:11], s[0:1], 0x30
	v_and_b32_e32 v16, 31, v1
	s_mov_b32 s2, exec_lo
	s_delay_alu instid0(VALU_DEP_1) | instskip(SKIP_2) | instid1(VALU_DEP_1)
	v_dual_mov_b32 v14, 0 :: v_dual_lshlrev_b32 v17, 3, v16
	s_waitcnt lgkmcnt(0)
	v_mul_lo_u32 v2, v15, s15
	v_ashrrev_i32_e32 v3, 31, v2
	s_delay_alu instid0(VALU_DEP_1) | instskip(SKIP_1) | instid1(VALU_DEP_2)
	v_lshlrev_b64 v[0:1], 2, v[2:3]
	v_lshlrev_b32_e32 v2, 5, v16
	v_add_co_u32 v9, vcc_lo, s4, v0
	s_delay_alu instid0(VALU_DEP_3) | instskip(NEXT) | instid1(VALU_DEP_2)
	v_add_co_ci_u32_e32 v10, vcc_lo, s5, v1, vcc_lo
	v_add_co_u32 v4, vcc_lo, v9, v2
	s_delay_alu instid0(VALU_DEP_2)
	v_add_co_ci_u32_e32 v5, vcc_lo, 0, v10, vcc_lo
	s_clause 0x1
	global_load_b128 v[0:3], v[4:5], off offset:16
	global_load_b128 v[4:7], v[4:5], off
	v_cmpx_gt_u32_e32 2, v16
	s_cbranch_execz .LBB85_6
; %bb.5:
	v_lshlrev_b32_e32 v11, 2, v16
	s_delay_alu instid0(VALU_DEP_1)
	v_add_co_u32 v9, vcc_lo, v9, v11
	v_add_co_ci_u32_e32 v10, vcc_lo, 0, v10, vcc_lo
	global_load_b32 v9, v[9:10], off offset:1024
	s_waitcnt vmcnt(0)
	v_mul_f32_e32 v10, 0xbfb8aa3b, v9
	v_cmp_nlt_f32_e32 vcc_lo, 0x42ce8ed0, v9
	s_delay_alu instid0(VALU_DEP_2) | instskip(SKIP_1) | instid1(VALU_DEP_1)
	v_fma_f32 v11, 0xbfb8aa3b, v9, -v10
	v_rndne_f32_e32 v12, v10
	v_dual_fmamk_f32 v11, v9, 0xb2a5705f, v11 :: v_dual_sub_f32 v10, v10, v12
	s_delay_alu instid0(VALU_DEP_1) | instskip(SKIP_1) | instid1(VALU_DEP_2)
	v_add_f32_e32 v10, v10, v11
	v_cvt_i32_f32_e32 v11, v12
	v_exp_f32_e32 v10, v10
	s_waitcnt_depctr 0xfff
	v_ldexp_f32 v10, v10, v11
	s_delay_alu instid0(VALU_DEP_1) | instskip(SKIP_1) | instid1(VALU_DEP_2)
	v_cndmask_b32_e32 v10, 0, v10, vcc_lo
	v_cmp_ngt_f32_e32 vcc_lo, 0xc2b17218, v9
	v_cndmask_b32_e32 v9, 0x7f800000, v10, vcc_lo
	s_delay_alu instid0(VALU_DEP_1) | instskip(NEXT) | instid1(VALU_DEP_1)
	v_add_f32_e32 v11, 1.0, v9
	v_div_scale_f32 v10, null, v11, v11, 1.0
	v_div_scale_f32 v13, vcc_lo, 1.0, v11, 1.0
	s_delay_alu instid0(VALU_DEP_2) | instskip(SKIP_2) | instid1(VALU_DEP_1)
	v_rcp_f32_e32 v12, v10
	s_waitcnt_depctr 0xfff
	v_fma_f32 v9, -v10, v12, 1.0
	v_fmac_f32_e32 v12, v9, v12
	v_mul_lo_u32 v9, v15, s11
	s_delay_alu instid0(VALU_DEP_2) | instskip(NEXT) | instid1(VALU_DEP_2)
	v_mul_f32_e32 v18, v13, v12
	v_add3_u32 v9, v9, s8, v16
	s_delay_alu instid0(VALU_DEP_2) | instskip(NEXT) | instid1(VALU_DEP_1)
	v_fma_f32 v19, -v10, v18, v13
	v_fmac_f32_e32 v18, v19, v12
	s_delay_alu instid0(VALU_DEP_1) | instskip(NEXT) | instid1(VALU_DEP_4)
	v_fma_f32 v13, -v10, v18, v13
	v_ashrrev_i32_e32 v10, 31, v9
	s_delay_alu instid0(VALU_DEP_2) | instskip(NEXT) | instid1(VALU_DEP_2)
	v_div_fmas_f32 v12, v13, v12, v18
	v_lshlrev_b64 v[9:10], 2, v[9:10]
	s_delay_alu instid0(VALU_DEP_2) | instskip(NEXT) | instid1(VALU_DEP_2)
	v_div_fixup_f32 v11, v12, v11, 1.0
	v_add_co_u32 v9, vcc_lo, s12, v9
	s_delay_alu instid0(VALU_DEP_3)
	v_add_co_ci_u32_e32 v10, vcc_lo, s13, v10, vcc_lo
	global_store_b32 v[9:10], v11, off
.LBB85_6:
	s_or_b32 exec_lo, exec_lo, s2
	v_or_b32_e32 v18, 1, v17
	s_waitcnt vmcnt(0)
	v_cmp_lt_f32_e32 vcc_lo, v4, v5
	v_or_b32_e32 v19, 2, v17
	v_or_b32_e32 v20, 3, v17
	;; [unrolled: 1-line block ×4, first 2 shown]
	v_dual_cndmask_b32 v9, v17, v18 :: v_dual_cndmask_b32 v10, v4, v5
	v_or_b32_e32 v23, 6, v17
	v_or_b32_e32 v24, 7, v17
	s_delay_alu instid0(VALU_DEP_3) | instskip(NEXT) | instid1(VALU_DEP_4)
	v_cmp_lt_f32_e32 vcc_lo, v10, v6
	v_dual_cndmask_b32 v9, v9, v19 :: v_dual_cndmask_b32 v10, v10, v6
	s_delay_alu instid0(VALU_DEP_1) | instskip(NEXT) | instid1(VALU_DEP_2)
	v_cmp_lt_f32_e32 vcc_lo, v10, v7
	v_dual_cndmask_b32 v9, v9, v20 :: v_dual_cndmask_b32 v10, v10, v7
	s_delay_alu instid0(VALU_DEP_1) | instskip(NEXT) | instid1(VALU_DEP_2)
	;; [unrolled: 3-line block ×6, first 2 shown]
	v_mov_b32_dpp v11, v9 quad_perm:[1,0,3,2] row_mask:0xf bank_mask:0xf
	v_mov_b32_dpp v12, v10 quad_perm:[1,0,3,2] row_mask:0xf bank_mask:0xf
	s_delay_alu instid0(VALU_DEP_2) | instskip(NEXT) | instid1(VALU_DEP_2)
	v_cmp_lt_i32_e32 vcc_lo, v11, v9
	v_cmp_eq_f32_e64 s2, v10, v12
	v_cmp_lt_f32_e64 s3, v10, v12
	s_delay_alu instid0(VALU_DEP_2)
	s_and_b32 s2, s2, vcc_lo
	s_delay_alu instid0(VALU_DEP_1) | instid1(SALU_CYCLE_1)
	s_or_b32 vcc_lo, s3, s2
	v_dual_cndmask_b32 v10, v10, v12 :: v_dual_cndmask_b32 v9, v9, v11
	s_delay_alu instid0(VALU_DEP_1) | instskip(NEXT) | instid1(VALU_DEP_2)
	v_mov_b32_dpp v11, v10 quad_perm:[2,3,0,1] row_mask:0xf bank_mask:0xf
	v_mov_b32_dpp v12, v9 quad_perm:[2,3,0,1] row_mask:0xf bank_mask:0xf
	s_delay_alu instid0(VALU_DEP_2) | instskip(NEXT) | instid1(VALU_DEP_2)
	v_cmp_eq_f32_e32 vcc_lo, v10, v11
	v_cmp_lt_i32_e64 s2, v12, v9
	v_cmp_lt_f32_e64 s3, v10, v11
	s_delay_alu instid0(VALU_DEP_2)
	s_and_b32 s2, vcc_lo, s2
	s_delay_alu instid0(VALU_DEP_1) | instid1(SALU_CYCLE_1)
	s_or_b32 vcc_lo, s3, s2
	v_dual_cndmask_b32 v10, v10, v11 :: v_dual_cndmask_b32 v11, v9, v12
	s_delay_alu instid0(VALU_DEP_1) | instskip(NEXT) | instid1(VALU_DEP_2)
	v_mov_b32_dpp v9, v10 row_xmask:7 row_mask:0xf bank_mask:0xf
	v_mov_b32_dpp v12, v11 row_xmask:7 row_mask:0xf bank_mask:0xf
	s_delay_alu instid0(VALU_DEP_2) | instskip(NEXT) | instid1(VALU_DEP_2)
	v_cmp_eq_f32_e32 vcc_lo, v10, v9
	v_cmp_lt_i32_e64 s2, v12, v11
	v_cmp_lt_f32_e64 s3, v10, v9
	s_delay_alu instid0(VALU_DEP_2)
	s_and_b32 s2, vcc_lo, s2
	s_delay_alu instid0(VALU_DEP_1) | instid1(SALU_CYCLE_1)
	s_or_b32 vcc_lo, s3, s2
	s_cmp_gt_i32 s8, 0
	v_dual_cndmask_b32 v9, v10, v9 :: v_dual_cndmask_b32 v10, v11, v12
	v_cmp_eq_u32_e32 vcc_lo, 0, v16
	s_cselect_b32 s15, -1, 0
	s_cmp_lt_i32 s8, 1
	s_delay_alu instid0(VALU_DEP_2) | instskip(SKIP_1) | instid1(VALU_DEP_2)
	v_mov_b32_dpp v12, v9 row_xmask:15 row_mask:0xf bank_mask:0xf
	v_mov_b32_dpp v11, v10 row_xmask:15 row_mask:0xf bank_mask:0xf
	v_cmp_lt_f32_e64 s2, v9, v12
	v_cmp_eq_f32_e64 s3, v9, v12
	s_delay_alu instid0(VALU_DEP_3)
	v_cmp_lt_i32_e64 s4, v11, v10
	s_cbranch_scc1 .LBB85_18
; %bb.7:
	s_delay_alu instid0(VALU_DEP_1)
	s_and_b32 s3, s3, s4
	s_load_b128 s[4:7], s[0:1], 0x20
	s_or_b32 s2, s2, s3
	v_mul_lo_u32 v13, v15, s8
	v_cndmask_b32_e64 v12, v9, v12, s2
	v_cndmask_b32_e64 v10, v10, v11, s2
	s_mov_b32 s2, 0x76543210
	v_mul_lo_u32 v9, v15, s11
	v_mul_lo_u32 v11, v15, s14
	v_permlanex16_b32 v14, v12, s2, 0xfedcba98 op_sel:[1,1]
	v_permlanex16_b32 v26, v10, s2, 0xfedcba98 op_sel:[1,1]
	s_delay_alu instid0(VALU_DEP_2) | instskip(NEXT) | instid1(VALU_DEP_2)
	v_cmp_eq_f32_e64 s0, v12, v14
	v_cmp_lt_i32_e64 s1, v26, v10
	v_cmp_lt_f32_e64 s2, v12, v14
	s_delay_alu instid0(VALU_DEP_2)
	s_and_b32 s0, s0, s1
	s_delay_alu instid0(VALU_DEP_1) | instid1(SALU_CYCLE_1)
	s_or_b32 s0, s2, s0
	s_delay_alu instid0(SALU_CYCLE_1)
	v_cndmask_b32_e64 v27, v10, v26, s0
	v_cndmask_b32_e64 v26, v12, v14, s0
	v_mov_b32_e32 v14, 0
	s_and_saveexec_b32 s2, vcc_lo
	s_cbranch_execz .LBB85_9
; %bb.8:
	s_delay_alu instid0(VALU_DEP_2)
	v_sub_f32_e32 v34, v26, v26
	v_cmp_le_i32_e64 s0, s9, v27
	v_cmp_gt_i32_e64 s1, s10, v27
	v_subrev_nc_u32_e32 v35, s9, v27
	v_ashrrev_i32_e32 v14, 31, v13
	v_mul_f32_e32 v10, 0x3fb8aa3b, v34
	s_delay_alu instid0(VALU_DEP_4) | instskip(NEXT) | instid1(SALU_CYCLE_1)
	s_and_b32 s0, s0, s1
	s_and_b32 s0, s17, s0
	s_delay_alu instid0(VALU_DEP_1) | instskip(SKIP_2) | instid1(VALU_DEP_3)
	v_rndne_f32_e32 v30, v10
	v_fma_f32 v12, 0x3fb8aa3b, v34, -v10
	v_lshlrev_b64 v[32:33], 2, v[13:14]
	v_sub_f32_e32 v10, v10, v30
	s_delay_alu instid0(VALU_DEP_3) | instskip(NEXT) | instid1(VALU_DEP_1)
	v_fmamk_f32 v12, v34, 0x32a5705f, v12
	v_add_f32_e32 v12, v10, v12
	v_ashrrev_i32_e32 v10, 31, v9
	s_delay_alu instid0(VALU_DEP_2) | instskip(NEXT) | instid1(VALU_DEP_1)
	v_exp_f32_e32 v36, v12
	v_lshlrev_b64 v[28:29], 2, v[9:10]
	v_ashrrev_i32_e32 v12, 31, v11
	v_cvt_i32_f32_e32 v10, v30
	s_delay_alu instid0(VALU_DEP_2) | instskip(SKIP_2) | instid1(VALU_DEP_1)
	v_lshlrev_b64 v[30:31], 2, v[11:12]
	v_cndmask_b32_e64 v12, 0x100, v35, s0
	v_add_co_u32 v28, s0, s12, v28
	v_add_co_ci_u32_e64 v29, s0, s13, v29, s0
	s_delay_alu instid0(TRANS32_DEP_1) | instskip(SKIP_1) | instid1(VALU_DEP_1)
	v_ldexp_f32 v10, v36, v10
	v_cmp_ngt_f32_e64 s0, 0xc2ce8ed0, v34
	v_cndmask_b32_e64 v10, 0, v10, s0
	s_waitcnt lgkmcnt(0)
	v_add_co_u32 v30, s0, s4, v30
	s_delay_alu instid0(VALU_DEP_1) | instskip(SKIP_1) | instid1(VALU_DEP_1)
	v_add_co_ci_u32_e64 v31, s0, s5, v31, s0
	v_cmp_nlt_f32_e64 s0, 0x42b17218, v34
	v_cndmask_b32_e64 v14, 0x7f800000, v10, s0
	v_add_co_u32 v32, s0, s6, v32
	s_delay_alu instid0(VALU_DEP_1)
	v_add_co_ci_u32_e64 v33, s0, s7, v33, s0
	global_store_b32 v[30:31], v12, off
	global_store_b32 v[28:29], v14, off
	global_store_b32 v[32:33], v15, off
.LBB85_9:
	s_or_b32 exec_lo, exec_lo, s2
	v_ashrrev_i32_e32 v10, 31, v27
	s_mov_b32 s1, exec_lo
	s_delay_alu instid0(VALU_DEP_1) | instskip(NEXT) | instid1(VALU_DEP_1)
	v_lshrrev_b32_e32 v12, 29, v10
	v_add_nc_u32_e32 v12, v27, v12
	s_delay_alu instid0(VALU_DEP_1) | instskip(SKIP_1) | instid1(VALU_DEP_2)
	v_ashrrev_i32_e32 v28, 31, v12
	v_ashrrev_i32_e32 v12, 3, v12
	v_lshrrev_b32_e32 v28, 27, v28
	s_delay_alu instid0(VALU_DEP_1) | instskip(NEXT) | instid1(VALU_DEP_1)
	v_add_nc_u32_e32 v28, v12, v28
	v_and_b32_e32 v28, 0xffffffe0, v28
	s_delay_alu instid0(VALU_DEP_1) | instskip(NEXT) | instid1(VALU_DEP_1)
	v_sub_nc_u32_e32 v28, v12, v28
	v_cmpx_eq_u32_e64 v16, v28
	s_cbranch_execz .LBB85_11
; %bb.10:
	v_lshrrev_b32_e32 v10, 24, v10
	v_lshlrev_b32_e32 v12, 3, v12
	s_delay_alu instid0(VALU_DEP_2) | instskip(NEXT) | instid1(VALU_DEP_2)
	v_add_nc_u32_e32 v10, v27, v10
	v_sub_nc_u32_e32 v12, v27, v12
	s_delay_alu instid0(VALU_DEP_2) | instskip(NEXT) | instid1(VALU_DEP_1)
	v_ashrrev_i32_e32 v10, 8, v10
	v_lshl_add_u32 v10, v10, 3, v12
	s_delay_alu instid0(VALU_DEP_1) | instskip(NEXT) | instid1(VALU_DEP_1)
	v_cmp_ne_u32_e64 s0, 7, v10
	v_cndmask_b32_e64 v3, 0xff800000, v3, s0
	v_cmp_ne_u32_e64 s0, 6, v10
	s_delay_alu instid0(VALU_DEP_1) | instskip(SKIP_1) | instid1(VALU_DEP_1)
	v_cndmask_b32_e64 v2, 0xff800000, v2, s0
	v_cmp_ne_u32_e64 s0, 5, v10
	v_cndmask_b32_e64 v1, 0xff800000, v1, s0
	v_cmp_ne_u32_e64 s0, 4, v10
	s_delay_alu instid0(VALU_DEP_1) | instskip(SKIP_1) | instid1(VALU_DEP_1)
	v_cndmask_b32_e64 v0, 0xff800000, v0, s0
	;; [unrolled: 5-line block ×3, first 2 shown]
	v_cmp_ne_u32_e64 s0, 1, v10
	v_cndmask_b32_e64 v5, 0xff800000, v5, s0
	v_cmp_ne_u32_e64 s0, 0, v10
	s_delay_alu instid0(VALU_DEP_1)
	v_cndmask_b32_e64 v4, 0xff800000, v4, s0
.LBB85_11:
	s_or_b32 exec_lo, exec_lo, s1
	s_cmp_eq_u32 s8, 1
	s_cbranch_scc1 .LBB85_18
; %bb.12:
	v_add_nc_u32_e32 v12, s16, v8
	v_add_nc_u32_e32 v8, 1, v13
	;; [unrolled: 1-line block ×3, first 2 shown]
	s_add_i32 s3, s8, -1
	s_mov_b32 s14, 0x76543210
	v_add3_u32 v25, v12, v25, s18
	v_add_nc_u32_e32 v12, 1, v9
	s_branch .LBB85_14
.LBB85_13:                              ;   in Loop: Header=BB85_14 Depth=1
	s_or_b32 exec_lo, exec_lo, s1
	v_add_nc_u32_e32 v25, s16, v25
	v_add_nc_u32_e32 v8, 1, v8
	;; [unrolled: 1-line block ×4, first 2 shown]
	s_add_i32 s3, s3, -1
	s_delay_alu instid0(SALU_CYCLE_1)
	s_cmp_eq_u32 s3, 0
	s_cbranch_scc1 .LBB85_18
.LBB85_14:                              ; =>This Inner Loop Header: Depth=1
	v_cmp_gt_f32_e64 s0, v5, v4
	s_delay_alu instid0(VALU_DEP_1) | instskip(SKIP_1) | instid1(VALU_DEP_2)
	v_cndmask_b32_e64 v11, v4, v5, s0
	v_cndmask_b32_e64 v9, v17, v18, s0
	v_cmp_gt_f32_e64 s0, v6, v11
	s_delay_alu instid0(VALU_DEP_1) | instskip(NEXT) | instid1(VALU_DEP_3)
	v_cndmask_b32_e64 v11, v11, v6, s0
	v_cndmask_b32_e64 v9, v9, v19, s0
	s_delay_alu instid0(VALU_DEP_2) | instskip(NEXT) | instid1(VALU_DEP_1)
	v_cmp_gt_f32_e64 s0, v7, v11
	v_cndmask_b32_e64 v11, v11, v7, s0
	s_delay_alu instid0(VALU_DEP_3) | instskip(NEXT) | instid1(VALU_DEP_2)
	v_cndmask_b32_e64 v9, v9, v20, s0
	v_cmp_gt_f32_e64 s0, v0, v11
	s_delay_alu instid0(VALU_DEP_1) | instskip(NEXT) | instid1(VALU_DEP_3)
	v_cndmask_b32_e64 v11, v11, v0, s0
	v_cndmask_b32_e64 v9, v9, v21, s0
	s_delay_alu instid0(VALU_DEP_2) | instskip(NEXT) | instid1(VALU_DEP_1)
	v_cmp_gt_f32_e64 s0, v1, v11
	v_cndmask_b32_e64 v11, v11, v1, s0
	s_delay_alu instid0(VALU_DEP_3) | instskip(NEXT) | instid1(VALU_DEP_2)
	v_cndmask_b32_e64 v9, v9, v22, s0
	v_cmp_gt_f32_e64 s0, v2, v11
	s_delay_alu instid0(VALU_DEP_1) | instskip(NEXT) | instid1(VALU_DEP_3)
	v_cndmask_b32_e64 v11, v11, v2, s0
	v_cndmask_b32_e64 v9, v9, v23, s0
	s_delay_alu instid0(VALU_DEP_2) | instskip(NEXT) | instid1(VALU_DEP_1)
	v_cmp_gt_f32_e64 s0, v3, v11
	v_cndmask_b32_e64 v9, v9, v24, s0
	v_cndmask_b32_e64 v11, v11, v3, s0
	s_delay_alu instid0(VALU_DEP_2) | instskip(NEXT) | instid1(VALU_DEP_2)
	v_mov_b32_dpp v13, v9 quad_perm:[1,0,3,2] row_mask:0xf bank_mask:0xf
	v_mov_b32_dpp v27, v11 quad_perm:[1,0,3,2] row_mask:0xf bank_mask:0xf
	s_delay_alu instid0(VALU_DEP_2) | instskip(NEXT) | instid1(VALU_DEP_2)
	v_cmp_lt_i32_e64 s0, v13, v9
	v_cmp_eq_f32_e64 s1, v11, v27
	v_cmp_lt_f32_e64 s2, v11, v27
	s_delay_alu instid0(VALU_DEP_2)
	s_and_b32 s0, s1, s0
	s_delay_alu instid0(VALU_DEP_1) | instid1(SALU_CYCLE_1)
	s_or_b32 s0, s2, s0
	s_delay_alu instid0(SALU_CYCLE_1) | instskip(SKIP_1) | instid1(VALU_DEP_2)
	v_cndmask_b32_e64 v11, v11, v27, s0
	v_cndmask_b32_e64 v9, v9, v13, s0
	v_mov_b32_dpp v13, v11 quad_perm:[2,3,0,1] row_mask:0xf bank_mask:0xf
	s_delay_alu instid0(VALU_DEP_2) | instskip(NEXT) | instid1(VALU_DEP_2)
	v_mov_b32_dpp v27, v9 quad_perm:[2,3,0,1] row_mask:0xf bank_mask:0xf
	v_cmp_eq_f32_e64 s0, v11, v13
	s_delay_alu instid0(VALU_DEP_2) | instskip(SKIP_1) | instid1(VALU_DEP_2)
	v_cmp_lt_i32_e64 s1, v27, v9
	v_cmp_lt_f32_e64 s2, v11, v13
	s_and_b32 s0, s0, s1
	s_delay_alu instid0(VALU_DEP_1) | instid1(SALU_CYCLE_1)
	s_or_b32 s0, s2, s0
	s_delay_alu instid0(SALU_CYCLE_1) | instskip(SKIP_1) | instid1(VALU_DEP_2)
	v_cndmask_b32_e64 v11, v11, v13, s0
	v_cndmask_b32_e64 v9, v9, v27, s0
	v_mov_b32_dpp v13, v11 row_xmask:7 row_mask:0xf bank_mask:0xf
	s_delay_alu instid0(VALU_DEP_2) | instskip(NEXT) | instid1(VALU_DEP_2)
	v_mov_b32_dpp v27, v9 row_xmask:7 row_mask:0xf bank_mask:0xf
	v_cmp_eq_f32_e64 s0, v11, v13
	s_delay_alu instid0(VALU_DEP_2) | instskip(SKIP_1) | instid1(VALU_DEP_2)
	v_cmp_lt_i32_e64 s1, v27, v9
	v_cmp_lt_f32_e64 s2, v11, v13
	s_and_b32 s0, s0, s1
	s_delay_alu instid0(VALU_DEP_1) | instid1(SALU_CYCLE_1)
	s_or_b32 s0, s2, s0
	s_delay_alu instid0(SALU_CYCLE_1) | instskip(SKIP_1) | instid1(VALU_DEP_2)
	v_cndmask_b32_e64 v11, v11, v13, s0
	v_cndmask_b32_e64 v13, v9, v27, s0
	v_mov_b32_dpp v9, v11 row_xmask:15 row_mask:0xf bank_mask:0xf
	s_delay_alu instid0(VALU_DEP_2) | instskip(NEXT) | instid1(VALU_DEP_2)
	v_mov_b32_dpp v27, v13 row_xmask:15 row_mask:0xf bank_mask:0xf
	v_cmp_eq_f32_e64 s0, v11, v9
	s_delay_alu instid0(VALU_DEP_2) | instskip(SKIP_1) | instid1(VALU_DEP_2)
	v_cmp_lt_i32_e64 s1, v27, v13
	v_cmp_lt_f32_e64 s2, v11, v9
	s_and_b32 s0, s0, s1
	s_delay_alu instid0(VALU_DEP_1) | instid1(SALU_CYCLE_1)
	s_or_b32 s0, s2, s0
	s_delay_alu instid0(SALU_CYCLE_1) | instskip(SKIP_1) | instid1(VALU_DEP_2)
	v_cndmask_b32_e64 v9, v11, v9, s0
	v_cndmask_b32_e64 v13, v13, v27, s0
	v_permlanex16_b32 v11, v9, s14, 0xfedcba98 op_sel:[1,1]
	s_delay_alu instid0(VALU_DEP_2) | instskip(NEXT) | instid1(VALU_DEP_2)
	v_permlanex16_b32 v27, v13, s14, 0xfedcba98 op_sel:[1,1]
	v_cmp_eq_f32_e64 s0, v9, v11
	s_delay_alu instid0(VALU_DEP_2) | instskip(SKIP_1) | instid1(VALU_DEP_2)
	v_cmp_lt_i32_e64 s1, v27, v13
	v_cmp_lt_f32_e64 s2, v9, v11
	s_and_b32 s0, s0, s1
	s_delay_alu instid0(VALU_DEP_1) | instid1(SALU_CYCLE_1)
	s_or_b32 s0, s2, s0
	s_delay_alu instid0(SALU_CYCLE_1)
	v_cndmask_b32_e64 v27, v13, v27, s0
	s_and_saveexec_b32 s2, vcc_lo
	s_cbranch_execz .LBB85_16
; %bb.15:                               ;   in Loop: Header=BB85_14 Depth=1
	v_cndmask_b32_e64 v9, v9, v11, s0
	s_delay_alu instid0(VALU_DEP_2) | instskip(SKIP_4) | instid1(VALU_DEP_4)
	v_cmp_le_i32_e64 s0, s9, v27
	v_cmp_gt_i32_e64 s1, s10, v27
	v_ashrrev_i32_e32 v13, 31, v12
	v_subrev_nc_u32_e32 v35, s9, v27
	v_sub_f32_e32 v34, v9, v26
	s_and_b32 s0, s0, s1
	s_delay_alu instid0(SALU_CYCLE_1) | instskip(NEXT) | instid1(VALU_DEP_1)
	s_and_b32 s0, s17, s0
	v_mul_f32_e32 v9, 0x3fb8aa3b, v34
	s_delay_alu instid0(VALU_DEP_1) | instskip(SKIP_1) | instid1(VALU_DEP_2)
	v_fma_f32 v11, 0x3fb8aa3b, v34, -v9
	v_rndne_f32_e32 v28, v9
	v_fmac_f32_e32 v11, 0x32a5705f, v34
	s_delay_alu instid0(VALU_DEP_2) | instskip(SKIP_2) | instid1(VALU_DEP_3)
	v_sub_f32_e32 v9, v9, v28
	v_cvt_i32_f32_e32 v33, v28
	v_lshlrev_b64 v[28:29], 2, v[12:13]
	v_add_f32_e32 v9, v9, v11
	v_ashrrev_i32_e32 v11, 31, v10
	s_delay_alu instid0(VALU_DEP_2) | instskip(SKIP_1) | instid1(VALU_DEP_2)
	v_exp_f32_e32 v32, v9
	v_ashrrev_i32_e32 v9, 31, v8
	v_lshlrev_b64 v[30:31], 2, v[10:11]
	s_waitcnt_depctr 0xfff
	v_ldexp_f32 v11, v32, v33
	v_lshlrev_b64 v[32:33], 2, v[8:9]
	v_cndmask_b32_e64 v9, 0x100, v35, s0
	v_cmp_ngt_f32_e64 s0, 0xc2ce8ed0, v34
	s_delay_alu instid0(VALU_DEP_1) | instskip(SKIP_1) | instid1(VALU_DEP_1)
	v_cndmask_b32_e64 v11, 0, v11, s0
	v_add_co_u32 v28, s0, s12, v28
	v_add_co_ci_u32_e64 v29, s0, s13, v29, s0
	v_cmp_nlt_f32_e64 s0, 0x42b17218, v34
	s_delay_alu instid0(VALU_DEP_1) | instskip(SKIP_2) | instid1(VALU_DEP_1)
	v_cndmask_b32_e64 v11, 0x7f800000, v11, s0
	s_waitcnt lgkmcnt(0)
	v_add_co_u32 v30, s0, s4, v30
	v_add_co_ci_u32_e64 v31, s0, s5, v31, s0
	s_delay_alu instid0(VALU_DEP_3) | instskip(SKIP_1) | instid1(VALU_DEP_1)
	v_add_f32_e32 v14, v14, v11
	v_add_co_u32 v32, s0, s6, v32
	v_add_co_ci_u32_e64 v33, s0, s7, v33, s0
	global_store_b32 v[28:29], v11, off
	global_store_b32 v[30:31], v9, off
	global_store_b32 v[32:33], v25, off
.LBB85_16:                              ;   in Loop: Header=BB85_14 Depth=1
	s_or_b32 exec_lo, exec_lo, s2
	s_delay_alu instid0(VALU_DEP_1) | instskip(SKIP_1) | instid1(VALU_DEP_1)
	v_ashrrev_i32_e32 v9, 31, v27
	s_mov_b32 s1, exec_lo
	v_lshrrev_b32_e32 v11, 29, v9
	s_delay_alu instid0(VALU_DEP_1) | instskip(NEXT) | instid1(VALU_DEP_1)
	v_add_nc_u32_e32 v11, v27, v11
	v_ashrrev_i32_e32 v13, 31, v11
	v_ashrrev_i32_e32 v11, 3, v11
	s_delay_alu instid0(VALU_DEP_2) | instskip(NEXT) | instid1(VALU_DEP_1)
	v_lshrrev_b32_e32 v13, 27, v13
	v_add_nc_u32_e32 v13, v11, v13
	s_delay_alu instid0(VALU_DEP_1) | instskip(NEXT) | instid1(VALU_DEP_1)
	v_and_b32_e32 v13, 0xffffffe0, v13
	v_sub_nc_u32_e32 v13, v11, v13
	s_delay_alu instid0(VALU_DEP_1)
	v_cmpx_eq_u32_e64 v16, v13
	s_cbranch_execz .LBB85_13
; %bb.17:                               ;   in Loop: Header=BB85_14 Depth=1
	v_lshrrev_b32_e32 v9, 24, v9
	v_lshlrev_b32_e32 v11, 3, v11
	s_delay_alu instid0(VALU_DEP_2) | instskip(NEXT) | instid1(VALU_DEP_2)
	v_add_nc_u32_e32 v9, v27, v9
	v_sub_nc_u32_e32 v11, v27, v11
	s_delay_alu instid0(VALU_DEP_2) | instskip(NEXT) | instid1(VALU_DEP_1)
	v_ashrrev_i32_e32 v9, 8, v9
	v_lshl_add_u32 v9, v9, 3, v11
	s_delay_alu instid0(VALU_DEP_1) | instskip(NEXT) | instid1(VALU_DEP_1)
	v_cmp_ne_u32_e64 s0, 7, v9
	v_cndmask_b32_e64 v3, 0xff800000, v3, s0
	v_cmp_ne_u32_e64 s0, 6, v9
	s_delay_alu instid0(VALU_DEP_1) | instskip(SKIP_1) | instid1(VALU_DEP_1)
	v_cndmask_b32_e64 v2, 0xff800000, v2, s0
	v_cmp_ne_u32_e64 s0, 5, v9
	v_cndmask_b32_e64 v1, 0xff800000, v1, s0
	v_cmp_ne_u32_e64 s0, 4, v9
	s_delay_alu instid0(VALU_DEP_1) | instskip(SKIP_1) | instid1(VALU_DEP_1)
	v_cndmask_b32_e64 v0, 0xff800000, v0, s0
	v_cmp_ne_u32_e64 s0, 3, v9
	v_cndmask_b32_e64 v7, 0xff800000, v7, s0
	v_cmp_ne_u32_e64 s0, 2, v9
	s_delay_alu instid0(VALU_DEP_1) | instskip(SKIP_1) | instid1(VALU_DEP_1)
	v_cndmask_b32_e64 v6, 0xff800000, v6, s0
	v_cmp_ne_u32_e64 s0, 1, v9
	v_cndmask_b32_e64 v5, 0xff800000, v5, s0
	v_cmp_ne_u32_e64 s0, 0, v9
	s_delay_alu instid0(VALU_DEP_1)
	v_cndmask_b32_e64 v4, 0xff800000, v4, s0
	s_branch .LBB85_13
.LBB85_18:
	v_cmp_eq_u32_e32 vcc_lo, 0, v16
	v_cmp_neq_f32_e64 s0, 0, v14
	s_delay_alu instid0(VALU_DEP_1) | instskip(NEXT) | instid1(SALU_CYCLE_1)
	s_and_b32 s0, vcc_lo, s0
	s_and_b32 exec_lo, exec_lo, s0
	s_cbranch_execz .LBB85_22
; %bb.19:
	s_and_not1_b32 vcc_lo, exec_lo, s15
	s_cbranch_vccnz .LBB85_22
; %bb.20:
	v_div_scale_f32 v1, null, v14, v14, 1.0
	v_div_scale_f32 v3, vcc_lo, 1.0, v14, 1.0
	s_delay_alu instid0(VALU_DEP_2) | instskip(SKIP_2) | instid1(VALU_DEP_1)
	v_rcp_f32_e32 v2, v1
	s_waitcnt_depctr 0xfff
	v_fma_f32 v0, -v1, v2, 1.0
	v_fmac_f32_e32 v2, v0, v2
	v_mul_lo_u32 v0, v15, s11
	s_delay_alu instid0(VALU_DEP_2) | instskip(NEXT) | instid1(VALU_DEP_1)
	v_mul_f32_e32 v4, v3, v2
	v_fma_f32 v5, -v1, v4, v3
	s_delay_alu instid0(VALU_DEP_1) | instskip(NEXT) | instid1(VALU_DEP_1)
	v_fmac_f32_e32 v4, v5, v2
	v_fma_f32 v3, -v1, v4, v3
	v_ashrrev_i32_e32 v1, 31, v0
	s_delay_alu instid0(VALU_DEP_2) | instskip(NEXT) | instid1(VALU_DEP_2)
	v_div_fmas_f32 v2, v3, v2, v4
	v_lshlrev_b64 v[0:1], 2, v[0:1]
	s_delay_alu instid0(VALU_DEP_2) | instskip(NEXT) | instid1(VALU_DEP_2)
	v_div_fixup_f32 v2, v2, v14, 1.0
	v_add_co_u32 v0, vcc_lo, s12, v0
	s_delay_alu instid0(VALU_DEP_3)
	v_add_co_ci_u32_e32 v1, vcc_lo, s13, v1, vcc_lo
.LBB85_21:                              ; =>This Inner Loop Header: Depth=1
	global_load_b32 v3, v[0:1], off
	s_add_i32 s8, s8, -1
	s_delay_alu instid0(SALU_CYCLE_1)
	s_cmp_lg_u32 s8, 0
	s_waitcnt vmcnt(0)
	v_mul_f32_e32 v3, v2, v3
	global_store_b32 v[0:1], v3, off
	v_add_co_u32 v0, vcc_lo, v0, 4
	v_add_co_ci_u32_e32 v1, vcc_lo, 0, v1, vcc_lo
	s_cbranch_scc1 .LBB85_21
.LBB85_22:
	s_nop 0
	s_sendmsg sendmsg(MSG_DEALLOC_VGPRS)
	s_endpgm
	.section	.rodata,"a",@progbits
	.p2align	6, 0x0
	.amdhsa_kernel _ZN4vllm3moe17topkGatingSoftmaxIfLi8ELi256ELi8ELi32ELb1ELi2ELNS0_23SharedExpertScoringFuncE1EEEvPKT_PKbPfiPiS9_iiiiii
		.amdhsa_group_segment_fixed_size 0
		.amdhsa_private_segment_fixed_size 0
		.amdhsa_kernarg_size 72
		.amdhsa_user_sgpr_count 15
		.amdhsa_user_sgpr_dispatch_ptr 0
		.amdhsa_user_sgpr_queue_ptr 0
		.amdhsa_user_sgpr_kernarg_segment_ptr 1
		.amdhsa_user_sgpr_dispatch_id 0
		.amdhsa_user_sgpr_private_segment_size 0
		.amdhsa_wavefront_size32 1
		.amdhsa_uses_dynamic_stack 0
		.amdhsa_enable_private_segment 0
		.amdhsa_system_sgpr_workgroup_id_x 1
		.amdhsa_system_sgpr_workgroup_id_y 0
		.amdhsa_system_sgpr_workgroup_id_z 0
		.amdhsa_system_sgpr_workgroup_info 0
		.amdhsa_system_vgpr_workitem_id 1
		.amdhsa_next_free_vgpr 37
		.amdhsa_next_free_sgpr 19
		.amdhsa_reserve_vcc 1
		.amdhsa_float_round_mode_32 0
		.amdhsa_float_round_mode_16_64 0
		.amdhsa_float_denorm_mode_32 3
		.amdhsa_float_denorm_mode_16_64 3
		.amdhsa_dx10_clamp 1
		.amdhsa_ieee_mode 1
		.amdhsa_fp16_overflow 0
		.amdhsa_workgroup_processor_mode 1
		.amdhsa_memory_ordered 1
		.amdhsa_forward_progress 0
		.amdhsa_shared_vgpr_count 0
		.amdhsa_exception_fp_ieee_invalid_op 0
		.amdhsa_exception_fp_denorm_src 0
		.amdhsa_exception_fp_ieee_div_zero 0
		.amdhsa_exception_fp_ieee_overflow 0
		.amdhsa_exception_fp_ieee_underflow 0
		.amdhsa_exception_fp_ieee_inexact 0
		.amdhsa_exception_int_div_zero 0
	.end_amdhsa_kernel
	.section	.text._ZN4vllm3moe17topkGatingSoftmaxIfLi8ELi256ELi8ELi32ELb1ELi2ELNS0_23SharedExpertScoringFuncE1EEEvPKT_PKbPfiPiS9_iiiiii,"axG",@progbits,_ZN4vllm3moe17topkGatingSoftmaxIfLi8ELi256ELi8ELi32ELb1ELi2ELNS0_23SharedExpertScoringFuncE1EEEvPKT_PKbPfiPiS9_iiiiii,comdat
.Lfunc_end85:
	.size	_ZN4vllm3moe17topkGatingSoftmaxIfLi8ELi256ELi8ELi32ELb1ELi2ELNS0_23SharedExpertScoringFuncE1EEEvPKT_PKbPfiPiS9_iiiiii, .Lfunc_end85-_ZN4vllm3moe17topkGatingSoftmaxIfLi8ELi256ELi8ELi32ELb1ELi2ELNS0_23SharedExpertScoringFuncE1EEEvPKT_PKbPfiPiS9_iiiiii
                                        ; -- End function
	.section	.AMDGPU.csdata,"",@progbits
; Kernel info:
; codeLenInByte = 3292
; NumSgprs: 21
; NumVgprs: 37
; ScratchSize: 0
; MemoryBound: 0
; FloatMode: 240
; IeeeMode: 1
; LDSByteSize: 0 bytes/workgroup (compile time only)
; SGPRBlocks: 2
; VGPRBlocks: 4
; NumSGPRsForWavesPerEU: 21
; NumVGPRsForWavesPerEU: 37
; Occupancy: 16
; WaveLimiterHint : 0
; COMPUTE_PGM_RSRC2:SCRATCH_EN: 0
; COMPUTE_PGM_RSRC2:USER_SGPR: 15
; COMPUTE_PGM_RSRC2:TRAP_HANDLER: 0
; COMPUTE_PGM_RSRC2:TGID_X_EN: 1
; COMPUTE_PGM_RSRC2:TGID_Y_EN: 0
; COMPUTE_PGM_RSRC2:TGID_Z_EN: 0
; COMPUTE_PGM_RSRC2:TIDIG_COMP_CNT: 1
	.section	.text._ZN4vllm3moe17topkGatingSoftmaxIfLi8ELi256ELi8ELi32ELb0ELi2ELNS0_23SharedExpertScoringFuncE1EEEvPKT_PKbPfiPiS9_iiiiii,"axG",@progbits,_ZN4vllm3moe17topkGatingSoftmaxIfLi8ELi256ELi8ELi32ELb0ELi2ELNS0_23SharedExpertScoringFuncE1EEEvPKT_PKbPfiPiS9_iiiiii,comdat
	.protected	_ZN4vllm3moe17topkGatingSoftmaxIfLi8ELi256ELi8ELi32ELb0ELi2ELNS0_23SharedExpertScoringFuncE1EEEvPKT_PKbPfiPiS9_iiiiii ; -- Begin function _ZN4vllm3moe17topkGatingSoftmaxIfLi8ELi256ELi8ELi32ELb0ELi2ELNS0_23SharedExpertScoringFuncE1EEEvPKT_PKbPfiPiS9_iiiiii
	.globl	_ZN4vllm3moe17topkGatingSoftmaxIfLi8ELi256ELi8ELi32ELb0ELi2ELNS0_23SharedExpertScoringFuncE1EEEvPKT_PKbPfiPiS9_iiiiii
	.p2align	8
	.type	_ZN4vllm3moe17topkGatingSoftmaxIfLi8ELi256ELi8ELi32ELb0ELi2ELNS0_23SharedExpertScoringFuncE1EEEvPKT_PKbPfiPiS9_iiiiii,@function
_ZN4vllm3moe17topkGatingSoftmaxIfLi8ELi256ELi8ELi32ELb0ELi2ELNS0_23SharedExpertScoringFuncE1EEEvPKT_PKbPfiPiS9_iiiiii: ; @_ZN4vllm3moe17topkGatingSoftmaxIfLi8ELi256ELi8ELi32ELb0ELi2ELNS0_23SharedExpertScoringFuncE1EEEvPKT_PKbPfiPiS9_iiiiii
; %bb.0:
	s_load_b32 s16, s[0:1], 0x18
	v_and_b32_e32 v1, 0x3ff, v0
	v_bfe_u32 v8, v0, 10, 10
	s_lshl_b32 s18, s15, 3
	s_mov_b32 s2, exec_lo
	s_delay_alu instid0(VALU_DEP_2) | instskip(NEXT) | instid1(VALU_DEP_1)
	v_lshrrev_b32_e32 v26, 5, v1
	v_add3_u32 v15, s18, v8, v26
	s_waitcnt lgkmcnt(0)
	s_delay_alu instid0(VALU_DEP_1)
	v_cmpx_gt_i32_e64 s16, v15
	s_cbranch_execz .LBB86_23
; %bb.1:
	s_clause 0x1
	s_load_b128 s[4:7], s[0:1], 0x0
	s_load_b64 s[12:13], s[0:1], 0x10
	s_waitcnt lgkmcnt(0)
	s_cmp_eq_u64 s[6:7], 0
	s_cbranch_scc1 .LBB86_3
; %bb.2:
	v_ashrrev_i32_e32 v0, 31, v15
	v_add_co_u32 v2, vcc_lo, s6, v15
	s_delay_alu instid0(VALU_DEP_2) | instskip(SKIP_3) | instid1(VALU_DEP_1)
	v_add_co_ci_u32_e32 v3, vcc_lo, s7, v0, vcc_lo
	global_load_u8 v0, v[2:3], off
	s_waitcnt vmcnt(0)
	v_and_b32_e32 v0, 1, v0
	v_cmp_eq_u32_e32 vcc_lo, 1, v0
	s_xor_b32 s2, vcc_lo, -1
	s_delay_alu instid0(SALU_CYCLE_1)
	s_or_not1_b32 s17, s2, exec_lo
	s_branch .LBB86_4
.LBB86_3:
	s_mov_b32 s17, -1
.LBB86_4:
	s_load_b64 s[14:15], s[0:1], 0x40
	v_and_b32_e32 v16, 31, v1
	v_mov_b32_e32 v14, 0
	s_mov_b32 s2, exec_lo
	s_delay_alu instid0(VALU_DEP_2) | instskip(SKIP_2) | instid1(VALU_DEP_1)
	v_lshlrev_b32_e32 v18, 3, v16
	s_waitcnt lgkmcnt(0)
	v_mul_lo_u32 v2, v15, s15
	v_ashrrev_i32_e32 v3, 31, v2
	s_delay_alu instid0(VALU_DEP_1) | instskip(SKIP_1) | instid1(VALU_DEP_2)
	v_lshlrev_b64 v[0:1], 2, v[2:3]
	v_lshlrev_b32_e32 v2, 5, v16
	v_add_co_u32 v9, vcc_lo, s4, v0
	s_delay_alu instid0(VALU_DEP_3) | instskip(SKIP_1) | instid1(VALU_DEP_2)
	v_add_co_ci_u32_e32 v10, vcc_lo, s5, v1, vcc_lo
	s_load_b128 s[4:7], s[0:1], 0x30
	v_add_co_u32 v4, vcc_lo, v9, v2
	s_delay_alu instid0(VALU_DEP_2)
	v_add_co_ci_u32_e32 v5, vcc_lo, 0, v10, vcc_lo
	s_clause 0x1
	global_load_b128 v[0:3], v[4:5], off offset:16
	global_load_b128 v[4:7], v[4:5], off
	v_cmpx_gt_u32_e32 2, v16
	s_cbranch_execz .LBB86_6
; %bb.5:
	v_lshlrev_b32_e32 v11, 2, v16
	s_delay_alu instid0(VALU_DEP_1)
	v_add_co_u32 v9, vcc_lo, v9, v11
	v_add_co_ci_u32_e32 v10, vcc_lo, 0, v10, vcc_lo
	global_load_b32 v9, v[9:10], off offset:1024
	s_waitcnt vmcnt(0)
	v_mul_f32_e32 v10, 0xbfb8aa3b, v9
	v_cmp_nlt_f32_e32 vcc_lo, 0x42ce8ed0, v9
	s_delay_alu instid0(VALU_DEP_2) | instskip(SKIP_1) | instid1(VALU_DEP_1)
	v_fma_f32 v11, 0xbfb8aa3b, v9, -v10
	v_rndne_f32_e32 v12, v10
	v_dual_fmamk_f32 v11, v9, 0xb2a5705f, v11 :: v_dual_sub_f32 v10, v10, v12
	s_delay_alu instid0(VALU_DEP_1) | instskip(SKIP_1) | instid1(VALU_DEP_2)
	v_add_f32_e32 v10, v10, v11
	v_cvt_i32_f32_e32 v11, v12
	v_exp_f32_e32 v10, v10
	s_waitcnt_depctr 0xfff
	v_ldexp_f32 v10, v10, v11
	s_delay_alu instid0(VALU_DEP_1) | instskip(SKIP_1) | instid1(VALU_DEP_2)
	v_cndmask_b32_e32 v10, 0, v10, vcc_lo
	v_cmp_ngt_f32_e32 vcc_lo, 0xc2b17218, v9
	v_cndmask_b32_e32 v9, 0x7f800000, v10, vcc_lo
	s_delay_alu instid0(VALU_DEP_1) | instskip(NEXT) | instid1(VALU_DEP_1)
	v_add_f32_e32 v11, 1.0, v9
	v_div_scale_f32 v10, null, v11, v11, 1.0
	v_div_scale_f32 v13, vcc_lo, 1.0, v11, 1.0
	s_delay_alu instid0(VALU_DEP_2) | instskip(SKIP_2) | instid1(VALU_DEP_1)
	v_rcp_f32_e32 v12, v10
	s_waitcnt_depctr 0xfff
	v_fma_f32 v9, -v10, v12, 1.0
	v_fmac_f32_e32 v12, v9, v12
	s_waitcnt lgkmcnt(0)
	v_mul_lo_u32 v9, v15, s7
	s_delay_alu instid0(VALU_DEP_2) | instskip(NEXT) | instid1(VALU_DEP_2)
	v_mul_f32_e32 v17, v13, v12
	v_add3_u32 v9, v9, s4, v16
	s_delay_alu instid0(VALU_DEP_2) | instskip(NEXT) | instid1(VALU_DEP_1)
	v_fma_f32 v19, -v10, v17, v13
	v_fmac_f32_e32 v17, v19, v12
	s_delay_alu instid0(VALU_DEP_1) | instskip(NEXT) | instid1(VALU_DEP_4)
	v_fma_f32 v13, -v10, v17, v13
	v_ashrrev_i32_e32 v10, 31, v9
	s_delay_alu instid0(VALU_DEP_2) | instskip(NEXT) | instid1(VALU_DEP_2)
	v_div_fmas_f32 v12, v13, v12, v17
	v_lshlrev_b64 v[9:10], 2, v[9:10]
	s_delay_alu instid0(VALU_DEP_2) | instskip(NEXT) | instid1(VALU_DEP_2)
	v_div_fixup_f32 v11, v12, v11, 1.0
	v_add_co_u32 v9, vcc_lo, s12, v9
	s_delay_alu instid0(VALU_DEP_3)
	v_add_co_ci_u32_e32 v10, vcc_lo, s13, v10, vcc_lo
	global_store_b32 v[9:10], v11, off
.LBB86_6:
	s_or_b32 exec_lo, exec_lo, s2
	v_or_b32_e32 v19, 1, v18
	s_waitcnt vmcnt(0)
	v_cmp_lt_f32_e32 vcc_lo, v4, v5
	v_or_b32_e32 v20, 2, v18
	v_or_b32_e32 v21, 3, v18
	;; [unrolled: 1-line block ×4, first 2 shown]
	v_dual_cndmask_b32 v9, v18, v19 :: v_dual_cndmask_b32 v10, v4, v5
	v_or_b32_e32 v24, 6, v18
	v_or_b32_e32 v25, 7, v18
	s_delay_alu instid0(VALU_DEP_3) | instskip(NEXT) | instid1(VALU_DEP_4)
	v_cmp_lt_f32_e32 vcc_lo, v10, v6
	v_dual_cndmask_b32 v9, v9, v20 :: v_dual_cndmask_b32 v10, v10, v6
	s_delay_alu instid0(VALU_DEP_1) | instskip(NEXT) | instid1(VALU_DEP_2)
	v_cmp_lt_f32_e32 vcc_lo, v10, v7
	v_dual_cndmask_b32 v9, v9, v21 :: v_dual_cndmask_b32 v10, v10, v7
	s_delay_alu instid0(VALU_DEP_1) | instskip(NEXT) | instid1(VALU_DEP_2)
	;; [unrolled: 3-line block ×6, first 2 shown]
	v_mov_b32_dpp v11, v9 quad_perm:[1,0,3,2] row_mask:0xf bank_mask:0xf
	v_mov_b32_dpp v12, v10 quad_perm:[1,0,3,2] row_mask:0xf bank_mask:0xf
	s_delay_alu instid0(VALU_DEP_2) | instskip(NEXT) | instid1(VALU_DEP_2)
	v_cmp_lt_i32_e32 vcc_lo, v11, v9
	v_cmp_eq_f32_e64 s2, v10, v12
	v_cmp_lt_f32_e64 s3, v10, v12
	s_delay_alu instid0(VALU_DEP_2)
	s_and_b32 s2, s2, vcc_lo
	s_delay_alu instid0(VALU_DEP_1) | instid1(SALU_CYCLE_1)
	s_or_b32 vcc_lo, s3, s2
	v_dual_cndmask_b32 v10, v10, v12 :: v_dual_cndmask_b32 v9, v9, v11
	s_delay_alu instid0(VALU_DEP_1) | instskip(NEXT) | instid1(VALU_DEP_2)
	v_mov_b32_dpp v11, v10 quad_perm:[2,3,0,1] row_mask:0xf bank_mask:0xf
	v_mov_b32_dpp v12, v9 quad_perm:[2,3,0,1] row_mask:0xf bank_mask:0xf
	s_delay_alu instid0(VALU_DEP_2) | instskip(NEXT) | instid1(VALU_DEP_2)
	v_cmp_eq_f32_e32 vcc_lo, v10, v11
	v_cmp_lt_i32_e64 s2, v12, v9
	v_cmp_lt_f32_e64 s3, v10, v11
	s_delay_alu instid0(VALU_DEP_2)
	s_and_b32 s2, vcc_lo, s2
	s_delay_alu instid0(VALU_DEP_1) | instid1(SALU_CYCLE_1)
	s_or_b32 vcc_lo, s3, s2
	v_dual_cndmask_b32 v10, v10, v11 :: v_dual_cndmask_b32 v9, v9, v12
	s_delay_alu instid0(VALU_DEP_1) | instskip(NEXT) | instid1(VALU_DEP_2)
	v_mov_b32_dpp v11, v10 row_xmask:7 row_mask:0xf bank_mask:0xf
	v_mov_b32_dpp v12, v9 row_xmask:7 row_mask:0xf bank_mask:0xf
	s_delay_alu instid0(VALU_DEP_2) | instskip(NEXT) | instid1(VALU_DEP_2)
	v_cmp_eq_f32_e32 vcc_lo, v10, v11
	v_cmp_lt_i32_e64 s2, v12, v9
	v_cmp_lt_f32_e64 s3, v10, v11
	s_delay_alu instid0(VALU_DEP_2)
	s_and_b32 s2, vcc_lo, s2
	s_delay_alu instid0(VALU_DEP_1) | instid1(SALU_CYCLE_1)
	s_or_b32 vcc_lo, s3, s2
	v_dual_cndmask_b32 v10, v10, v11 :: v_dual_cndmask_b32 v9, v9, v12
	s_delay_alu instid0(VALU_DEP_1) | instskip(NEXT) | instid1(VALU_DEP_2)
	v_mov_b32_dpp v11, v10 row_xmask:15 row_mask:0xf bank_mask:0xf
	v_mov_b32_dpp v12, v9 row_xmask:15 row_mask:0xf bank_mask:0xf
	s_delay_alu instid0(VALU_DEP_2) | instskip(NEXT) | instid1(VALU_DEP_2)
	v_cmp_eq_f32_e32 vcc_lo, v10, v11
	v_cmp_lt_i32_e64 s2, v12, v9
	v_cmp_lt_f32_e64 s3, v10, v11
	s_delay_alu instid0(VALU_DEP_2)
	s_and_b32 s2, vcc_lo, s2
	s_delay_alu instid0(VALU_DEP_1) | instid1(SALU_CYCLE_1)
	s_or_b32 vcc_lo, s3, s2
	s_mov_b32 s2, 0x76543210
	v_dual_cndmask_b32 v11, v10, v11 :: v_dual_cndmask_b32 v10, v9, v12
	s_delay_alu instid0(VALU_DEP_1) | instskip(NEXT) | instid1(VALU_DEP_2)
	v_permlanex16_b32 v9, v11, s2, 0xfedcba98 op_sel:[1,1]
	v_permlanex16_b32 v12, v10, s2, 0xfedcba98 op_sel:[1,1]
	s_delay_alu instid0(VALU_DEP_2) | instskip(NEXT) | instid1(VALU_DEP_2)
	v_cmp_eq_f32_e32 vcc_lo, v11, v9
	v_cmp_lt_i32_e64 s2, v12, v10
	v_cmp_lt_f32_e64 s3, v11, v9
	s_delay_alu instid0(VALU_DEP_2) | instskip(SKIP_1) | instid1(VALU_DEP_2)
	s_and_b32 s2, vcc_lo, s2
	v_cmp_eq_u32_e32 vcc_lo, 0, v16
	s_or_b32 s2, s3, s2
	s_waitcnt lgkmcnt(0)
	s_cmp_gt_i32 s4, 0
	v_cndmask_b32_e64 v17, v11, v9, s2
	s_cselect_b32 s3, -1, 0
	s_cmp_lt_i32 s4, 1
	s_cbranch_scc1 .LBB86_18
; %bb.7:
	s_load_b128 s[8:11], s[0:1], 0x20
	v_mul_lo_u32 v9, v15, s7
	v_mul_lo_u32 v11, v15, s14
	;; [unrolled: 1-line block ×3, first 2 shown]
	v_cndmask_b32_e64 v27, v10, v12, s2
	v_mov_b32_e32 v14, 0
	s_and_saveexec_b32 s2, vcc_lo
	s_cbranch_execz .LBB86_9
; %bb.8:
	v_sub_f32_e32 v34, v17, v17
	v_cmp_le_i32_e64 s0, s5, v27
	v_cmp_gt_i32_e64 s1, s6, v27
	v_subrev_nc_u32_e32 v35, s5, v27
	v_ashrrev_i32_e32 v14, 31, v13
	v_mul_f32_e32 v10, 0x3fb8aa3b, v34
	s_delay_alu instid0(VALU_DEP_4) | instskip(NEXT) | instid1(SALU_CYCLE_1)
	s_and_b32 s0, s0, s1
	s_and_b32 s0, s17, s0
	s_delay_alu instid0(VALU_DEP_1) | instskip(SKIP_2) | instid1(VALU_DEP_3)
	v_rndne_f32_e32 v30, v10
	v_fma_f32 v12, 0x3fb8aa3b, v34, -v10
	v_lshlrev_b64 v[32:33], 2, v[13:14]
	v_sub_f32_e32 v10, v10, v30
	s_delay_alu instid0(VALU_DEP_3) | instskip(NEXT) | instid1(VALU_DEP_1)
	v_fmamk_f32 v12, v34, 0x32a5705f, v12
	v_add_f32_e32 v12, v10, v12
	v_ashrrev_i32_e32 v10, 31, v9
	s_delay_alu instid0(VALU_DEP_2) | instskip(NEXT) | instid1(VALU_DEP_1)
	v_exp_f32_e32 v36, v12
	v_lshlrev_b64 v[28:29], 2, v[9:10]
	v_ashrrev_i32_e32 v12, 31, v11
	v_cvt_i32_f32_e32 v10, v30
	s_delay_alu instid0(VALU_DEP_2) | instskip(SKIP_2) | instid1(VALU_DEP_1)
	v_lshlrev_b64 v[30:31], 2, v[11:12]
	v_cndmask_b32_e64 v12, 0x100, v35, s0
	v_add_co_u32 v28, s0, s12, v28
	v_add_co_ci_u32_e64 v29, s0, s13, v29, s0
	s_delay_alu instid0(TRANS32_DEP_1) | instskip(SKIP_1) | instid1(VALU_DEP_1)
	v_ldexp_f32 v10, v36, v10
	v_cmp_ngt_f32_e64 s0, 0xc2ce8ed0, v34
	v_cndmask_b32_e64 v10, 0, v10, s0
	s_waitcnt lgkmcnt(0)
	v_add_co_u32 v30, s0, s8, v30
	s_delay_alu instid0(VALU_DEP_1) | instskip(SKIP_1) | instid1(VALU_DEP_1)
	v_add_co_ci_u32_e64 v31, s0, s9, v31, s0
	v_cmp_nlt_f32_e64 s0, 0x42b17218, v34
	v_cndmask_b32_e64 v14, 0x7f800000, v10, s0
	v_add_co_u32 v32, s0, s10, v32
	s_delay_alu instid0(VALU_DEP_1)
	v_add_co_ci_u32_e64 v33, s0, s11, v33, s0
	global_store_b32 v[30:31], v12, off
	global_store_b32 v[28:29], v14, off
	;; [unrolled: 1-line block ×3, first 2 shown]
.LBB86_9:
	s_or_b32 exec_lo, exec_lo, s2
	v_ashrrev_i32_e32 v10, 31, v27
	s_mov_b32 s1, exec_lo
	s_delay_alu instid0(VALU_DEP_1) | instskip(NEXT) | instid1(VALU_DEP_1)
	v_lshrrev_b32_e32 v12, 29, v10
	v_add_nc_u32_e32 v12, v27, v12
	s_delay_alu instid0(VALU_DEP_1) | instskip(SKIP_1) | instid1(VALU_DEP_2)
	v_ashrrev_i32_e32 v28, 31, v12
	v_ashrrev_i32_e32 v12, 3, v12
	v_lshrrev_b32_e32 v28, 27, v28
	s_delay_alu instid0(VALU_DEP_1) | instskip(NEXT) | instid1(VALU_DEP_1)
	v_add_nc_u32_e32 v28, v12, v28
	v_and_b32_e32 v28, 0xffffffe0, v28
	s_delay_alu instid0(VALU_DEP_1) | instskip(NEXT) | instid1(VALU_DEP_1)
	v_sub_nc_u32_e32 v28, v12, v28
	v_cmpx_eq_u32_e64 v16, v28
	s_cbranch_execz .LBB86_11
; %bb.10:
	v_lshrrev_b32_e32 v10, 24, v10
	v_lshlrev_b32_e32 v12, 3, v12
	s_delay_alu instid0(VALU_DEP_2) | instskip(NEXT) | instid1(VALU_DEP_2)
	v_add_nc_u32_e32 v10, v27, v10
	v_sub_nc_u32_e32 v12, v27, v12
	s_delay_alu instid0(VALU_DEP_2) | instskip(NEXT) | instid1(VALU_DEP_1)
	v_ashrrev_i32_e32 v10, 8, v10
	v_lshl_add_u32 v10, v10, 3, v12
	s_delay_alu instid0(VALU_DEP_1) | instskip(NEXT) | instid1(VALU_DEP_1)
	v_cmp_ne_u32_e64 s0, 7, v10
	v_cndmask_b32_e64 v3, 0xff800000, v3, s0
	v_cmp_ne_u32_e64 s0, 6, v10
	s_delay_alu instid0(VALU_DEP_1) | instskip(SKIP_1) | instid1(VALU_DEP_1)
	v_cndmask_b32_e64 v2, 0xff800000, v2, s0
	v_cmp_ne_u32_e64 s0, 5, v10
	v_cndmask_b32_e64 v1, 0xff800000, v1, s0
	v_cmp_ne_u32_e64 s0, 4, v10
	s_delay_alu instid0(VALU_DEP_1) | instskip(SKIP_1) | instid1(VALU_DEP_1)
	v_cndmask_b32_e64 v0, 0xff800000, v0, s0
	;; [unrolled: 5-line block ×3, first 2 shown]
	v_cmp_ne_u32_e64 s0, 1, v10
	v_cndmask_b32_e64 v5, 0xff800000, v5, s0
	v_cmp_ne_u32_e64 s0, 0, v10
	s_delay_alu instid0(VALU_DEP_1)
	v_cndmask_b32_e64 v4, 0xff800000, v4, s0
.LBB86_11:
	s_or_b32 exec_lo, exec_lo, s1
	s_cmp_eq_u32 s4, 1
	s_cbranch_scc1 .LBB86_18
; %bb.12:
	v_add_nc_u32_e32 v12, s16, v8
	v_add_nc_u32_e32 v8, 1, v13
	;; [unrolled: 1-line block ×3, first 2 shown]
	s_add_i32 s14, s4, -1
	s_mov_b32 s15, 0x76543210
	v_add3_u32 v26, v12, v26, s18
	v_add_nc_u32_e32 v12, 1, v9
	s_branch .LBB86_14
.LBB86_13:                              ;   in Loop: Header=BB86_14 Depth=1
	s_or_b32 exec_lo, exec_lo, s1
	v_add_nc_u32_e32 v26, s16, v26
	v_add_nc_u32_e32 v8, 1, v8
	;; [unrolled: 1-line block ×4, first 2 shown]
	s_add_i32 s14, s14, -1
	s_delay_alu instid0(SALU_CYCLE_1)
	s_cmp_eq_u32 s14, 0
	s_cbranch_scc1 .LBB86_18
.LBB86_14:                              ; =>This Inner Loop Header: Depth=1
	v_cmp_gt_f32_e64 s0, v5, v4
	s_delay_alu instid0(VALU_DEP_1) | instskip(SKIP_1) | instid1(VALU_DEP_2)
	v_cndmask_b32_e64 v11, v4, v5, s0
	v_cndmask_b32_e64 v9, v18, v19, s0
	v_cmp_gt_f32_e64 s0, v6, v11
	s_delay_alu instid0(VALU_DEP_1) | instskip(NEXT) | instid1(VALU_DEP_3)
	v_cndmask_b32_e64 v11, v11, v6, s0
	v_cndmask_b32_e64 v9, v9, v20, s0
	s_delay_alu instid0(VALU_DEP_2) | instskip(NEXT) | instid1(VALU_DEP_1)
	v_cmp_gt_f32_e64 s0, v7, v11
	v_cndmask_b32_e64 v11, v11, v7, s0
	s_delay_alu instid0(VALU_DEP_3) | instskip(NEXT) | instid1(VALU_DEP_2)
	v_cndmask_b32_e64 v9, v9, v21, s0
	v_cmp_gt_f32_e64 s0, v0, v11
	s_delay_alu instid0(VALU_DEP_1) | instskip(NEXT) | instid1(VALU_DEP_3)
	v_cndmask_b32_e64 v11, v11, v0, s0
	v_cndmask_b32_e64 v9, v9, v22, s0
	s_delay_alu instid0(VALU_DEP_2) | instskip(NEXT) | instid1(VALU_DEP_1)
	v_cmp_gt_f32_e64 s0, v1, v11
	v_cndmask_b32_e64 v11, v11, v1, s0
	s_delay_alu instid0(VALU_DEP_3) | instskip(NEXT) | instid1(VALU_DEP_2)
	v_cndmask_b32_e64 v9, v9, v23, s0
	v_cmp_gt_f32_e64 s0, v2, v11
	s_delay_alu instid0(VALU_DEP_1) | instskip(NEXT) | instid1(VALU_DEP_3)
	v_cndmask_b32_e64 v11, v11, v2, s0
	v_cndmask_b32_e64 v9, v9, v24, s0
	s_delay_alu instid0(VALU_DEP_2) | instskip(NEXT) | instid1(VALU_DEP_1)
	v_cmp_gt_f32_e64 s0, v3, v11
	v_cndmask_b32_e64 v9, v9, v25, s0
	v_cndmask_b32_e64 v11, v11, v3, s0
	s_delay_alu instid0(VALU_DEP_2) | instskip(NEXT) | instid1(VALU_DEP_2)
	v_mov_b32_dpp v13, v9 quad_perm:[1,0,3,2] row_mask:0xf bank_mask:0xf
	v_mov_b32_dpp v27, v11 quad_perm:[1,0,3,2] row_mask:0xf bank_mask:0xf
	s_delay_alu instid0(VALU_DEP_2) | instskip(NEXT) | instid1(VALU_DEP_2)
	v_cmp_lt_i32_e64 s0, v13, v9
	v_cmp_eq_f32_e64 s1, v11, v27
	v_cmp_lt_f32_e64 s2, v11, v27
	s_delay_alu instid0(VALU_DEP_2)
	s_and_b32 s0, s1, s0
	s_delay_alu instid0(VALU_DEP_1) | instid1(SALU_CYCLE_1)
	s_or_b32 s0, s2, s0
	s_delay_alu instid0(SALU_CYCLE_1) | instskip(SKIP_1) | instid1(VALU_DEP_2)
	v_cndmask_b32_e64 v11, v11, v27, s0
	v_cndmask_b32_e64 v9, v9, v13, s0
	v_mov_b32_dpp v13, v11 quad_perm:[2,3,0,1] row_mask:0xf bank_mask:0xf
	s_delay_alu instid0(VALU_DEP_2) | instskip(NEXT) | instid1(VALU_DEP_2)
	v_mov_b32_dpp v27, v9 quad_perm:[2,3,0,1] row_mask:0xf bank_mask:0xf
	v_cmp_eq_f32_e64 s0, v11, v13
	s_delay_alu instid0(VALU_DEP_2) | instskip(SKIP_1) | instid1(VALU_DEP_2)
	v_cmp_lt_i32_e64 s1, v27, v9
	v_cmp_lt_f32_e64 s2, v11, v13
	s_and_b32 s0, s0, s1
	s_delay_alu instid0(VALU_DEP_1) | instid1(SALU_CYCLE_1)
	s_or_b32 s0, s2, s0
	s_delay_alu instid0(SALU_CYCLE_1) | instskip(SKIP_1) | instid1(VALU_DEP_2)
	v_cndmask_b32_e64 v11, v11, v13, s0
	v_cndmask_b32_e64 v9, v9, v27, s0
	v_mov_b32_dpp v13, v11 row_xmask:7 row_mask:0xf bank_mask:0xf
	s_delay_alu instid0(VALU_DEP_2) | instskip(NEXT) | instid1(VALU_DEP_2)
	v_mov_b32_dpp v27, v9 row_xmask:7 row_mask:0xf bank_mask:0xf
	v_cmp_eq_f32_e64 s0, v11, v13
	s_delay_alu instid0(VALU_DEP_2) | instskip(SKIP_1) | instid1(VALU_DEP_2)
	v_cmp_lt_i32_e64 s1, v27, v9
	v_cmp_lt_f32_e64 s2, v11, v13
	s_and_b32 s0, s0, s1
	s_delay_alu instid0(VALU_DEP_1) | instid1(SALU_CYCLE_1)
	s_or_b32 s0, s2, s0
	s_delay_alu instid0(SALU_CYCLE_1) | instskip(SKIP_1) | instid1(VALU_DEP_2)
	v_cndmask_b32_e64 v11, v11, v13, s0
	v_cndmask_b32_e64 v13, v9, v27, s0
	v_mov_b32_dpp v9, v11 row_xmask:15 row_mask:0xf bank_mask:0xf
	s_delay_alu instid0(VALU_DEP_2) | instskip(NEXT) | instid1(VALU_DEP_2)
	v_mov_b32_dpp v27, v13 row_xmask:15 row_mask:0xf bank_mask:0xf
	v_cmp_eq_f32_e64 s0, v11, v9
	s_delay_alu instid0(VALU_DEP_2) | instskip(SKIP_1) | instid1(VALU_DEP_2)
	v_cmp_lt_i32_e64 s1, v27, v13
	v_cmp_lt_f32_e64 s2, v11, v9
	s_and_b32 s0, s0, s1
	s_delay_alu instid0(VALU_DEP_1) | instid1(SALU_CYCLE_1)
	s_or_b32 s0, s2, s0
	s_delay_alu instid0(SALU_CYCLE_1) | instskip(SKIP_1) | instid1(VALU_DEP_2)
	v_cndmask_b32_e64 v9, v11, v9, s0
	v_cndmask_b32_e64 v13, v13, v27, s0
	v_permlanex16_b32 v11, v9, s15, 0xfedcba98 op_sel:[1,1]
	s_delay_alu instid0(VALU_DEP_2) | instskip(NEXT) | instid1(VALU_DEP_2)
	v_permlanex16_b32 v27, v13, s15, 0xfedcba98 op_sel:[1,1]
	v_cmp_eq_f32_e64 s0, v9, v11
	s_delay_alu instid0(VALU_DEP_2) | instskip(SKIP_1) | instid1(VALU_DEP_2)
	v_cmp_lt_i32_e64 s1, v27, v13
	v_cmp_lt_f32_e64 s2, v9, v11
	s_and_b32 s0, s0, s1
	s_delay_alu instid0(VALU_DEP_1) | instid1(SALU_CYCLE_1)
	s_or_b32 s0, s2, s0
	s_delay_alu instid0(SALU_CYCLE_1)
	v_cndmask_b32_e64 v27, v13, v27, s0
	s_and_saveexec_b32 s2, vcc_lo
	s_cbranch_execz .LBB86_16
; %bb.15:                               ;   in Loop: Header=BB86_14 Depth=1
	v_cndmask_b32_e64 v9, v9, v11, s0
	s_delay_alu instid0(VALU_DEP_2) | instskip(SKIP_4) | instid1(VALU_DEP_4)
	v_cmp_le_i32_e64 s0, s5, v27
	v_cmp_gt_i32_e64 s1, s6, v27
	v_ashrrev_i32_e32 v13, 31, v12
	v_subrev_nc_u32_e32 v35, s5, v27
	v_sub_f32_e32 v34, v9, v17
	s_and_b32 s0, s0, s1
	s_delay_alu instid0(SALU_CYCLE_1) | instskip(NEXT) | instid1(VALU_DEP_1)
	s_and_b32 s0, s17, s0
	v_mul_f32_e32 v9, 0x3fb8aa3b, v34
	s_delay_alu instid0(VALU_DEP_1) | instskip(SKIP_1) | instid1(VALU_DEP_2)
	v_fma_f32 v11, 0x3fb8aa3b, v34, -v9
	v_rndne_f32_e32 v28, v9
	v_fmac_f32_e32 v11, 0x32a5705f, v34
	s_delay_alu instid0(VALU_DEP_2) | instskip(SKIP_2) | instid1(VALU_DEP_3)
	v_sub_f32_e32 v9, v9, v28
	v_cvt_i32_f32_e32 v33, v28
	v_lshlrev_b64 v[28:29], 2, v[12:13]
	v_add_f32_e32 v9, v9, v11
	v_ashrrev_i32_e32 v11, 31, v10
	s_delay_alu instid0(VALU_DEP_2) | instskip(SKIP_1) | instid1(VALU_DEP_2)
	v_exp_f32_e32 v32, v9
	v_ashrrev_i32_e32 v9, 31, v8
	v_lshlrev_b64 v[30:31], 2, v[10:11]
	s_waitcnt_depctr 0xfff
	v_ldexp_f32 v11, v32, v33
	v_lshlrev_b64 v[32:33], 2, v[8:9]
	v_cndmask_b32_e64 v9, 0x100, v35, s0
	v_cmp_ngt_f32_e64 s0, 0xc2ce8ed0, v34
	s_delay_alu instid0(VALU_DEP_1) | instskip(SKIP_1) | instid1(VALU_DEP_1)
	v_cndmask_b32_e64 v11, 0, v11, s0
	v_add_co_u32 v28, s0, s12, v28
	v_add_co_ci_u32_e64 v29, s0, s13, v29, s0
	v_cmp_nlt_f32_e64 s0, 0x42b17218, v34
	s_delay_alu instid0(VALU_DEP_1) | instskip(SKIP_2) | instid1(VALU_DEP_1)
	v_cndmask_b32_e64 v11, 0x7f800000, v11, s0
	s_waitcnt lgkmcnt(0)
	v_add_co_u32 v30, s0, s8, v30
	v_add_co_ci_u32_e64 v31, s0, s9, v31, s0
	s_delay_alu instid0(VALU_DEP_3) | instskip(SKIP_1) | instid1(VALU_DEP_1)
	v_add_f32_e32 v14, v14, v11
	v_add_co_u32 v32, s0, s10, v32
	v_add_co_ci_u32_e64 v33, s0, s11, v33, s0
	global_store_b32 v[28:29], v11, off
	global_store_b32 v[30:31], v9, off
	;; [unrolled: 1-line block ×3, first 2 shown]
.LBB86_16:                              ;   in Loop: Header=BB86_14 Depth=1
	s_or_b32 exec_lo, exec_lo, s2
	s_delay_alu instid0(VALU_DEP_1) | instskip(SKIP_1) | instid1(VALU_DEP_1)
	v_ashrrev_i32_e32 v9, 31, v27
	s_mov_b32 s1, exec_lo
	v_lshrrev_b32_e32 v11, 29, v9
	s_delay_alu instid0(VALU_DEP_1) | instskip(NEXT) | instid1(VALU_DEP_1)
	v_add_nc_u32_e32 v11, v27, v11
	v_ashrrev_i32_e32 v13, 31, v11
	v_ashrrev_i32_e32 v11, 3, v11
	s_delay_alu instid0(VALU_DEP_2) | instskip(NEXT) | instid1(VALU_DEP_1)
	v_lshrrev_b32_e32 v13, 27, v13
	v_add_nc_u32_e32 v13, v11, v13
	s_delay_alu instid0(VALU_DEP_1) | instskip(NEXT) | instid1(VALU_DEP_1)
	v_and_b32_e32 v13, 0xffffffe0, v13
	v_sub_nc_u32_e32 v13, v11, v13
	s_delay_alu instid0(VALU_DEP_1)
	v_cmpx_eq_u32_e64 v16, v13
	s_cbranch_execz .LBB86_13
; %bb.17:                               ;   in Loop: Header=BB86_14 Depth=1
	v_lshrrev_b32_e32 v9, 24, v9
	v_lshlrev_b32_e32 v11, 3, v11
	s_delay_alu instid0(VALU_DEP_2) | instskip(NEXT) | instid1(VALU_DEP_2)
	v_add_nc_u32_e32 v9, v27, v9
	v_sub_nc_u32_e32 v11, v27, v11
	s_delay_alu instid0(VALU_DEP_2) | instskip(NEXT) | instid1(VALU_DEP_1)
	v_ashrrev_i32_e32 v9, 8, v9
	v_lshl_add_u32 v9, v9, 3, v11
	s_delay_alu instid0(VALU_DEP_1) | instskip(NEXT) | instid1(VALU_DEP_1)
	v_cmp_ne_u32_e64 s0, 7, v9
	v_cndmask_b32_e64 v3, 0xff800000, v3, s0
	v_cmp_ne_u32_e64 s0, 6, v9
	s_delay_alu instid0(VALU_DEP_1) | instskip(SKIP_1) | instid1(VALU_DEP_1)
	v_cndmask_b32_e64 v2, 0xff800000, v2, s0
	v_cmp_ne_u32_e64 s0, 5, v9
	v_cndmask_b32_e64 v1, 0xff800000, v1, s0
	v_cmp_ne_u32_e64 s0, 4, v9
	s_delay_alu instid0(VALU_DEP_1) | instskip(SKIP_1) | instid1(VALU_DEP_1)
	v_cndmask_b32_e64 v0, 0xff800000, v0, s0
	;; [unrolled: 5-line block ×3, first 2 shown]
	v_cmp_ne_u32_e64 s0, 1, v9
	v_cndmask_b32_e64 v5, 0xff800000, v5, s0
	v_cmp_ne_u32_e64 s0, 0, v9
	s_delay_alu instid0(VALU_DEP_1)
	v_cndmask_b32_e64 v4, 0xff800000, v4, s0
	s_branch .LBB86_13
.LBB86_18:
	s_delay_alu instid0(VALU_DEP_1)
	v_sub_f32_e32 v7, v7, v17
	v_sub_f32_e32 v4, v4, v17
	;; [unrolled: 1-line block ×5, first 2 shown]
	v_mul_f32_e32 v11, 0x3fb8aa3b, v7
	v_dual_sub_f32 v5, v5, v17 :: v_dual_mul_f32 v8, 0x3fb8aa3b, v4
	v_cmp_ngt_f32_e32 vcc_lo, 0xc2ce8ed0, v4
	v_sub_f32_e32 v3, v3, v17
	s_delay_alu instid0(VALU_DEP_4) | instskip(NEXT) | instid1(VALU_DEP_4)
	v_rndne_f32_e32 v23, v11
	v_fma_f32 v12, 0x3fb8aa3b, v4, -v8
	v_rndne_f32_e32 v13, v8
	s_delay_alu instid0(VALU_DEP_2) | instskip(NEXT) | instid1(VALU_DEP_2)
	v_fmac_f32_e32 v12, 0x32a5705f, v4
	v_sub_f32_e32 v8, v8, v13
	s_delay_alu instid0(VALU_DEP_1) | instskip(NEXT) | instid1(VALU_DEP_1)
	v_dual_mul_f32 v9, 0x3fb8aa3b, v5 :: v_dual_add_f32 v8, v8, v12
	v_rndne_f32_e32 v19, v9
	v_sub_f32_e32 v6, v6, v17
	v_fma_f32 v18, 0x3fb8aa3b, v5, -v9
	v_cvt_i32_f32_e32 v12, v13
	v_exp_f32_e32 v8, v8
	s_delay_alu instid0(VALU_DEP_3) | instskip(SKIP_3) | instid1(VALU_DEP_4)
	v_dual_sub_f32 v9, v9, v19 :: v_dual_mul_f32 v10, 0x3fb8aa3b, v6
	v_fma_f32 v22, 0x3fb8aa3b, v7, -v11
	v_sub_f32_e32 v11, v11, v23
	v_cvt_i32_f32_e32 v13, v19
	v_fma_f32 v20, 0x3fb8aa3b, v6, -v10
	s_delay_alu instid0(VALU_DEP_4) | instskip(SKIP_1) | instid1(TRANS32_DEP_1)
	v_fmac_f32_e32 v22, 0x32a5705f, v7
	v_fmac_f32_e32 v18, 0x32a5705f, v5
	v_ldexp_f32 v8, v8, v12
	v_rndne_f32_e32 v21, v10
	s_delay_alu instid0(VALU_DEP_4) | instskip(NEXT) | instid1(VALU_DEP_3)
	v_add_f32_e32 v11, v11, v22
	v_dual_add_f32 v9, v9, v18 :: v_dual_cndmask_b32 v8, 0, v8
	v_cmp_ngt_f32_e32 vcc_lo, 0xc2ce8ed0, v5
	s_delay_alu instid0(VALU_DEP_4) | instskip(SKIP_1) | instid1(VALU_DEP_4)
	v_sub_f32_e32 v10, v10, v21
	v_cvt_i32_f32_e32 v12, v21
	v_exp_f32_e32 v9, v9
	v_exp_f32_e32 v11, v11
	s_waitcnt_depctr 0xfff
	v_ldexp_f32 v9, v9, v13
	v_fmac_f32_e32 v20, 0x32a5705f, v6
	v_mul_f32_e32 v13, 0x3fb8aa3b, v3
	s_delay_alu instid0(VALU_DEP_3) | instskip(SKIP_1) | instid1(VALU_DEP_3)
	v_cndmask_b32_e32 v9, 0, v9, vcc_lo
	v_cmp_nlt_f32_e32 vcc_lo, 0x42b17218, v4
	v_rndne_f32_e32 v17, v13
	v_cndmask_b32_e32 v4, 0x7f800000, v8, vcc_lo
	v_cmp_nlt_f32_e32 vcc_lo, 0x42b17218, v5
	v_dual_add_f32 v10, v10, v20 :: v_dual_cndmask_b32 v5, 0x7f800000, v9
	s_delay_alu instid0(VALU_DEP_1) | instskip(SKIP_2) | instid1(VALU_DEP_3)
	v_exp_f32_e32 v10, v10
	v_cmp_ngt_f32_e32 vcc_lo, 0xc2ce8ed0, v6
	v_cvt_i32_f32_e32 v9, v23
	v_add_f32_e32 v4, v4, v5
	s_waitcnt_depctr 0xfff
	v_ldexp_f32 v10, v10, v12
	s_delay_alu instid0(VALU_DEP_1) | instskip(SKIP_2) | instid1(VALU_DEP_3)
	v_cndmask_b32_e32 v8, 0, v10, vcc_lo
	v_cmp_nlt_f32_e32 vcc_lo, 0x42b17218, v6
	v_mul_f32_e32 v10, 0x3fb8aa3b, v2
	v_cndmask_b32_e32 v5, 0x7f800000, v8, vcc_lo
	v_ldexp_f32 v8, v11, v9
	v_cmp_ngt_f32_e32 vcc_lo, 0xc2ce8ed0, v7
	s_delay_alu instid0(VALU_DEP_4)
	v_fma_f32 v11, 0x3fb8aa3b, v2, -v10
	v_rndne_f32_e32 v12, v10
	v_add_f32_e32 v4, v4, v5
	v_cndmask_b32_e32 v8, 0, v8, vcc_lo
	v_cmp_nlt_f32_e32 vcc_lo, 0x42b17218, v7
	v_fmac_f32_e32 v11, 0x32a5705f, v2
	s_delay_alu instid0(VALU_DEP_3) | instskip(SKIP_3) | instid1(VALU_DEP_4)
	v_cndmask_b32_e32 v7, 0x7f800000, v8, vcc_lo
	v_mul_f32_e32 v6, 0x3fb8aa3b, v0
	v_mul_f32_e32 v8, 0x3fb8aa3b, v1
	v_cmp_ngt_f32_e32 vcc_lo, 0xc2ce8ed0, v0
	v_add_f32_e32 v4, v4, v7
	s_delay_alu instid0(VALU_DEP_4) | instskip(SKIP_2) | instid1(VALU_DEP_2)
	v_fma_f32 v5, 0x3fb8aa3b, v0, -v6
	v_rndne_f32_e32 v9, v6
	v_rndne_f32_e32 v7, v8
	v_dual_fmac_f32 v5, 0x32a5705f, v0 :: v_dual_sub_f32 v6, v6, v9
	v_cvt_i32_f32_e32 v9, v9
	s_delay_alu instid0(VALU_DEP_2) | instskip(SKIP_3) | instid1(VALU_DEP_4)
	v_add_f32_e32 v5, v6, v5
	v_fma_f32 v6, 0x3fb8aa3b, v1, -v8
	v_sub_f32_e32 v8, v8, v7
	v_cvt_i32_f32_e32 v7, v7
	v_exp_f32_e32 v5, v5
	s_delay_alu instid0(VALU_DEP_3) | instskip(NEXT) | instid1(VALU_DEP_1)
	v_fmac_f32_e32 v6, 0x32a5705f, v1
	v_add_f32_e32 v6, v8, v6
	v_sub_f32_e32 v8, v10, v12
	v_fma_f32 v10, 0x3fb8aa3b, v3, -v13
	s_waitcnt_depctr 0xfff
	v_ldexp_f32 v5, v5, v9
	v_exp_f32_e32 v6, v6
	v_add_f32_e32 v8, v8, v11
	v_dual_fmac_f32 v10, 0x32a5705f, v3 :: v_dual_sub_f32 v9, v13, v17
	s_delay_alu instid0(VALU_DEP_3) | instskip(SKIP_1) | instid1(VALU_DEP_4)
	v_cndmask_b32_e32 v5, 0, v5, vcc_lo
	v_cmp_nlt_f32_e32 vcc_lo, 0x42b17218, v0
	v_exp_f32_e32 v8, v8
	s_delay_alu instid0(VALU_DEP_3) | instskip(NEXT) | instid1(TRANS32_DEP_2)
	v_add_f32_e32 v9, v9, v10
	v_ldexp_f32 v6, v6, v7
	v_cndmask_b32_e32 v0, 0x7f800000, v5, vcc_lo
	v_cmp_ngt_f32_e32 vcc_lo, 0xc2ce8ed0, v1
	v_cvt_i32_f32_e32 v5, v12
	v_exp_f32_e32 v7, v9
	s_delay_alu instid0(VALU_DEP_3) | instskip(SKIP_4) | instid1(VALU_DEP_4)
	v_add_f32_e32 v0, v4, v0
	v_cndmask_b32_e32 v6, 0, v6, vcc_lo
	v_cmp_nlt_f32_e32 vcc_lo, 0x42b17218, v1
	v_ldexp_f32 v4, v8, v5
	v_cvt_i32_f32_e32 v5, v17
	v_cndmask_b32_e32 v1, 0x7f800000, v6, vcc_lo
	v_cmp_ngt_f32_e32 vcc_lo, 0xc2ce8ed0, v2
	s_delay_alu instid0(TRANS32_DEP_1) | instid1(VALU_DEP_3)
	v_ldexp_f32 v5, v7, v5
	s_delay_alu instid0(VALU_DEP_3) | instskip(SKIP_2) | instid1(VALU_DEP_2)
	v_add_f32_e32 v0, v0, v1
	v_cndmask_b32_e32 v4, 0, v4, vcc_lo
	v_cmp_nlt_f32_e32 vcc_lo, 0x42b17218, v2
	v_cndmask_b32_e32 v1, 0x7f800000, v4, vcc_lo
	v_cmp_ngt_f32_e32 vcc_lo, 0xc2ce8ed0, v3
	s_delay_alu instid0(VALU_DEP_2) | instskip(SKIP_2) | instid1(VALU_DEP_2)
	v_add_f32_e32 v0, v0, v1
	v_cndmask_b32_e32 v2, 0, v5, vcc_lo
	v_cmp_nlt_f32_e32 vcc_lo, 0x42b17218, v3
	v_cndmask_b32_e32 v1, 0x7f800000, v2, vcc_lo
	v_cmp_eq_u32_e32 vcc_lo, 0, v16
	s_delay_alu instid0(VALU_DEP_2) | instskip(NEXT) | instid1(VALU_DEP_1)
	v_add_f32_e32 v0, v0, v1
	v_mov_b32_dpp v1, v0 quad_perm:[1,0,3,2] row_mask:0xf bank_mask:0xf
	s_delay_alu instid0(VALU_DEP_1) | instskip(NEXT) | instid1(VALU_DEP_1)
	v_add_f32_e32 v0, v0, v1
	v_mov_b32_dpp v1, v0 quad_perm:[2,3,0,1] row_mask:0xf bank_mask:0xf
	s_delay_alu instid0(VALU_DEP_1) | instskip(NEXT) | instid1(VALU_DEP_1)
	v_add_f32_e32 v0, v0, v1
	v_mov_b32_dpp v1, v0 row_xmask:7 row_mask:0xf bank_mask:0xf
	s_delay_alu instid0(VALU_DEP_1) | instskip(NEXT) | instid1(VALU_DEP_1)
	v_add_f32_e32 v0, v0, v1
	v_mov_b32_dpp v1, v0 row_xmask:15 row_mask:0xf bank_mask:0xf
	s_and_b32 exec_lo, exec_lo, vcc_lo
	s_cbranch_execz .LBB86_23
; %bb.19:
	s_delay_alu instid0(VALU_DEP_1)
	v_add_f32_e32 v0, v0, v1
	s_mov_b32 s0, 0x76543210
	s_delay_alu instid0(VALU_DEP_1) | instid1(SALU_CYCLE_1)
	v_permlanex16_b32 v1, v0, s0, 0xfedcba98 op_sel:[1,1]
	s_delay_alu instid0(VALU_DEP_1) | instskip(NEXT) | instid1(VALU_DEP_1)
	v_add_f32_e32 v0, v0, v1
	v_add_f32_e32 v0, v14, v0
	s_delay_alu instid0(VALU_DEP_1)
	v_cmp_neq_f32_e32 vcc_lo, 0, v0
	s_and_b32 exec_lo, exec_lo, vcc_lo
	s_cbranch_execz .LBB86_23
; %bb.20:
	s_and_not1_b32 vcc_lo, exec_lo, s3
	s_cbranch_vccnz .LBB86_23
; %bb.21:
	v_div_scale_f32 v2, null, v0, v0, 1.0
	v_div_scale_f32 v4, vcc_lo, 1.0, v0, 1.0
	s_delay_alu instid0(VALU_DEP_2) | instskip(SKIP_2) | instid1(VALU_DEP_1)
	v_rcp_f32_e32 v3, v2
	s_waitcnt_depctr 0xfff
	v_fma_f32 v1, -v2, v3, 1.0
	v_fmac_f32_e32 v3, v1, v3
	v_mul_lo_u32 v1, v15, s7
	s_delay_alu instid0(VALU_DEP_2) | instskip(NEXT) | instid1(VALU_DEP_1)
	v_mul_f32_e32 v5, v4, v3
	v_fma_f32 v6, -v2, v5, v4
	s_delay_alu instid0(VALU_DEP_1) | instskip(NEXT) | instid1(VALU_DEP_1)
	v_fmac_f32_e32 v5, v6, v3
	v_fma_f32 v4, -v2, v5, v4
	v_ashrrev_i32_e32 v2, 31, v1
	s_delay_alu instid0(VALU_DEP_2) | instskip(NEXT) | instid1(VALU_DEP_2)
	v_div_fmas_f32 v5, v4, v3, v5
	v_lshlrev_b64 v[3:4], 2, v[1:2]
	s_delay_alu instid0(VALU_DEP_2) | instskip(NEXT) | instid1(VALU_DEP_2)
	v_div_fixup_f32 v2, v5, v0, 1.0
	v_add_co_u32 v0, vcc_lo, s12, v3
	s_delay_alu instid0(VALU_DEP_3)
	v_add_co_ci_u32_e32 v1, vcc_lo, s13, v4, vcc_lo
.LBB86_22:                              ; =>This Inner Loop Header: Depth=1
	global_load_b32 v3, v[0:1], off
	s_add_i32 s4, s4, -1
	s_delay_alu instid0(SALU_CYCLE_1)
	s_cmp_lg_u32 s4, 0
	s_waitcnt vmcnt(0)
	v_mul_f32_e32 v3, v2, v3
	global_store_b32 v[0:1], v3, off
	v_add_co_u32 v0, vcc_lo, v0, 4
	v_add_co_ci_u32_e32 v1, vcc_lo, 0, v1, vcc_lo
	s_cbranch_scc1 .LBB86_22
.LBB86_23:
	s_nop 0
	s_sendmsg sendmsg(MSG_DEALLOC_VGPRS)
	s_endpgm
	.section	.rodata,"a",@progbits
	.p2align	6, 0x0
	.amdhsa_kernel _ZN4vllm3moe17topkGatingSoftmaxIfLi8ELi256ELi8ELi32ELb0ELi2ELNS0_23SharedExpertScoringFuncE1EEEvPKT_PKbPfiPiS9_iiiiii
		.amdhsa_group_segment_fixed_size 0
		.amdhsa_private_segment_fixed_size 0
		.amdhsa_kernarg_size 72
		.amdhsa_user_sgpr_count 15
		.amdhsa_user_sgpr_dispatch_ptr 0
		.amdhsa_user_sgpr_queue_ptr 0
		.amdhsa_user_sgpr_kernarg_segment_ptr 1
		.amdhsa_user_sgpr_dispatch_id 0
		.amdhsa_user_sgpr_private_segment_size 0
		.amdhsa_wavefront_size32 1
		.amdhsa_uses_dynamic_stack 0
		.amdhsa_enable_private_segment 0
		.amdhsa_system_sgpr_workgroup_id_x 1
		.amdhsa_system_sgpr_workgroup_id_y 0
		.amdhsa_system_sgpr_workgroup_id_z 0
		.amdhsa_system_sgpr_workgroup_info 0
		.amdhsa_system_vgpr_workitem_id 1
		.amdhsa_next_free_vgpr 37
		.amdhsa_next_free_sgpr 19
		.amdhsa_reserve_vcc 1
		.amdhsa_float_round_mode_32 0
		.amdhsa_float_round_mode_16_64 0
		.amdhsa_float_denorm_mode_32 3
		.amdhsa_float_denorm_mode_16_64 3
		.amdhsa_dx10_clamp 1
		.amdhsa_ieee_mode 1
		.amdhsa_fp16_overflow 0
		.amdhsa_workgroup_processor_mode 1
		.amdhsa_memory_ordered 1
		.amdhsa_forward_progress 0
		.amdhsa_shared_vgpr_count 0
		.amdhsa_exception_fp_ieee_invalid_op 0
		.amdhsa_exception_fp_denorm_src 0
		.amdhsa_exception_fp_ieee_div_zero 0
		.amdhsa_exception_fp_ieee_overflow 0
		.amdhsa_exception_fp_ieee_underflow 0
		.amdhsa_exception_fp_ieee_inexact 0
		.amdhsa_exception_int_div_zero 0
	.end_amdhsa_kernel
	.section	.text._ZN4vllm3moe17topkGatingSoftmaxIfLi8ELi256ELi8ELi32ELb0ELi2ELNS0_23SharedExpertScoringFuncE1EEEvPKT_PKbPfiPiS9_iiiiii,"axG",@progbits,_ZN4vllm3moe17topkGatingSoftmaxIfLi8ELi256ELi8ELi32ELb0ELi2ELNS0_23SharedExpertScoringFuncE1EEEvPKT_PKbPfiPiS9_iiiiii,comdat
.Lfunc_end86:
	.size	_ZN4vllm3moe17topkGatingSoftmaxIfLi8ELi256ELi8ELi32ELb0ELi2ELNS0_23SharedExpertScoringFuncE1EEEvPKT_PKbPfiPiS9_iiiiii, .Lfunc_end86-_ZN4vllm3moe17topkGatingSoftmaxIfLi8ELi256ELi8ELi32ELb0ELi2ELNS0_23SharedExpertScoringFuncE1EEEvPKT_PKbPfiPiS9_iiiiii
                                        ; -- End function
	.section	.AMDGPU.csdata,"",@progbits
; Kernel info:
; codeLenInByte = 4212
; NumSgprs: 21
; NumVgprs: 37
; ScratchSize: 0
; MemoryBound: 0
; FloatMode: 240
; IeeeMode: 1
; LDSByteSize: 0 bytes/workgroup (compile time only)
; SGPRBlocks: 2
; VGPRBlocks: 4
; NumSGPRsForWavesPerEU: 21
; NumVGPRsForWavesPerEU: 37
; Occupancy: 16
; WaveLimiterHint : 0
; COMPUTE_PGM_RSRC2:SCRATCH_EN: 0
; COMPUTE_PGM_RSRC2:USER_SGPR: 15
; COMPUTE_PGM_RSRC2:TRAP_HANDLER: 0
; COMPUTE_PGM_RSRC2:TGID_X_EN: 1
; COMPUTE_PGM_RSRC2:TGID_Y_EN: 0
; COMPUTE_PGM_RSRC2:TGID_Z_EN: 0
; COMPUTE_PGM_RSRC2:TIDIG_COMP_CNT: 1
	.section	.text._ZN4vllm3moe17topkGatingSoftmaxIfLi8ELi256ELi8ELi32ELb1ELi4ELNS0_23SharedExpertScoringFuncE1EEEvPKT_PKbPfiPiS9_iiiiii,"axG",@progbits,_ZN4vllm3moe17topkGatingSoftmaxIfLi8ELi256ELi8ELi32ELb1ELi4ELNS0_23SharedExpertScoringFuncE1EEEvPKT_PKbPfiPiS9_iiiiii,comdat
	.protected	_ZN4vllm3moe17topkGatingSoftmaxIfLi8ELi256ELi8ELi32ELb1ELi4ELNS0_23SharedExpertScoringFuncE1EEEvPKT_PKbPfiPiS9_iiiiii ; -- Begin function _ZN4vllm3moe17topkGatingSoftmaxIfLi8ELi256ELi8ELi32ELb1ELi4ELNS0_23SharedExpertScoringFuncE1EEEvPKT_PKbPfiPiS9_iiiiii
	.globl	_ZN4vllm3moe17topkGatingSoftmaxIfLi8ELi256ELi8ELi32ELb1ELi4ELNS0_23SharedExpertScoringFuncE1EEEvPKT_PKbPfiPiS9_iiiiii
	.p2align	8
	.type	_ZN4vllm3moe17topkGatingSoftmaxIfLi8ELi256ELi8ELi32ELb1ELi4ELNS0_23SharedExpertScoringFuncE1EEEvPKT_PKbPfiPiS9_iiiiii,@function
_ZN4vllm3moe17topkGatingSoftmaxIfLi8ELi256ELi8ELi32ELb1ELi4ELNS0_23SharedExpertScoringFuncE1EEEvPKT_PKbPfiPiS9_iiiiii: ; @_ZN4vllm3moe17topkGatingSoftmaxIfLi8ELi256ELi8ELi32ELb1ELi4ELNS0_23SharedExpertScoringFuncE1EEEvPKT_PKbPfiPiS9_iiiiii
; %bb.0:
	s_load_b32 s16, s[0:1], 0x18
	v_and_b32_e32 v1, 0x3ff, v0
	v_bfe_u32 v8, v0, 10, 10
	s_lshl_b32 s18, s15, 3
	s_mov_b32 s2, exec_lo
	s_delay_alu instid0(VALU_DEP_2) | instskip(NEXT) | instid1(VALU_DEP_1)
	v_lshrrev_b32_e32 v25, 5, v1
	v_add3_u32 v15, s18, v8, v25
	s_waitcnt lgkmcnt(0)
	s_delay_alu instid0(VALU_DEP_1)
	v_cmpx_gt_i32_e64 s16, v15
	s_cbranch_execz .LBB87_22
; %bb.1:
	s_clause 0x1
	s_load_b128 s[4:7], s[0:1], 0x0
	s_load_b64 s[12:13], s[0:1], 0x10
	s_waitcnt lgkmcnt(0)
	s_cmp_eq_u64 s[6:7], 0
	s_cbranch_scc1 .LBB87_3
; %bb.2:
	v_ashrrev_i32_e32 v0, 31, v15
	v_add_co_u32 v2, vcc_lo, s6, v15
	s_delay_alu instid0(VALU_DEP_2) | instskip(SKIP_3) | instid1(VALU_DEP_1)
	v_add_co_ci_u32_e32 v3, vcc_lo, s7, v0, vcc_lo
	global_load_u8 v0, v[2:3], off
	s_waitcnt vmcnt(0)
	v_and_b32_e32 v0, 1, v0
	v_cmp_eq_u32_e32 vcc_lo, 1, v0
	s_xor_b32 s2, vcc_lo, -1
	s_delay_alu instid0(SALU_CYCLE_1)
	s_or_not1_b32 s17, s2, exec_lo
	s_branch .LBB87_4
.LBB87_3:
	s_mov_b32 s17, -1
.LBB87_4:
	s_clause 0x1
	s_load_b64 s[14:15], s[0:1], 0x40
	s_load_b128 s[8:11], s[0:1], 0x30
	v_and_b32_e32 v16, 31, v1
	s_mov_b32 s2, exec_lo
	s_delay_alu instid0(VALU_DEP_1) | instskip(SKIP_2) | instid1(VALU_DEP_1)
	v_dual_mov_b32 v14, 0 :: v_dual_lshlrev_b32 v17, 3, v16
	s_waitcnt lgkmcnt(0)
	v_mul_lo_u32 v2, v15, s15
	v_ashrrev_i32_e32 v3, 31, v2
	s_delay_alu instid0(VALU_DEP_1) | instskip(SKIP_1) | instid1(VALU_DEP_2)
	v_lshlrev_b64 v[0:1], 2, v[2:3]
	v_lshlrev_b32_e32 v2, 5, v16
	v_add_co_u32 v9, vcc_lo, s4, v0
	s_delay_alu instid0(VALU_DEP_3) | instskip(NEXT) | instid1(VALU_DEP_2)
	v_add_co_ci_u32_e32 v10, vcc_lo, s5, v1, vcc_lo
	v_add_co_u32 v4, vcc_lo, v9, v2
	s_delay_alu instid0(VALU_DEP_2)
	v_add_co_ci_u32_e32 v5, vcc_lo, 0, v10, vcc_lo
	s_clause 0x1
	global_load_b128 v[0:3], v[4:5], off offset:16
	global_load_b128 v[4:7], v[4:5], off
	v_cmpx_gt_u32_e32 4, v16
	s_cbranch_execz .LBB87_6
; %bb.5:
	v_lshlrev_b32_e32 v11, 2, v16
	s_delay_alu instid0(VALU_DEP_1)
	v_add_co_u32 v9, vcc_lo, v9, v11
	v_add_co_ci_u32_e32 v10, vcc_lo, 0, v10, vcc_lo
	global_load_b32 v9, v[9:10], off offset:1024
	s_waitcnt vmcnt(0)
	v_mul_f32_e32 v10, 0xbfb8aa3b, v9
	v_cmp_nlt_f32_e32 vcc_lo, 0x42ce8ed0, v9
	s_delay_alu instid0(VALU_DEP_2) | instskip(SKIP_1) | instid1(VALU_DEP_1)
	v_fma_f32 v11, 0xbfb8aa3b, v9, -v10
	v_rndne_f32_e32 v12, v10
	v_dual_fmamk_f32 v11, v9, 0xb2a5705f, v11 :: v_dual_sub_f32 v10, v10, v12
	s_delay_alu instid0(VALU_DEP_1) | instskip(SKIP_1) | instid1(VALU_DEP_2)
	v_add_f32_e32 v10, v10, v11
	v_cvt_i32_f32_e32 v11, v12
	v_exp_f32_e32 v10, v10
	s_waitcnt_depctr 0xfff
	v_ldexp_f32 v10, v10, v11
	s_delay_alu instid0(VALU_DEP_1) | instskip(SKIP_1) | instid1(VALU_DEP_2)
	v_cndmask_b32_e32 v10, 0, v10, vcc_lo
	v_cmp_ngt_f32_e32 vcc_lo, 0xc2b17218, v9
	v_cndmask_b32_e32 v9, 0x7f800000, v10, vcc_lo
	s_delay_alu instid0(VALU_DEP_1) | instskip(NEXT) | instid1(VALU_DEP_1)
	v_add_f32_e32 v11, 1.0, v9
	v_div_scale_f32 v10, null, v11, v11, 1.0
	v_div_scale_f32 v13, vcc_lo, 1.0, v11, 1.0
	s_delay_alu instid0(VALU_DEP_2) | instskip(SKIP_2) | instid1(VALU_DEP_1)
	v_rcp_f32_e32 v12, v10
	s_waitcnt_depctr 0xfff
	v_fma_f32 v9, -v10, v12, 1.0
	v_fmac_f32_e32 v12, v9, v12
	v_mul_lo_u32 v9, v15, s11
	s_delay_alu instid0(VALU_DEP_2) | instskip(NEXT) | instid1(VALU_DEP_2)
	v_mul_f32_e32 v18, v13, v12
	v_add3_u32 v9, v9, s8, v16
	s_delay_alu instid0(VALU_DEP_2) | instskip(NEXT) | instid1(VALU_DEP_1)
	v_fma_f32 v19, -v10, v18, v13
	v_fmac_f32_e32 v18, v19, v12
	s_delay_alu instid0(VALU_DEP_1) | instskip(NEXT) | instid1(VALU_DEP_4)
	v_fma_f32 v13, -v10, v18, v13
	v_ashrrev_i32_e32 v10, 31, v9
	s_delay_alu instid0(VALU_DEP_2) | instskip(NEXT) | instid1(VALU_DEP_2)
	v_div_fmas_f32 v12, v13, v12, v18
	v_lshlrev_b64 v[9:10], 2, v[9:10]
	s_delay_alu instid0(VALU_DEP_2) | instskip(NEXT) | instid1(VALU_DEP_2)
	v_div_fixup_f32 v11, v12, v11, 1.0
	v_add_co_u32 v9, vcc_lo, s12, v9
	s_delay_alu instid0(VALU_DEP_3)
	v_add_co_ci_u32_e32 v10, vcc_lo, s13, v10, vcc_lo
	global_store_b32 v[9:10], v11, off
.LBB87_6:
	s_or_b32 exec_lo, exec_lo, s2
	v_or_b32_e32 v18, 1, v17
	s_waitcnt vmcnt(0)
	v_cmp_lt_f32_e32 vcc_lo, v4, v5
	v_or_b32_e32 v19, 2, v17
	v_or_b32_e32 v20, 3, v17
	;; [unrolled: 1-line block ×4, first 2 shown]
	v_dual_cndmask_b32 v9, v17, v18 :: v_dual_cndmask_b32 v10, v4, v5
	v_or_b32_e32 v23, 6, v17
	v_or_b32_e32 v24, 7, v17
	s_delay_alu instid0(VALU_DEP_3) | instskip(NEXT) | instid1(VALU_DEP_4)
	v_cmp_lt_f32_e32 vcc_lo, v10, v6
	v_dual_cndmask_b32 v9, v9, v19 :: v_dual_cndmask_b32 v10, v10, v6
	s_delay_alu instid0(VALU_DEP_1) | instskip(NEXT) | instid1(VALU_DEP_2)
	v_cmp_lt_f32_e32 vcc_lo, v10, v7
	v_dual_cndmask_b32 v9, v9, v20 :: v_dual_cndmask_b32 v10, v10, v7
	s_delay_alu instid0(VALU_DEP_1) | instskip(NEXT) | instid1(VALU_DEP_2)
	;; [unrolled: 3-line block ×6, first 2 shown]
	v_mov_b32_dpp v11, v9 quad_perm:[1,0,3,2] row_mask:0xf bank_mask:0xf
	v_mov_b32_dpp v12, v10 quad_perm:[1,0,3,2] row_mask:0xf bank_mask:0xf
	s_delay_alu instid0(VALU_DEP_2) | instskip(NEXT) | instid1(VALU_DEP_2)
	v_cmp_lt_i32_e32 vcc_lo, v11, v9
	v_cmp_eq_f32_e64 s2, v10, v12
	v_cmp_lt_f32_e64 s3, v10, v12
	s_delay_alu instid0(VALU_DEP_2)
	s_and_b32 s2, s2, vcc_lo
	s_delay_alu instid0(VALU_DEP_1) | instid1(SALU_CYCLE_1)
	s_or_b32 vcc_lo, s3, s2
	v_dual_cndmask_b32 v10, v10, v12 :: v_dual_cndmask_b32 v9, v9, v11
	s_delay_alu instid0(VALU_DEP_1) | instskip(NEXT) | instid1(VALU_DEP_2)
	v_mov_b32_dpp v11, v10 quad_perm:[2,3,0,1] row_mask:0xf bank_mask:0xf
	v_mov_b32_dpp v12, v9 quad_perm:[2,3,0,1] row_mask:0xf bank_mask:0xf
	s_delay_alu instid0(VALU_DEP_2) | instskip(NEXT) | instid1(VALU_DEP_2)
	v_cmp_eq_f32_e32 vcc_lo, v10, v11
	v_cmp_lt_i32_e64 s2, v12, v9
	v_cmp_lt_f32_e64 s3, v10, v11
	s_delay_alu instid0(VALU_DEP_2)
	s_and_b32 s2, vcc_lo, s2
	s_delay_alu instid0(VALU_DEP_1) | instid1(SALU_CYCLE_1)
	s_or_b32 vcc_lo, s3, s2
	v_dual_cndmask_b32 v10, v10, v11 :: v_dual_cndmask_b32 v11, v9, v12
	s_delay_alu instid0(VALU_DEP_1) | instskip(NEXT) | instid1(VALU_DEP_2)
	v_mov_b32_dpp v9, v10 row_xmask:7 row_mask:0xf bank_mask:0xf
	v_mov_b32_dpp v12, v11 row_xmask:7 row_mask:0xf bank_mask:0xf
	s_delay_alu instid0(VALU_DEP_2) | instskip(NEXT) | instid1(VALU_DEP_2)
	v_cmp_eq_f32_e32 vcc_lo, v10, v9
	v_cmp_lt_i32_e64 s2, v12, v11
	v_cmp_lt_f32_e64 s3, v10, v9
	s_delay_alu instid0(VALU_DEP_2)
	s_and_b32 s2, vcc_lo, s2
	s_delay_alu instid0(VALU_DEP_1) | instid1(SALU_CYCLE_1)
	s_or_b32 vcc_lo, s3, s2
	s_cmp_gt_i32 s8, 0
	v_dual_cndmask_b32 v9, v10, v9 :: v_dual_cndmask_b32 v10, v11, v12
	v_cmp_eq_u32_e32 vcc_lo, 0, v16
	s_cselect_b32 s15, -1, 0
	s_cmp_lt_i32 s8, 1
	s_delay_alu instid0(VALU_DEP_2) | instskip(SKIP_1) | instid1(VALU_DEP_2)
	v_mov_b32_dpp v12, v9 row_xmask:15 row_mask:0xf bank_mask:0xf
	v_mov_b32_dpp v11, v10 row_xmask:15 row_mask:0xf bank_mask:0xf
	v_cmp_lt_f32_e64 s2, v9, v12
	v_cmp_eq_f32_e64 s3, v9, v12
	s_delay_alu instid0(VALU_DEP_3)
	v_cmp_lt_i32_e64 s4, v11, v10
	s_cbranch_scc1 .LBB87_18
; %bb.7:
	s_delay_alu instid0(VALU_DEP_1)
	s_and_b32 s3, s3, s4
	s_load_b128 s[4:7], s[0:1], 0x20
	s_or_b32 s2, s2, s3
	v_mul_lo_u32 v13, v15, s8
	v_cndmask_b32_e64 v12, v9, v12, s2
	v_cndmask_b32_e64 v10, v10, v11, s2
	s_mov_b32 s2, 0x76543210
	v_mul_lo_u32 v9, v15, s11
	v_mul_lo_u32 v11, v15, s14
	v_permlanex16_b32 v14, v12, s2, 0xfedcba98 op_sel:[1,1]
	v_permlanex16_b32 v26, v10, s2, 0xfedcba98 op_sel:[1,1]
	s_delay_alu instid0(VALU_DEP_2) | instskip(NEXT) | instid1(VALU_DEP_2)
	v_cmp_eq_f32_e64 s0, v12, v14
	v_cmp_lt_i32_e64 s1, v26, v10
	v_cmp_lt_f32_e64 s2, v12, v14
	s_delay_alu instid0(VALU_DEP_2)
	s_and_b32 s0, s0, s1
	s_delay_alu instid0(VALU_DEP_1) | instid1(SALU_CYCLE_1)
	s_or_b32 s0, s2, s0
	s_delay_alu instid0(SALU_CYCLE_1)
	v_cndmask_b32_e64 v27, v10, v26, s0
	v_cndmask_b32_e64 v26, v12, v14, s0
	v_mov_b32_e32 v14, 0
	s_and_saveexec_b32 s2, vcc_lo
	s_cbranch_execz .LBB87_9
; %bb.8:
	s_delay_alu instid0(VALU_DEP_2)
	v_sub_f32_e32 v34, v26, v26
	v_cmp_le_i32_e64 s0, s9, v27
	v_cmp_gt_i32_e64 s1, s10, v27
	v_subrev_nc_u32_e32 v35, s9, v27
	v_ashrrev_i32_e32 v14, 31, v13
	v_mul_f32_e32 v10, 0x3fb8aa3b, v34
	s_delay_alu instid0(VALU_DEP_4) | instskip(NEXT) | instid1(SALU_CYCLE_1)
	s_and_b32 s0, s0, s1
	s_and_b32 s0, s17, s0
	s_delay_alu instid0(VALU_DEP_1) | instskip(SKIP_2) | instid1(VALU_DEP_3)
	v_rndne_f32_e32 v30, v10
	v_fma_f32 v12, 0x3fb8aa3b, v34, -v10
	v_lshlrev_b64 v[32:33], 2, v[13:14]
	v_sub_f32_e32 v10, v10, v30
	s_delay_alu instid0(VALU_DEP_3) | instskip(NEXT) | instid1(VALU_DEP_1)
	v_fmamk_f32 v12, v34, 0x32a5705f, v12
	v_add_f32_e32 v12, v10, v12
	v_ashrrev_i32_e32 v10, 31, v9
	s_delay_alu instid0(VALU_DEP_2) | instskip(NEXT) | instid1(VALU_DEP_1)
	v_exp_f32_e32 v36, v12
	v_lshlrev_b64 v[28:29], 2, v[9:10]
	v_ashrrev_i32_e32 v12, 31, v11
	v_cvt_i32_f32_e32 v10, v30
	s_delay_alu instid0(VALU_DEP_2) | instskip(SKIP_2) | instid1(VALU_DEP_1)
	v_lshlrev_b64 v[30:31], 2, v[11:12]
	v_cndmask_b32_e64 v12, 0x100, v35, s0
	v_add_co_u32 v28, s0, s12, v28
	v_add_co_ci_u32_e64 v29, s0, s13, v29, s0
	s_delay_alu instid0(TRANS32_DEP_1) | instskip(SKIP_1) | instid1(VALU_DEP_1)
	v_ldexp_f32 v10, v36, v10
	v_cmp_ngt_f32_e64 s0, 0xc2ce8ed0, v34
	v_cndmask_b32_e64 v10, 0, v10, s0
	s_waitcnt lgkmcnt(0)
	v_add_co_u32 v30, s0, s4, v30
	s_delay_alu instid0(VALU_DEP_1) | instskip(SKIP_1) | instid1(VALU_DEP_1)
	v_add_co_ci_u32_e64 v31, s0, s5, v31, s0
	v_cmp_nlt_f32_e64 s0, 0x42b17218, v34
	v_cndmask_b32_e64 v14, 0x7f800000, v10, s0
	v_add_co_u32 v32, s0, s6, v32
	s_delay_alu instid0(VALU_DEP_1)
	v_add_co_ci_u32_e64 v33, s0, s7, v33, s0
	global_store_b32 v[30:31], v12, off
	global_store_b32 v[28:29], v14, off
	;; [unrolled: 1-line block ×3, first 2 shown]
.LBB87_9:
	s_or_b32 exec_lo, exec_lo, s2
	v_ashrrev_i32_e32 v10, 31, v27
	s_mov_b32 s1, exec_lo
	s_delay_alu instid0(VALU_DEP_1) | instskip(NEXT) | instid1(VALU_DEP_1)
	v_lshrrev_b32_e32 v12, 29, v10
	v_add_nc_u32_e32 v12, v27, v12
	s_delay_alu instid0(VALU_DEP_1) | instskip(SKIP_1) | instid1(VALU_DEP_2)
	v_ashrrev_i32_e32 v28, 31, v12
	v_ashrrev_i32_e32 v12, 3, v12
	v_lshrrev_b32_e32 v28, 27, v28
	s_delay_alu instid0(VALU_DEP_1) | instskip(NEXT) | instid1(VALU_DEP_1)
	v_add_nc_u32_e32 v28, v12, v28
	v_and_b32_e32 v28, 0xffffffe0, v28
	s_delay_alu instid0(VALU_DEP_1) | instskip(NEXT) | instid1(VALU_DEP_1)
	v_sub_nc_u32_e32 v28, v12, v28
	v_cmpx_eq_u32_e64 v16, v28
	s_cbranch_execz .LBB87_11
; %bb.10:
	v_lshrrev_b32_e32 v10, 24, v10
	v_lshlrev_b32_e32 v12, 3, v12
	s_delay_alu instid0(VALU_DEP_2) | instskip(NEXT) | instid1(VALU_DEP_2)
	v_add_nc_u32_e32 v10, v27, v10
	v_sub_nc_u32_e32 v12, v27, v12
	s_delay_alu instid0(VALU_DEP_2) | instskip(NEXT) | instid1(VALU_DEP_1)
	v_ashrrev_i32_e32 v10, 8, v10
	v_lshl_add_u32 v10, v10, 3, v12
	s_delay_alu instid0(VALU_DEP_1) | instskip(NEXT) | instid1(VALU_DEP_1)
	v_cmp_ne_u32_e64 s0, 7, v10
	v_cndmask_b32_e64 v3, 0xff800000, v3, s0
	v_cmp_ne_u32_e64 s0, 6, v10
	s_delay_alu instid0(VALU_DEP_1) | instskip(SKIP_1) | instid1(VALU_DEP_1)
	v_cndmask_b32_e64 v2, 0xff800000, v2, s0
	v_cmp_ne_u32_e64 s0, 5, v10
	v_cndmask_b32_e64 v1, 0xff800000, v1, s0
	v_cmp_ne_u32_e64 s0, 4, v10
	s_delay_alu instid0(VALU_DEP_1) | instskip(SKIP_1) | instid1(VALU_DEP_1)
	v_cndmask_b32_e64 v0, 0xff800000, v0, s0
	;; [unrolled: 5-line block ×3, first 2 shown]
	v_cmp_ne_u32_e64 s0, 1, v10
	v_cndmask_b32_e64 v5, 0xff800000, v5, s0
	v_cmp_ne_u32_e64 s0, 0, v10
	s_delay_alu instid0(VALU_DEP_1)
	v_cndmask_b32_e64 v4, 0xff800000, v4, s0
.LBB87_11:
	s_or_b32 exec_lo, exec_lo, s1
	s_cmp_eq_u32 s8, 1
	s_cbranch_scc1 .LBB87_18
; %bb.12:
	v_add_nc_u32_e32 v12, s16, v8
	v_add_nc_u32_e32 v8, 1, v13
	;; [unrolled: 1-line block ×3, first 2 shown]
	s_add_i32 s3, s8, -1
	s_mov_b32 s14, 0x76543210
	v_add3_u32 v25, v12, v25, s18
	v_add_nc_u32_e32 v12, 1, v9
	s_branch .LBB87_14
.LBB87_13:                              ;   in Loop: Header=BB87_14 Depth=1
	s_or_b32 exec_lo, exec_lo, s1
	v_add_nc_u32_e32 v25, s16, v25
	v_add_nc_u32_e32 v8, 1, v8
	;; [unrolled: 1-line block ×4, first 2 shown]
	s_add_i32 s3, s3, -1
	s_delay_alu instid0(SALU_CYCLE_1)
	s_cmp_eq_u32 s3, 0
	s_cbranch_scc1 .LBB87_18
.LBB87_14:                              ; =>This Inner Loop Header: Depth=1
	v_cmp_gt_f32_e64 s0, v5, v4
	s_delay_alu instid0(VALU_DEP_1) | instskip(SKIP_1) | instid1(VALU_DEP_2)
	v_cndmask_b32_e64 v11, v4, v5, s0
	v_cndmask_b32_e64 v9, v17, v18, s0
	v_cmp_gt_f32_e64 s0, v6, v11
	s_delay_alu instid0(VALU_DEP_1) | instskip(NEXT) | instid1(VALU_DEP_3)
	v_cndmask_b32_e64 v11, v11, v6, s0
	v_cndmask_b32_e64 v9, v9, v19, s0
	s_delay_alu instid0(VALU_DEP_2) | instskip(NEXT) | instid1(VALU_DEP_1)
	v_cmp_gt_f32_e64 s0, v7, v11
	v_cndmask_b32_e64 v11, v11, v7, s0
	s_delay_alu instid0(VALU_DEP_3) | instskip(NEXT) | instid1(VALU_DEP_2)
	v_cndmask_b32_e64 v9, v9, v20, s0
	v_cmp_gt_f32_e64 s0, v0, v11
	s_delay_alu instid0(VALU_DEP_1) | instskip(NEXT) | instid1(VALU_DEP_3)
	v_cndmask_b32_e64 v11, v11, v0, s0
	v_cndmask_b32_e64 v9, v9, v21, s0
	s_delay_alu instid0(VALU_DEP_2) | instskip(NEXT) | instid1(VALU_DEP_1)
	v_cmp_gt_f32_e64 s0, v1, v11
	v_cndmask_b32_e64 v11, v11, v1, s0
	s_delay_alu instid0(VALU_DEP_3) | instskip(NEXT) | instid1(VALU_DEP_2)
	v_cndmask_b32_e64 v9, v9, v22, s0
	v_cmp_gt_f32_e64 s0, v2, v11
	s_delay_alu instid0(VALU_DEP_1) | instskip(NEXT) | instid1(VALU_DEP_3)
	v_cndmask_b32_e64 v11, v11, v2, s0
	v_cndmask_b32_e64 v9, v9, v23, s0
	s_delay_alu instid0(VALU_DEP_2) | instskip(NEXT) | instid1(VALU_DEP_1)
	v_cmp_gt_f32_e64 s0, v3, v11
	v_cndmask_b32_e64 v9, v9, v24, s0
	v_cndmask_b32_e64 v11, v11, v3, s0
	s_delay_alu instid0(VALU_DEP_2) | instskip(NEXT) | instid1(VALU_DEP_2)
	v_mov_b32_dpp v13, v9 quad_perm:[1,0,3,2] row_mask:0xf bank_mask:0xf
	v_mov_b32_dpp v27, v11 quad_perm:[1,0,3,2] row_mask:0xf bank_mask:0xf
	s_delay_alu instid0(VALU_DEP_2) | instskip(NEXT) | instid1(VALU_DEP_2)
	v_cmp_lt_i32_e64 s0, v13, v9
	v_cmp_eq_f32_e64 s1, v11, v27
	v_cmp_lt_f32_e64 s2, v11, v27
	s_delay_alu instid0(VALU_DEP_2)
	s_and_b32 s0, s1, s0
	s_delay_alu instid0(VALU_DEP_1) | instid1(SALU_CYCLE_1)
	s_or_b32 s0, s2, s0
	s_delay_alu instid0(SALU_CYCLE_1) | instskip(SKIP_1) | instid1(VALU_DEP_2)
	v_cndmask_b32_e64 v11, v11, v27, s0
	v_cndmask_b32_e64 v9, v9, v13, s0
	v_mov_b32_dpp v13, v11 quad_perm:[2,3,0,1] row_mask:0xf bank_mask:0xf
	s_delay_alu instid0(VALU_DEP_2) | instskip(NEXT) | instid1(VALU_DEP_2)
	v_mov_b32_dpp v27, v9 quad_perm:[2,3,0,1] row_mask:0xf bank_mask:0xf
	v_cmp_eq_f32_e64 s0, v11, v13
	s_delay_alu instid0(VALU_DEP_2) | instskip(SKIP_1) | instid1(VALU_DEP_2)
	v_cmp_lt_i32_e64 s1, v27, v9
	v_cmp_lt_f32_e64 s2, v11, v13
	s_and_b32 s0, s0, s1
	s_delay_alu instid0(VALU_DEP_1) | instid1(SALU_CYCLE_1)
	s_or_b32 s0, s2, s0
	s_delay_alu instid0(SALU_CYCLE_1) | instskip(SKIP_1) | instid1(VALU_DEP_2)
	v_cndmask_b32_e64 v11, v11, v13, s0
	v_cndmask_b32_e64 v9, v9, v27, s0
	v_mov_b32_dpp v13, v11 row_xmask:7 row_mask:0xf bank_mask:0xf
	s_delay_alu instid0(VALU_DEP_2) | instskip(NEXT) | instid1(VALU_DEP_2)
	v_mov_b32_dpp v27, v9 row_xmask:7 row_mask:0xf bank_mask:0xf
	v_cmp_eq_f32_e64 s0, v11, v13
	s_delay_alu instid0(VALU_DEP_2) | instskip(SKIP_1) | instid1(VALU_DEP_2)
	v_cmp_lt_i32_e64 s1, v27, v9
	v_cmp_lt_f32_e64 s2, v11, v13
	s_and_b32 s0, s0, s1
	s_delay_alu instid0(VALU_DEP_1) | instid1(SALU_CYCLE_1)
	s_or_b32 s0, s2, s0
	s_delay_alu instid0(SALU_CYCLE_1) | instskip(SKIP_1) | instid1(VALU_DEP_2)
	v_cndmask_b32_e64 v11, v11, v13, s0
	v_cndmask_b32_e64 v13, v9, v27, s0
	v_mov_b32_dpp v9, v11 row_xmask:15 row_mask:0xf bank_mask:0xf
	s_delay_alu instid0(VALU_DEP_2) | instskip(NEXT) | instid1(VALU_DEP_2)
	v_mov_b32_dpp v27, v13 row_xmask:15 row_mask:0xf bank_mask:0xf
	v_cmp_eq_f32_e64 s0, v11, v9
	s_delay_alu instid0(VALU_DEP_2) | instskip(SKIP_1) | instid1(VALU_DEP_2)
	v_cmp_lt_i32_e64 s1, v27, v13
	v_cmp_lt_f32_e64 s2, v11, v9
	s_and_b32 s0, s0, s1
	s_delay_alu instid0(VALU_DEP_1) | instid1(SALU_CYCLE_1)
	s_or_b32 s0, s2, s0
	s_delay_alu instid0(SALU_CYCLE_1) | instskip(SKIP_1) | instid1(VALU_DEP_2)
	v_cndmask_b32_e64 v9, v11, v9, s0
	v_cndmask_b32_e64 v13, v13, v27, s0
	v_permlanex16_b32 v11, v9, s14, 0xfedcba98 op_sel:[1,1]
	s_delay_alu instid0(VALU_DEP_2) | instskip(NEXT) | instid1(VALU_DEP_2)
	v_permlanex16_b32 v27, v13, s14, 0xfedcba98 op_sel:[1,1]
	v_cmp_eq_f32_e64 s0, v9, v11
	s_delay_alu instid0(VALU_DEP_2) | instskip(SKIP_1) | instid1(VALU_DEP_2)
	v_cmp_lt_i32_e64 s1, v27, v13
	v_cmp_lt_f32_e64 s2, v9, v11
	s_and_b32 s0, s0, s1
	s_delay_alu instid0(VALU_DEP_1) | instid1(SALU_CYCLE_1)
	s_or_b32 s0, s2, s0
	s_delay_alu instid0(SALU_CYCLE_1)
	v_cndmask_b32_e64 v27, v13, v27, s0
	s_and_saveexec_b32 s2, vcc_lo
	s_cbranch_execz .LBB87_16
; %bb.15:                               ;   in Loop: Header=BB87_14 Depth=1
	v_cndmask_b32_e64 v9, v9, v11, s0
	s_delay_alu instid0(VALU_DEP_2) | instskip(SKIP_4) | instid1(VALU_DEP_4)
	v_cmp_le_i32_e64 s0, s9, v27
	v_cmp_gt_i32_e64 s1, s10, v27
	v_ashrrev_i32_e32 v13, 31, v12
	v_subrev_nc_u32_e32 v35, s9, v27
	v_sub_f32_e32 v34, v9, v26
	s_and_b32 s0, s0, s1
	s_delay_alu instid0(SALU_CYCLE_1) | instskip(NEXT) | instid1(VALU_DEP_1)
	s_and_b32 s0, s17, s0
	v_mul_f32_e32 v9, 0x3fb8aa3b, v34
	s_delay_alu instid0(VALU_DEP_1) | instskip(SKIP_1) | instid1(VALU_DEP_2)
	v_fma_f32 v11, 0x3fb8aa3b, v34, -v9
	v_rndne_f32_e32 v28, v9
	v_fmac_f32_e32 v11, 0x32a5705f, v34
	s_delay_alu instid0(VALU_DEP_2) | instskip(SKIP_2) | instid1(VALU_DEP_3)
	v_sub_f32_e32 v9, v9, v28
	v_cvt_i32_f32_e32 v33, v28
	v_lshlrev_b64 v[28:29], 2, v[12:13]
	v_add_f32_e32 v9, v9, v11
	v_ashrrev_i32_e32 v11, 31, v10
	s_delay_alu instid0(VALU_DEP_2) | instskip(SKIP_1) | instid1(VALU_DEP_2)
	v_exp_f32_e32 v32, v9
	v_ashrrev_i32_e32 v9, 31, v8
	v_lshlrev_b64 v[30:31], 2, v[10:11]
	s_waitcnt_depctr 0xfff
	v_ldexp_f32 v11, v32, v33
	v_lshlrev_b64 v[32:33], 2, v[8:9]
	v_cndmask_b32_e64 v9, 0x100, v35, s0
	v_cmp_ngt_f32_e64 s0, 0xc2ce8ed0, v34
	s_delay_alu instid0(VALU_DEP_1) | instskip(SKIP_1) | instid1(VALU_DEP_1)
	v_cndmask_b32_e64 v11, 0, v11, s0
	v_add_co_u32 v28, s0, s12, v28
	v_add_co_ci_u32_e64 v29, s0, s13, v29, s0
	v_cmp_nlt_f32_e64 s0, 0x42b17218, v34
	s_delay_alu instid0(VALU_DEP_1) | instskip(SKIP_2) | instid1(VALU_DEP_1)
	v_cndmask_b32_e64 v11, 0x7f800000, v11, s0
	s_waitcnt lgkmcnt(0)
	v_add_co_u32 v30, s0, s4, v30
	v_add_co_ci_u32_e64 v31, s0, s5, v31, s0
	s_delay_alu instid0(VALU_DEP_3) | instskip(SKIP_1) | instid1(VALU_DEP_1)
	v_add_f32_e32 v14, v14, v11
	v_add_co_u32 v32, s0, s6, v32
	v_add_co_ci_u32_e64 v33, s0, s7, v33, s0
	global_store_b32 v[28:29], v11, off
	global_store_b32 v[30:31], v9, off
	;; [unrolled: 1-line block ×3, first 2 shown]
.LBB87_16:                              ;   in Loop: Header=BB87_14 Depth=1
	s_or_b32 exec_lo, exec_lo, s2
	s_delay_alu instid0(VALU_DEP_1) | instskip(SKIP_1) | instid1(VALU_DEP_1)
	v_ashrrev_i32_e32 v9, 31, v27
	s_mov_b32 s1, exec_lo
	v_lshrrev_b32_e32 v11, 29, v9
	s_delay_alu instid0(VALU_DEP_1) | instskip(NEXT) | instid1(VALU_DEP_1)
	v_add_nc_u32_e32 v11, v27, v11
	v_ashrrev_i32_e32 v13, 31, v11
	v_ashrrev_i32_e32 v11, 3, v11
	s_delay_alu instid0(VALU_DEP_2) | instskip(NEXT) | instid1(VALU_DEP_1)
	v_lshrrev_b32_e32 v13, 27, v13
	v_add_nc_u32_e32 v13, v11, v13
	s_delay_alu instid0(VALU_DEP_1) | instskip(NEXT) | instid1(VALU_DEP_1)
	v_and_b32_e32 v13, 0xffffffe0, v13
	v_sub_nc_u32_e32 v13, v11, v13
	s_delay_alu instid0(VALU_DEP_1)
	v_cmpx_eq_u32_e64 v16, v13
	s_cbranch_execz .LBB87_13
; %bb.17:                               ;   in Loop: Header=BB87_14 Depth=1
	v_lshrrev_b32_e32 v9, 24, v9
	v_lshlrev_b32_e32 v11, 3, v11
	s_delay_alu instid0(VALU_DEP_2) | instskip(NEXT) | instid1(VALU_DEP_2)
	v_add_nc_u32_e32 v9, v27, v9
	v_sub_nc_u32_e32 v11, v27, v11
	s_delay_alu instid0(VALU_DEP_2) | instskip(NEXT) | instid1(VALU_DEP_1)
	v_ashrrev_i32_e32 v9, 8, v9
	v_lshl_add_u32 v9, v9, 3, v11
	s_delay_alu instid0(VALU_DEP_1) | instskip(NEXT) | instid1(VALU_DEP_1)
	v_cmp_ne_u32_e64 s0, 7, v9
	v_cndmask_b32_e64 v3, 0xff800000, v3, s0
	v_cmp_ne_u32_e64 s0, 6, v9
	s_delay_alu instid0(VALU_DEP_1) | instskip(SKIP_1) | instid1(VALU_DEP_1)
	v_cndmask_b32_e64 v2, 0xff800000, v2, s0
	v_cmp_ne_u32_e64 s0, 5, v9
	v_cndmask_b32_e64 v1, 0xff800000, v1, s0
	v_cmp_ne_u32_e64 s0, 4, v9
	s_delay_alu instid0(VALU_DEP_1) | instskip(SKIP_1) | instid1(VALU_DEP_1)
	v_cndmask_b32_e64 v0, 0xff800000, v0, s0
	;; [unrolled: 5-line block ×3, first 2 shown]
	v_cmp_ne_u32_e64 s0, 1, v9
	v_cndmask_b32_e64 v5, 0xff800000, v5, s0
	v_cmp_ne_u32_e64 s0, 0, v9
	s_delay_alu instid0(VALU_DEP_1)
	v_cndmask_b32_e64 v4, 0xff800000, v4, s0
	s_branch .LBB87_13
.LBB87_18:
	v_cmp_eq_u32_e32 vcc_lo, 0, v16
	v_cmp_neq_f32_e64 s0, 0, v14
	s_delay_alu instid0(VALU_DEP_1) | instskip(NEXT) | instid1(SALU_CYCLE_1)
	s_and_b32 s0, vcc_lo, s0
	s_and_b32 exec_lo, exec_lo, s0
	s_cbranch_execz .LBB87_22
; %bb.19:
	s_and_not1_b32 vcc_lo, exec_lo, s15
	s_cbranch_vccnz .LBB87_22
; %bb.20:
	v_div_scale_f32 v1, null, v14, v14, 1.0
	v_div_scale_f32 v3, vcc_lo, 1.0, v14, 1.0
	s_delay_alu instid0(VALU_DEP_2) | instskip(SKIP_2) | instid1(VALU_DEP_1)
	v_rcp_f32_e32 v2, v1
	s_waitcnt_depctr 0xfff
	v_fma_f32 v0, -v1, v2, 1.0
	v_fmac_f32_e32 v2, v0, v2
	v_mul_lo_u32 v0, v15, s11
	s_delay_alu instid0(VALU_DEP_2) | instskip(NEXT) | instid1(VALU_DEP_1)
	v_mul_f32_e32 v4, v3, v2
	v_fma_f32 v5, -v1, v4, v3
	s_delay_alu instid0(VALU_DEP_1) | instskip(NEXT) | instid1(VALU_DEP_1)
	v_fmac_f32_e32 v4, v5, v2
	v_fma_f32 v3, -v1, v4, v3
	v_ashrrev_i32_e32 v1, 31, v0
	s_delay_alu instid0(VALU_DEP_2) | instskip(NEXT) | instid1(VALU_DEP_2)
	v_div_fmas_f32 v2, v3, v2, v4
	v_lshlrev_b64 v[0:1], 2, v[0:1]
	s_delay_alu instid0(VALU_DEP_2) | instskip(NEXT) | instid1(VALU_DEP_2)
	v_div_fixup_f32 v2, v2, v14, 1.0
	v_add_co_u32 v0, vcc_lo, s12, v0
	s_delay_alu instid0(VALU_DEP_3)
	v_add_co_ci_u32_e32 v1, vcc_lo, s13, v1, vcc_lo
.LBB87_21:                              ; =>This Inner Loop Header: Depth=1
	global_load_b32 v3, v[0:1], off
	s_add_i32 s8, s8, -1
	s_delay_alu instid0(SALU_CYCLE_1)
	s_cmp_lg_u32 s8, 0
	s_waitcnt vmcnt(0)
	v_mul_f32_e32 v3, v2, v3
	global_store_b32 v[0:1], v3, off
	v_add_co_u32 v0, vcc_lo, v0, 4
	v_add_co_ci_u32_e32 v1, vcc_lo, 0, v1, vcc_lo
	s_cbranch_scc1 .LBB87_21
.LBB87_22:
	s_nop 0
	s_sendmsg sendmsg(MSG_DEALLOC_VGPRS)
	s_endpgm
	.section	.rodata,"a",@progbits
	.p2align	6, 0x0
	.amdhsa_kernel _ZN4vllm3moe17topkGatingSoftmaxIfLi8ELi256ELi8ELi32ELb1ELi4ELNS0_23SharedExpertScoringFuncE1EEEvPKT_PKbPfiPiS9_iiiiii
		.amdhsa_group_segment_fixed_size 0
		.amdhsa_private_segment_fixed_size 0
		.amdhsa_kernarg_size 72
		.amdhsa_user_sgpr_count 15
		.amdhsa_user_sgpr_dispatch_ptr 0
		.amdhsa_user_sgpr_queue_ptr 0
		.amdhsa_user_sgpr_kernarg_segment_ptr 1
		.amdhsa_user_sgpr_dispatch_id 0
		.amdhsa_user_sgpr_private_segment_size 0
		.amdhsa_wavefront_size32 1
		.amdhsa_uses_dynamic_stack 0
		.amdhsa_enable_private_segment 0
		.amdhsa_system_sgpr_workgroup_id_x 1
		.amdhsa_system_sgpr_workgroup_id_y 0
		.amdhsa_system_sgpr_workgroup_id_z 0
		.amdhsa_system_sgpr_workgroup_info 0
		.amdhsa_system_vgpr_workitem_id 1
		.amdhsa_next_free_vgpr 37
		.amdhsa_next_free_sgpr 19
		.amdhsa_reserve_vcc 1
		.amdhsa_float_round_mode_32 0
		.amdhsa_float_round_mode_16_64 0
		.amdhsa_float_denorm_mode_32 3
		.amdhsa_float_denorm_mode_16_64 3
		.amdhsa_dx10_clamp 1
		.amdhsa_ieee_mode 1
		.amdhsa_fp16_overflow 0
		.amdhsa_workgroup_processor_mode 1
		.amdhsa_memory_ordered 1
		.amdhsa_forward_progress 0
		.amdhsa_shared_vgpr_count 0
		.amdhsa_exception_fp_ieee_invalid_op 0
		.amdhsa_exception_fp_denorm_src 0
		.amdhsa_exception_fp_ieee_div_zero 0
		.amdhsa_exception_fp_ieee_overflow 0
		.amdhsa_exception_fp_ieee_underflow 0
		.amdhsa_exception_fp_ieee_inexact 0
		.amdhsa_exception_int_div_zero 0
	.end_amdhsa_kernel
	.section	.text._ZN4vllm3moe17topkGatingSoftmaxIfLi8ELi256ELi8ELi32ELb1ELi4ELNS0_23SharedExpertScoringFuncE1EEEvPKT_PKbPfiPiS9_iiiiii,"axG",@progbits,_ZN4vllm3moe17topkGatingSoftmaxIfLi8ELi256ELi8ELi32ELb1ELi4ELNS0_23SharedExpertScoringFuncE1EEEvPKT_PKbPfiPiS9_iiiiii,comdat
.Lfunc_end87:
	.size	_ZN4vllm3moe17topkGatingSoftmaxIfLi8ELi256ELi8ELi32ELb1ELi4ELNS0_23SharedExpertScoringFuncE1EEEvPKT_PKbPfiPiS9_iiiiii, .Lfunc_end87-_ZN4vllm3moe17topkGatingSoftmaxIfLi8ELi256ELi8ELi32ELb1ELi4ELNS0_23SharedExpertScoringFuncE1EEEvPKT_PKbPfiPiS9_iiiiii
                                        ; -- End function
	.section	.AMDGPU.csdata,"",@progbits
; Kernel info:
; codeLenInByte = 3292
; NumSgprs: 21
; NumVgprs: 37
; ScratchSize: 0
; MemoryBound: 0
; FloatMode: 240
; IeeeMode: 1
; LDSByteSize: 0 bytes/workgroup (compile time only)
; SGPRBlocks: 2
; VGPRBlocks: 4
; NumSGPRsForWavesPerEU: 21
; NumVGPRsForWavesPerEU: 37
; Occupancy: 16
; WaveLimiterHint : 0
; COMPUTE_PGM_RSRC2:SCRATCH_EN: 0
; COMPUTE_PGM_RSRC2:USER_SGPR: 15
; COMPUTE_PGM_RSRC2:TRAP_HANDLER: 0
; COMPUTE_PGM_RSRC2:TGID_X_EN: 1
; COMPUTE_PGM_RSRC2:TGID_Y_EN: 0
; COMPUTE_PGM_RSRC2:TGID_Z_EN: 0
; COMPUTE_PGM_RSRC2:TIDIG_COMP_CNT: 1
	.section	.text._ZN4vllm3moe17topkGatingSoftmaxIfLi8ELi256ELi8ELi32ELb0ELi4ELNS0_23SharedExpertScoringFuncE1EEEvPKT_PKbPfiPiS9_iiiiii,"axG",@progbits,_ZN4vllm3moe17topkGatingSoftmaxIfLi8ELi256ELi8ELi32ELb0ELi4ELNS0_23SharedExpertScoringFuncE1EEEvPKT_PKbPfiPiS9_iiiiii,comdat
	.protected	_ZN4vllm3moe17topkGatingSoftmaxIfLi8ELi256ELi8ELi32ELb0ELi4ELNS0_23SharedExpertScoringFuncE1EEEvPKT_PKbPfiPiS9_iiiiii ; -- Begin function _ZN4vllm3moe17topkGatingSoftmaxIfLi8ELi256ELi8ELi32ELb0ELi4ELNS0_23SharedExpertScoringFuncE1EEEvPKT_PKbPfiPiS9_iiiiii
	.globl	_ZN4vllm3moe17topkGatingSoftmaxIfLi8ELi256ELi8ELi32ELb0ELi4ELNS0_23SharedExpertScoringFuncE1EEEvPKT_PKbPfiPiS9_iiiiii
	.p2align	8
	.type	_ZN4vllm3moe17topkGatingSoftmaxIfLi8ELi256ELi8ELi32ELb0ELi4ELNS0_23SharedExpertScoringFuncE1EEEvPKT_PKbPfiPiS9_iiiiii,@function
_ZN4vllm3moe17topkGatingSoftmaxIfLi8ELi256ELi8ELi32ELb0ELi4ELNS0_23SharedExpertScoringFuncE1EEEvPKT_PKbPfiPiS9_iiiiii: ; @_ZN4vllm3moe17topkGatingSoftmaxIfLi8ELi256ELi8ELi32ELb0ELi4ELNS0_23SharedExpertScoringFuncE1EEEvPKT_PKbPfiPiS9_iiiiii
; %bb.0:
	s_load_b32 s16, s[0:1], 0x18
	v_and_b32_e32 v1, 0x3ff, v0
	v_bfe_u32 v8, v0, 10, 10
	s_lshl_b32 s18, s15, 3
	s_mov_b32 s2, exec_lo
	s_delay_alu instid0(VALU_DEP_2) | instskip(NEXT) | instid1(VALU_DEP_1)
	v_lshrrev_b32_e32 v26, 5, v1
	v_add3_u32 v15, s18, v8, v26
	s_waitcnt lgkmcnt(0)
	s_delay_alu instid0(VALU_DEP_1)
	v_cmpx_gt_i32_e64 s16, v15
	s_cbranch_execz .LBB88_23
; %bb.1:
	s_clause 0x1
	s_load_b128 s[4:7], s[0:1], 0x0
	s_load_b64 s[12:13], s[0:1], 0x10
	s_waitcnt lgkmcnt(0)
	s_cmp_eq_u64 s[6:7], 0
	s_cbranch_scc1 .LBB88_3
; %bb.2:
	v_ashrrev_i32_e32 v0, 31, v15
	v_add_co_u32 v2, vcc_lo, s6, v15
	s_delay_alu instid0(VALU_DEP_2) | instskip(SKIP_3) | instid1(VALU_DEP_1)
	v_add_co_ci_u32_e32 v3, vcc_lo, s7, v0, vcc_lo
	global_load_u8 v0, v[2:3], off
	s_waitcnt vmcnt(0)
	v_and_b32_e32 v0, 1, v0
	v_cmp_eq_u32_e32 vcc_lo, 1, v0
	s_xor_b32 s2, vcc_lo, -1
	s_delay_alu instid0(SALU_CYCLE_1)
	s_or_not1_b32 s17, s2, exec_lo
	s_branch .LBB88_4
.LBB88_3:
	s_mov_b32 s17, -1
.LBB88_4:
	s_load_b64 s[14:15], s[0:1], 0x40
	v_and_b32_e32 v16, 31, v1
	v_mov_b32_e32 v14, 0
	s_mov_b32 s2, exec_lo
	s_delay_alu instid0(VALU_DEP_2) | instskip(SKIP_2) | instid1(VALU_DEP_1)
	v_lshlrev_b32_e32 v18, 3, v16
	s_waitcnt lgkmcnt(0)
	v_mul_lo_u32 v2, v15, s15
	v_ashrrev_i32_e32 v3, 31, v2
	s_delay_alu instid0(VALU_DEP_1) | instskip(SKIP_1) | instid1(VALU_DEP_2)
	v_lshlrev_b64 v[0:1], 2, v[2:3]
	v_lshlrev_b32_e32 v2, 5, v16
	v_add_co_u32 v9, vcc_lo, s4, v0
	s_delay_alu instid0(VALU_DEP_3) | instskip(SKIP_1) | instid1(VALU_DEP_2)
	v_add_co_ci_u32_e32 v10, vcc_lo, s5, v1, vcc_lo
	s_load_b128 s[4:7], s[0:1], 0x30
	v_add_co_u32 v4, vcc_lo, v9, v2
	s_delay_alu instid0(VALU_DEP_2)
	v_add_co_ci_u32_e32 v5, vcc_lo, 0, v10, vcc_lo
	s_clause 0x1
	global_load_b128 v[0:3], v[4:5], off offset:16
	global_load_b128 v[4:7], v[4:5], off
	v_cmpx_gt_u32_e32 4, v16
	s_cbranch_execz .LBB88_6
; %bb.5:
	v_lshlrev_b32_e32 v11, 2, v16
	s_delay_alu instid0(VALU_DEP_1)
	v_add_co_u32 v9, vcc_lo, v9, v11
	v_add_co_ci_u32_e32 v10, vcc_lo, 0, v10, vcc_lo
	global_load_b32 v9, v[9:10], off offset:1024
	s_waitcnt vmcnt(0)
	v_mul_f32_e32 v10, 0xbfb8aa3b, v9
	v_cmp_nlt_f32_e32 vcc_lo, 0x42ce8ed0, v9
	s_delay_alu instid0(VALU_DEP_2) | instskip(SKIP_1) | instid1(VALU_DEP_1)
	v_fma_f32 v11, 0xbfb8aa3b, v9, -v10
	v_rndne_f32_e32 v12, v10
	v_dual_fmamk_f32 v11, v9, 0xb2a5705f, v11 :: v_dual_sub_f32 v10, v10, v12
	s_delay_alu instid0(VALU_DEP_1) | instskip(SKIP_1) | instid1(VALU_DEP_2)
	v_add_f32_e32 v10, v10, v11
	v_cvt_i32_f32_e32 v11, v12
	v_exp_f32_e32 v10, v10
	s_waitcnt_depctr 0xfff
	v_ldexp_f32 v10, v10, v11
	s_delay_alu instid0(VALU_DEP_1) | instskip(SKIP_1) | instid1(VALU_DEP_2)
	v_cndmask_b32_e32 v10, 0, v10, vcc_lo
	v_cmp_ngt_f32_e32 vcc_lo, 0xc2b17218, v9
	v_cndmask_b32_e32 v9, 0x7f800000, v10, vcc_lo
	s_delay_alu instid0(VALU_DEP_1) | instskip(NEXT) | instid1(VALU_DEP_1)
	v_add_f32_e32 v11, 1.0, v9
	v_div_scale_f32 v10, null, v11, v11, 1.0
	v_div_scale_f32 v13, vcc_lo, 1.0, v11, 1.0
	s_delay_alu instid0(VALU_DEP_2) | instskip(SKIP_2) | instid1(VALU_DEP_1)
	v_rcp_f32_e32 v12, v10
	s_waitcnt_depctr 0xfff
	v_fma_f32 v9, -v10, v12, 1.0
	v_fmac_f32_e32 v12, v9, v12
	s_waitcnt lgkmcnt(0)
	v_mul_lo_u32 v9, v15, s7
	s_delay_alu instid0(VALU_DEP_2) | instskip(NEXT) | instid1(VALU_DEP_2)
	v_mul_f32_e32 v17, v13, v12
	v_add3_u32 v9, v9, s4, v16
	s_delay_alu instid0(VALU_DEP_2) | instskip(NEXT) | instid1(VALU_DEP_1)
	v_fma_f32 v19, -v10, v17, v13
	v_fmac_f32_e32 v17, v19, v12
	s_delay_alu instid0(VALU_DEP_1) | instskip(NEXT) | instid1(VALU_DEP_4)
	v_fma_f32 v13, -v10, v17, v13
	v_ashrrev_i32_e32 v10, 31, v9
	s_delay_alu instid0(VALU_DEP_2) | instskip(NEXT) | instid1(VALU_DEP_2)
	v_div_fmas_f32 v12, v13, v12, v17
	v_lshlrev_b64 v[9:10], 2, v[9:10]
	s_delay_alu instid0(VALU_DEP_2) | instskip(NEXT) | instid1(VALU_DEP_2)
	v_div_fixup_f32 v11, v12, v11, 1.0
	v_add_co_u32 v9, vcc_lo, s12, v9
	s_delay_alu instid0(VALU_DEP_3)
	v_add_co_ci_u32_e32 v10, vcc_lo, s13, v10, vcc_lo
	global_store_b32 v[9:10], v11, off
.LBB88_6:
	s_or_b32 exec_lo, exec_lo, s2
	v_or_b32_e32 v19, 1, v18
	s_waitcnt vmcnt(0)
	v_cmp_lt_f32_e32 vcc_lo, v4, v5
	v_or_b32_e32 v20, 2, v18
	v_or_b32_e32 v21, 3, v18
	;; [unrolled: 1-line block ×4, first 2 shown]
	v_dual_cndmask_b32 v9, v18, v19 :: v_dual_cndmask_b32 v10, v4, v5
	v_or_b32_e32 v24, 6, v18
	v_or_b32_e32 v25, 7, v18
	s_delay_alu instid0(VALU_DEP_3) | instskip(NEXT) | instid1(VALU_DEP_4)
	v_cmp_lt_f32_e32 vcc_lo, v10, v6
	v_dual_cndmask_b32 v9, v9, v20 :: v_dual_cndmask_b32 v10, v10, v6
	s_delay_alu instid0(VALU_DEP_1) | instskip(NEXT) | instid1(VALU_DEP_2)
	v_cmp_lt_f32_e32 vcc_lo, v10, v7
	v_dual_cndmask_b32 v9, v9, v21 :: v_dual_cndmask_b32 v10, v10, v7
	s_delay_alu instid0(VALU_DEP_1) | instskip(NEXT) | instid1(VALU_DEP_2)
	;; [unrolled: 3-line block ×6, first 2 shown]
	v_mov_b32_dpp v11, v9 quad_perm:[1,0,3,2] row_mask:0xf bank_mask:0xf
	v_mov_b32_dpp v12, v10 quad_perm:[1,0,3,2] row_mask:0xf bank_mask:0xf
	s_delay_alu instid0(VALU_DEP_2) | instskip(NEXT) | instid1(VALU_DEP_2)
	v_cmp_lt_i32_e32 vcc_lo, v11, v9
	v_cmp_eq_f32_e64 s2, v10, v12
	v_cmp_lt_f32_e64 s3, v10, v12
	s_delay_alu instid0(VALU_DEP_2)
	s_and_b32 s2, s2, vcc_lo
	s_delay_alu instid0(VALU_DEP_1) | instid1(SALU_CYCLE_1)
	s_or_b32 vcc_lo, s3, s2
	v_dual_cndmask_b32 v10, v10, v12 :: v_dual_cndmask_b32 v9, v9, v11
	s_delay_alu instid0(VALU_DEP_1) | instskip(NEXT) | instid1(VALU_DEP_2)
	v_mov_b32_dpp v11, v10 quad_perm:[2,3,0,1] row_mask:0xf bank_mask:0xf
	v_mov_b32_dpp v12, v9 quad_perm:[2,3,0,1] row_mask:0xf bank_mask:0xf
	s_delay_alu instid0(VALU_DEP_2) | instskip(NEXT) | instid1(VALU_DEP_2)
	v_cmp_eq_f32_e32 vcc_lo, v10, v11
	v_cmp_lt_i32_e64 s2, v12, v9
	v_cmp_lt_f32_e64 s3, v10, v11
	s_delay_alu instid0(VALU_DEP_2)
	s_and_b32 s2, vcc_lo, s2
	s_delay_alu instid0(VALU_DEP_1) | instid1(SALU_CYCLE_1)
	s_or_b32 vcc_lo, s3, s2
	v_dual_cndmask_b32 v10, v10, v11 :: v_dual_cndmask_b32 v9, v9, v12
	s_delay_alu instid0(VALU_DEP_1) | instskip(NEXT) | instid1(VALU_DEP_2)
	v_mov_b32_dpp v11, v10 row_xmask:7 row_mask:0xf bank_mask:0xf
	v_mov_b32_dpp v12, v9 row_xmask:7 row_mask:0xf bank_mask:0xf
	s_delay_alu instid0(VALU_DEP_2) | instskip(NEXT) | instid1(VALU_DEP_2)
	v_cmp_eq_f32_e32 vcc_lo, v10, v11
	v_cmp_lt_i32_e64 s2, v12, v9
	v_cmp_lt_f32_e64 s3, v10, v11
	s_delay_alu instid0(VALU_DEP_2)
	s_and_b32 s2, vcc_lo, s2
	s_delay_alu instid0(VALU_DEP_1) | instid1(SALU_CYCLE_1)
	s_or_b32 vcc_lo, s3, s2
	v_dual_cndmask_b32 v10, v10, v11 :: v_dual_cndmask_b32 v9, v9, v12
	s_delay_alu instid0(VALU_DEP_1) | instskip(NEXT) | instid1(VALU_DEP_2)
	v_mov_b32_dpp v11, v10 row_xmask:15 row_mask:0xf bank_mask:0xf
	v_mov_b32_dpp v12, v9 row_xmask:15 row_mask:0xf bank_mask:0xf
	s_delay_alu instid0(VALU_DEP_2) | instskip(NEXT) | instid1(VALU_DEP_2)
	v_cmp_eq_f32_e32 vcc_lo, v10, v11
	v_cmp_lt_i32_e64 s2, v12, v9
	v_cmp_lt_f32_e64 s3, v10, v11
	s_delay_alu instid0(VALU_DEP_2)
	s_and_b32 s2, vcc_lo, s2
	s_delay_alu instid0(VALU_DEP_1) | instid1(SALU_CYCLE_1)
	s_or_b32 vcc_lo, s3, s2
	s_mov_b32 s2, 0x76543210
	v_dual_cndmask_b32 v11, v10, v11 :: v_dual_cndmask_b32 v10, v9, v12
	s_delay_alu instid0(VALU_DEP_1) | instskip(NEXT) | instid1(VALU_DEP_2)
	v_permlanex16_b32 v9, v11, s2, 0xfedcba98 op_sel:[1,1]
	v_permlanex16_b32 v12, v10, s2, 0xfedcba98 op_sel:[1,1]
	s_delay_alu instid0(VALU_DEP_2) | instskip(NEXT) | instid1(VALU_DEP_2)
	v_cmp_eq_f32_e32 vcc_lo, v11, v9
	v_cmp_lt_i32_e64 s2, v12, v10
	v_cmp_lt_f32_e64 s3, v11, v9
	s_delay_alu instid0(VALU_DEP_2) | instskip(SKIP_1) | instid1(VALU_DEP_2)
	s_and_b32 s2, vcc_lo, s2
	v_cmp_eq_u32_e32 vcc_lo, 0, v16
	s_or_b32 s2, s3, s2
	s_waitcnt lgkmcnt(0)
	s_cmp_gt_i32 s4, 0
	v_cndmask_b32_e64 v17, v11, v9, s2
	s_cselect_b32 s3, -1, 0
	s_cmp_lt_i32 s4, 1
	s_cbranch_scc1 .LBB88_18
; %bb.7:
	s_load_b128 s[8:11], s[0:1], 0x20
	v_mul_lo_u32 v9, v15, s7
	v_mul_lo_u32 v11, v15, s14
	;; [unrolled: 1-line block ×3, first 2 shown]
	v_cndmask_b32_e64 v27, v10, v12, s2
	v_mov_b32_e32 v14, 0
	s_and_saveexec_b32 s2, vcc_lo
	s_cbranch_execz .LBB88_9
; %bb.8:
	v_sub_f32_e32 v34, v17, v17
	v_cmp_le_i32_e64 s0, s5, v27
	v_cmp_gt_i32_e64 s1, s6, v27
	v_subrev_nc_u32_e32 v35, s5, v27
	v_ashrrev_i32_e32 v14, 31, v13
	v_mul_f32_e32 v10, 0x3fb8aa3b, v34
	s_delay_alu instid0(VALU_DEP_4) | instskip(NEXT) | instid1(SALU_CYCLE_1)
	s_and_b32 s0, s0, s1
	s_and_b32 s0, s17, s0
	s_delay_alu instid0(VALU_DEP_1) | instskip(SKIP_2) | instid1(VALU_DEP_3)
	v_rndne_f32_e32 v30, v10
	v_fma_f32 v12, 0x3fb8aa3b, v34, -v10
	v_lshlrev_b64 v[32:33], 2, v[13:14]
	v_sub_f32_e32 v10, v10, v30
	s_delay_alu instid0(VALU_DEP_3) | instskip(NEXT) | instid1(VALU_DEP_1)
	v_fmamk_f32 v12, v34, 0x32a5705f, v12
	v_add_f32_e32 v12, v10, v12
	v_ashrrev_i32_e32 v10, 31, v9
	s_delay_alu instid0(VALU_DEP_2) | instskip(NEXT) | instid1(VALU_DEP_1)
	v_exp_f32_e32 v36, v12
	v_lshlrev_b64 v[28:29], 2, v[9:10]
	v_ashrrev_i32_e32 v12, 31, v11
	v_cvt_i32_f32_e32 v10, v30
	s_delay_alu instid0(VALU_DEP_2) | instskip(SKIP_2) | instid1(VALU_DEP_1)
	v_lshlrev_b64 v[30:31], 2, v[11:12]
	v_cndmask_b32_e64 v12, 0x100, v35, s0
	v_add_co_u32 v28, s0, s12, v28
	v_add_co_ci_u32_e64 v29, s0, s13, v29, s0
	s_delay_alu instid0(TRANS32_DEP_1) | instskip(SKIP_1) | instid1(VALU_DEP_1)
	v_ldexp_f32 v10, v36, v10
	v_cmp_ngt_f32_e64 s0, 0xc2ce8ed0, v34
	v_cndmask_b32_e64 v10, 0, v10, s0
	s_waitcnt lgkmcnt(0)
	v_add_co_u32 v30, s0, s8, v30
	s_delay_alu instid0(VALU_DEP_1) | instskip(SKIP_1) | instid1(VALU_DEP_1)
	v_add_co_ci_u32_e64 v31, s0, s9, v31, s0
	v_cmp_nlt_f32_e64 s0, 0x42b17218, v34
	v_cndmask_b32_e64 v14, 0x7f800000, v10, s0
	v_add_co_u32 v32, s0, s10, v32
	s_delay_alu instid0(VALU_DEP_1)
	v_add_co_ci_u32_e64 v33, s0, s11, v33, s0
	global_store_b32 v[30:31], v12, off
	global_store_b32 v[28:29], v14, off
	;; [unrolled: 1-line block ×3, first 2 shown]
.LBB88_9:
	s_or_b32 exec_lo, exec_lo, s2
	v_ashrrev_i32_e32 v10, 31, v27
	s_mov_b32 s1, exec_lo
	s_delay_alu instid0(VALU_DEP_1) | instskip(NEXT) | instid1(VALU_DEP_1)
	v_lshrrev_b32_e32 v12, 29, v10
	v_add_nc_u32_e32 v12, v27, v12
	s_delay_alu instid0(VALU_DEP_1) | instskip(SKIP_1) | instid1(VALU_DEP_2)
	v_ashrrev_i32_e32 v28, 31, v12
	v_ashrrev_i32_e32 v12, 3, v12
	v_lshrrev_b32_e32 v28, 27, v28
	s_delay_alu instid0(VALU_DEP_1) | instskip(NEXT) | instid1(VALU_DEP_1)
	v_add_nc_u32_e32 v28, v12, v28
	v_and_b32_e32 v28, 0xffffffe0, v28
	s_delay_alu instid0(VALU_DEP_1) | instskip(NEXT) | instid1(VALU_DEP_1)
	v_sub_nc_u32_e32 v28, v12, v28
	v_cmpx_eq_u32_e64 v16, v28
	s_cbranch_execz .LBB88_11
; %bb.10:
	v_lshrrev_b32_e32 v10, 24, v10
	v_lshlrev_b32_e32 v12, 3, v12
	s_delay_alu instid0(VALU_DEP_2) | instskip(NEXT) | instid1(VALU_DEP_2)
	v_add_nc_u32_e32 v10, v27, v10
	v_sub_nc_u32_e32 v12, v27, v12
	s_delay_alu instid0(VALU_DEP_2) | instskip(NEXT) | instid1(VALU_DEP_1)
	v_ashrrev_i32_e32 v10, 8, v10
	v_lshl_add_u32 v10, v10, 3, v12
	s_delay_alu instid0(VALU_DEP_1) | instskip(NEXT) | instid1(VALU_DEP_1)
	v_cmp_ne_u32_e64 s0, 7, v10
	v_cndmask_b32_e64 v3, 0xff800000, v3, s0
	v_cmp_ne_u32_e64 s0, 6, v10
	s_delay_alu instid0(VALU_DEP_1) | instskip(SKIP_1) | instid1(VALU_DEP_1)
	v_cndmask_b32_e64 v2, 0xff800000, v2, s0
	v_cmp_ne_u32_e64 s0, 5, v10
	v_cndmask_b32_e64 v1, 0xff800000, v1, s0
	v_cmp_ne_u32_e64 s0, 4, v10
	s_delay_alu instid0(VALU_DEP_1) | instskip(SKIP_1) | instid1(VALU_DEP_1)
	v_cndmask_b32_e64 v0, 0xff800000, v0, s0
	;; [unrolled: 5-line block ×3, first 2 shown]
	v_cmp_ne_u32_e64 s0, 1, v10
	v_cndmask_b32_e64 v5, 0xff800000, v5, s0
	v_cmp_ne_u32_e64 s0, 0, v10
	s_delay_alu instid0(VALU_DEP_1)
	v_cndmask_b32_e64 v4, 0xff800000, v4, s0
.LBB88_11:
	s_or_b32 exec_lo, exec_lo, s1
	s_cmp_eq_u32 s4, 1
	s_cbranch_scc1 .LBB88_18
; %bb.12:
	v_add_nc_u32_e32 v12, s16, v8
	v_add_nc_u32_e32 v8, 1, v13
	;; [unrolled: 1-line block ×3, first 2 shown]
	s_add_i32 s14, s4, -1
	s_mov_b32 s15, 0x76543210
	v_add3_u32 v26, v12, v26, s18
	v_add_nc_u32_e32 v12, 1, v9
	s_branch .LBB88_14
.LBB88_13:                              ;   in Loop: Header=BB88_14 Depth=1
	s_or_b32 exec_lo, exec_lo, s1
	v_add_nc_u32_e32 v26, s16, v26
	v_add_nc_u32_e32 v8, 1, v8
	;; [unrolled: 1-line block ×4, first 2 shown]
	s_add_i32 s14, s14, -1
	s_delay_alu instid0(SALU_CYCLE_1)
	s_cmp_eq_u32 s14, 0
	s_cbranch_scc1 .LBB88_18
.LBB88_14:                              ; =>This Inner Loop Header: Depth=1
	v_cmp_gt_f32_e64 s0, v5, v4
	s_delay_alu instid0(VALU_DEP_1) | instskip(SKIP_1) | instid1(VALU_DEP_2)
	v_cndmask_b32_e64 v11, v4, v5, s0
	v_cndmask_b32_e64 v9, v18, v19, s0
	v_cmp_gt_f32_e64 s0, v6, v11
	s_delay_alu instid0(VALU_DEP_1) | instskip(NEXT) | instid1(VALU_DEP_3)
	v_cndmask_b32_e64 v11, v11, v6, s0
	v_cndmask_b32_e64 v9, v9, v20, s0
	s_delay_alu instid0(VALU_DEP_2) | instskip(NEXT) | instid1(VALU_DEP_1)
	v_cmp_gt_f32_e64 s0, v7, v11
	v_cndmask_b32_e64 v11, v11, v7, s0
	s_delay_alu instid0(VALU_DEP_3) | instskip(NEXT) | instid1(VALU_DEP_2)
	v_cndmask_b32_e64 v9, v9, v21, s0
	v_cmp_gt_f32_e64 s0, v0, v11
	s_delay_alu instid0(VALU_DEP_1) | instskip(NEXT) | instid1(VALU_DEP_3)
	v_cndmask_b32_e64 v11, v11, v0, s0
	v_cndmask_b32_e64 v9, v9, v22, s0
	s_delay_alu instid0(VALU_DEP_2) | instskip(NEXT) | instid1(VALU_DEP_1)
	v_cmp_gt_f32_e64 s0, v1, v11
	v_cndmask_b32_e64 v11, v11, v1, s0
	s_delay_alu instid0(VALU_DEP_3) | instskip(NEXT) | instid1(VALU_DEP_2)
	v_cndmask_b32_e64 v9, v9, v23, s0
	v_cmp_gt_f32_e64 s0, v2, v11
	s_delay_alu instid0(VALU_DEP_1) | instskip(NEXT) | instid1(VALU_DEP_3)
	v_cndmask_b32_e64 v11, v11, v2, s0
	v_cndmask_b32_e64 v9, v9, v24, s0
	s_delay_alu instid0(VALU_DEP_2) | instskip(NEXT) | instid1(VALU_DEP_1)
	v_cmp_gt_f32_e64 s0, v3, v11
	v_cndmask_b32_e64 v9, v9, v25, s0
	v_cndmask_b32_e64 v11, v11, v3, s0
	s_delay_alu instid0(VALU_DEP_2) | instskip(NEXT) | instid1(VALU_DEP_2)
	v_mov_b32_dpp v13, v9 quad_perm:[1,0,3,2] row_mask:0xf bank_mask:0xf
	v_mov_b32_dpp v27, v11 quad_perm:[1,0,3,2] row_mask:0xf bank_mask:0xf
	s_delay_alu instid0(VALU_DEP_2) | instskip(NEXT) | instid1(VALU_DEP_2)
	v_cmp_lt_i32_e64 s0, v13, v9
	v_cmp_eq_f32_e64 s1, v11, v27
	v_cmp_lt_f32_e64 s2, v11, v27
	s_delay_alu instid0(VALU_DEP_2)
	s_and_b32 s0, s1, s0
	s_delay_alu instid0(VALU_DEP_1) | instid1(SALU_CYCLE_1)
	s_or_b32 s0, s2, s0
	s_delay_alu instid0(SALU_CYCLE_1) | instskip(SKIP_1) | instid1(VALU_DEP_2)
	v_cndmask_b32_e64 v11, v11, v27, s0
	v_cndmask_b32_e64 v9, v9, v13, s0
	v_mov_b32_dpp v13, v11 quad_perm:[2,3,0,1] row_mask:0xf bank_mask:0xf
	s_delay_alu instid0(VALU_DEP_2) | instskip(NEXT) | instid1(VALU_DEP_2)
	v_mov_b32_dpp v27, v9 quad_perm:[2,3,0,1] row_mask:0xf bank_mask:0xf
	v_cmp_eq_f32_e64 s0, v11, v13
	s_delay_alu instid0(VALU_DEP_2) | instskip(SKIP_1) | instid1(VALU_DEP_2)
	v_cmp_lt_i32_e64 s1, v27, v9
	v_cmp_lt_f32_e64 s2, v11, v13
	s_and_b32 s0, s0, s1
	s_delay_alu instid0(VALU_DEP_1) | instid1(SALU_CYCLE_1)
	s_or_b32 s0, s2, s0
	s_delay_alu instid0(SALU_CYCLE_1) | instskip(SKIP_1) | instid1(VALU_DEP_2)
	v_cndmask_b32_e64 v11, v11, v13, s0
	v_cndmask_b32_e64 v9, v9, v27, s0
	v_mov_b32_dpp v13, v11 row_xmask:7 row_mask:0xf bank_mask:0xf
	s_delay_alu instid0(VALU_DEP_2) | instskip(NEXT) | instid1(VALU_DEP_2)
	v_mov_b32_dpp v27, v9 row_xmask:7 row_mask:0xf bank_mask:0xf
	v_cmp_eq_f32_e64 s0, v11, v13
	s_delay_alu instid0(VALU_DEP_2) | instskip(SKIP_1) | instid1(VALU_DEP_2)
	v_cmp_lt_i32_e64 s1, v27, v9
	v_cmp_lt_f32_e64 s2, v11, v13
	s_and_b32 s0, s0, s1
	s_delay_alu instid0(VALU_DEP_1) | instid1(SALU_CYCLE_1)
	s_or_b32 s0, s2, s0
	s_delay_alu instid0(SALU_CYCLE_1) | instskip(SKIP_1) | instid1(VALU_DEP_2)
	v_cndmask_b32_e64 v11, v11, v13, s0
	v_cndmask_b32_e64 v13, v9, v27, s0
	v_mov_b32_dpp v9, v11 row_xmask:15 row_mask:0xf bank_mask:0xf
	s_delay_alu instid0(VALU_DEP_2) | instskip(NEXT) | instid1(VALU_DEP_2)
	v_mov_b32_dpp v27, v13 row_xmask:15 row_mask:0xf bank_mask:0xf
	v_cmp_eq_f32_e64 s0, v11, v9
	s_delay_alu instid0(VALU_DEP_2) | instskip(SKIP_1) | instid1(VALU_DEP_2)
	v_cmp_lt_i32_e64 s1, v27, v13
	v_cmp_lt_f32_e64 s2, v11, v9
	s_and_b32 s0, s0, s1
	s_delay_alu instid0(VALU_DEP_1) | instid1(SALU_CYCLE_1)
	s_or_b32 s0, s2, s0
	s_delay_alu instid0(SALU_CYCLE_1) | instskip(SKIP_1) | instid1(VALU_DEP_2)
	v_cndmask_b32_e64 v9, v11, v9, s0
	v_cndmask_b32_e64 v13, v13, v27, s0
	v_permlanex16_b32 v11, v9, s15, 0xfedcba98 op_sel:[1,1]
	s_delay_alu instid0(VALU_DEP_2) | instskip(NEXT) | instid1(VALU_DEP_2)
	v_permlanex16_b32 v27, v13, s15, 0xfedcba98 op_sel:[1,1]
	v_cmp_eq_f32_e64 s0, v9, v11
	s_delay_alu instid0(VALU_DEP_2) | instskip(SKIP_1) | instid1(VALU_DEP_2)
	v_cmp_lt_i32_e64 s1, v27, v13
	v_cmp_lt_f32_e64 s2, v9, v11
	s_and_b32 s0, s0, s1
	s_delay_alu instid0(VALU_DEP_1) | instid1(SALU_CYCLE_1)
	s_or_b32 s0, s2, s0
	s_delay_alu instid0(SALU_CYCLE_1)
	v_cndmask_b32_e64 v27, v13, v27, s0
	s_and_saveexec_b32 s2, vcc_lo
	s_cbranch_execz .LBB88_16
; %bb.15:                               ;   in Loop: Header=BB88_14 Depth=1
	v_cndmask_b32_e64 v9, v9, v11, s0
	s_delay_alu instid0(VALU_DEP_2) | instskip(SKIP_4) | instid1(VALU_DEP_4)
	v_cmp_le_i32_e64 s0, s5, v27
	v_cmp_gt_i32_e64 s1, s6, v27
	v_ashrrev_i32_e32 v13, 31, v12
	v_subrev_nc_u32_e32 v35, s5, v27
	v_sub_f32_e32 v34, v9, v17
	s_and_b32 s0, s0, s1
	s_delay_alu instid0(SALU_CYCLE_1) | instskip(NEXT) | instid1(VALU_DEP_1)
	s_and_b32 s0, s17, s0
	v_mul_f32_e32 v9, 0x3fb8aa3b, v34
	s_delay_alu instid0(VALU_DEP_1) | instskip(SKIP_1) | instid1(VALU_DEP_2)
	v_fma_f32 v11, 0x3fb8aa3b, v34, -v9
	v_rndne_f32_e32 v28, v9
	v_fmac_f32_e32 v11, 0x32a5705f, v34
	s_delay_alu instid0(VALU_DEP_2) | instskip(SKIP_2) | instid1(VALU_DEP_3)
	v_sub_f32_e32 v9, v9, v28
	v_cvt_i32_f32_e32 v33, v28
	v_lshlrev_b64 v[28:29], 2, v[12:13]
	v_add_f32_e32 v9, v9, v11
	v_ashrrev_i32_e32 v11, 31, v10
	s_delay_alu instid0(VALU_DEP_2) | instskip(SKIP_1) | instid1(VALU_DEP_2)
	v_exp_f32_e32 v32, v9
	v_ashrrev_i32_e32 v9, 31, v8
	v_lshlrev_b64 v[30:31], 2, v[10:11]
	s_waitcnt_depctr 0xfff
	v_ldexp_f32 v11, v32, v33
	v_lshlrev_b64 v[32:33], 2, v[8:9]
	v_cndmask_b32_e64 v9, 0x100, v35, s0
	v_cmp_ngt_f32_e64 s0, 0xc2ce8ed0, v34
	s_delay_alu instid0(VALU_DEP_1) | instskip(SKIP_1) | instid1(VALU_DEP_1)
	v_cndmask_b32_e64 v11, 0, v11, s0
	v_add_co_u32 v28, s0, s12, v28
	v_add_co_ci_u32_e64 v29, s0, s13, v29, s0
	v_cmp_nlt_f32_e64 s0, 0x42b17218, v34
	s_delay_alu instid0(VALU_DEP_1) | instskip(SKIP_2) | instid1(VALU_DEP_1)
	v_cndmask_b32_e64 v11, 0x7f800000, v11, s0
	s_waitcnt lgkmcnt(0)
	v_add_co_u32 v30, s0, s8, v30
	v_add_co_ci_u32_e64 v31, s0, s9, v31, s0
	s_delay_alu instid0(VALU_DEP_3) | instskip(SKIP_1) | instid1(VALU_DEP_1)
	v_add_f32_e32 v14, v14, v11
	v_add_co_u32 v32, s0, s10, v32
	v_add_co_ci_u32_e64 v33, s0, s11, v33, s0
	global_store_b32 v[28:29], v11, off
	global_store_b32 v[30:31], v9, off
	;; [unrolled: 1-line block ×3, first 2 shown]
.LBB88_16:                              ;   in Loop: Header=BB88_14 Depth=1
	s_or_b32 exec_lo, exec_lo, s2
	s_delay_alu instid0(VALU_DEP_1) | instskip(SKIP_1) | instid1(VALU_DEP_1)
	v_ashrrev_i32_e32 v9, 31, v27
	s_mov_b32 s1, exec_lo
	v_lshrrev_b32_e32 v11, 29, v9
	s_delay_alu instid0(VALU_DEP_1) | instskip(NEXT) | instid1(VALU_DEP_1)
	v_add_nc_u32_e32 v11, v27, v11
	v_ashrrev_i32_e32 v13, 31, v11
	v_ashrrev_i32_e32 v11, 3, v11
	s_delay_alu instid0(VALU_DEP_2) | instskip(NEXT) | instid1(VALU_DEP_1)
	v_lshrrev_b32_e32 v13, 27, v13
	v_add_nc_u32_e32 v13, v11, v13
	s_delay_alu instid0(VALU_DEP_1) | instskip(NEXT) | instid1(VALU_DEP_1)
	v_and_b32_e32 v13, 0xffffffe0, v13
	v_sub_nc_u32_e32 v13, v11, v13
	s_delay_alu instid0(VALU_DEP_1)
	v_cmpx_eq_u32_e64 v16, v13
	s_cbranch_execz .LBB88_13
; %bb.17:                               ;   in Loop: Header=BB88_14 Depth=1
	v_lshrrev_b32_e32 v9, 24, v9
	v_lshlrev_b32_e32 v11, 3, v11
	s_delay_alu instid0(VALU_DEP_2) | instskip(NEXT) | instid1(VALU_DEP_2)
	v_add_nc_u32_e32 v9, v27, v9
	v_sub_nc_u32_e32 v11, v27, v11
	s_delay_alu instid0(VALU_DEP_2) | instskip(NEXT) | instid1(VALU_DEP_1)
	v_ashrrev_i32_e32 v9, 8, v9
	v_lshl_add_u32 v9, v9, 3, v11
	s_delay_alu instid0(VALU_DEP_1) | instskip(NEXT) | instid1(VALU_DEP_1)
	v_cmp_ne_u32_e64 s0, 7, v9
	v_cndmask_b32_e64 v3, 0xff800000, v3, s0
	v_cmp_ne_u32_e64 s0, 6, v9
	s_delay_alu instid0(VALU_DEP_1) | instskip(SKIP_1) | instid1(VALU_DEP_1)
	v_cndmask_b32_e64 v2, 0xff800000, v2, s0
	v_cmp_ne_u32_e64 s0, 5, v9
	v_cndmask_b32_e64 v1, 0xff800000, v1, s0
	v_cmp_ne_u32_e64 s0, 4, v9
	s_delay_alu instid0(VALU_DEP_1) | instskip(SKIP_1) | instid1(VALU_DEP_1)
	v_cndmask_b32_e64 v0, 0xff800000, v0, s0
	;; [unrolled: 5-line block ×3, first 2 shown]
	v_cmp_ne_u32_e64 s0, 1, v9
	v_cndmask_b32_e64 v5, 0xff800000, v5, s0
	v_cmp_ne_u32_e64 s0, 0, v9
	s_delay_alu instid0(VALU_DEP_1)
	v_cndmask_b32_e64 v4, 0xff800000, v4, s0
	s_branch .LBB88_13
.LBB88_18:
	s_delay_alu instid0(VALU_DEP_1)
	v_sub_f32_e32 v7, v7, v17
	v_sub_f32_e32 v4, v4, v17
	v_sub_f32_e32 v0, v0, v17
	v_sub_f32_e32 v2, v2, v17
	v_sub_f32_e32 v1, v1, v17
	v_mul_f32_e32 v11, 0x3fb8aa3b, v7
	v_dual_sub_f32 v5, v5, v17 :: v_dual_mul_f32 v8, 0x3fb8aa3b, v4
	v_cmp_ngt_f32_e32 vcc_lo, 0xc2ce8ed0, v4
	v_sub_f32_e32 v3, v3, v17
	s_delay_alu instid0(VALU_DEP_4) | instskip(NEXT) | instid1(VALU_DEP_4)
	v_rndne_f32_e32 v23, v11
	v_fma_f32 v12, 0x3fb8aa3b, v4, -v8
	v_rndne_f32_e32 v13, v8
	s_delay_alu instid0(VALU_DEP_2) | instskip(NEXT) | instid1(VALU_DEP_2)
	v_fmac_f32_e32 v12, 0x32a5705f, v4
	v_sub_f32_e32 v8, v8, v13
	s_delay_alu instid0(VALU_DEP_1) | instskip(NEXT) | instid1(VALU_DEP_1)
	v_dual_mul_f32 v9, 0x3fb8aa3b, v5 :: v_dual_add_f32 v8, v8, v12
	v_rndne_f32_e32 v19, v9
	v_sub_f32_e32 v6, v6, v17
	v_fma_f32 v18, 0x3fb8aa3b, v5, -v9
	v_cvt_i32_f32_e32 v12, v13
	v_exp_f32_e32 v8, v8
	s_delay_alu instid0(VALU_DEP_3) | instskip(SKIP_3) | instid1(VALU_DEP_4)
	v_dual_sub_f32 v9, v9, v19 :: v_dual_mul_f32 v10, 0x3fb8aa3b, v6
	v_fma_f32 v22, 0x3fb8aa3b, v7, -v11
	v_sub_f32_e32 v11, v11, v23
	v_cvt_i32_f32_e32 v13, v19
	v_fma_f32 v20, 0x3fb8aa3b, v6, -v10
	s_delay_alu instid0(VALU_DEP_4) | instskip(SKIP_1) | instid1(TRANS32_DEP_1)
	v_fmac_f32_e32 v22, 0x32a5705f, v7
	v_fmac_f32_e32 v18, 0x32a5705f, v5
	v_ldexp_f32 v8, v8, v12
	v_rndne_f32_e32 v21, v10
	s_delay_alu instid0(VALU_DEP_4) | instskip(NEXT) | instid1(VALU_DEP_3)
	v_add_f32_e32 v11, v11, v22
	v_dual_add_f32 v9, v9, v18 :: v_dual_cndmask_b32 v8, 0, v8
	v_cmp_ngt_f32_e32 vcc_lo, 0xc2ce8ed0, v5
	s_delay_alu instid0(VALU_DEP_4) | instskip(SKIP_1) | instid1(VALU_DEP_4)
	v_sub_f32_e32 v10, v10, v21
	v_cvt_i32_f32_e32 v12, v21
	v_exp_f32_e32 v9, v9
	v_exp_f32_e32 v11, v11
	s_waitcnt_depctr 0xfff
	v_ldexp_f32 v9, v9, v13
	v_fmac_f32_e32 v20, 0x32a5705f, v6
	v_mul_f32_e32 v13, 0x3fb8aa3b, v3
	s_delay_alu instid0(VALU_DEP_3) | instskip(SKIP_1) | instid1(VALU_DEP_3)
	v_cndmask_b32_e32 v9, 0, v9, vcc_lo
	v_cmp_nlt_f32_e32 vcc_lo, 0x42b17218, v4
	v_rndne_f32_e32 v17, v13
	v_cndmask_b32_e32 v4, 0x7f800000, v8, vcc_lo
	v_cmp_nlt_f32_e32 vcc_lo, 0x42b17218, v5
	v_dual_add_f32 v10, v10, v20 :: v_dual_cndmask_b32 v5, 0x7f800000, v9
	s_delay_alu instid0(VALU_DEP_1) | instskip(SKIP_2) | instid1(VALU_DEP_3)
	v_exp_f32_e32 v10, v10
	v_cmp_ngt_f32_e32 vcc_lo, 0xc2ce8ed0, v6
	v_cvt_i32_f32_e32 v9, v23
	v_add_f32_e32 v4, v4, v5
	s_waitcnt_depctr 0xfff
	v_ldexp_f32 v10, v10, v12
	s_delay_alu instid0(VALU_DEP_1) | instskip(SKIP_2) | instid1(VALU_DEP_3)
	v_cndmask_b32_e32 v8, 0, v10, vcc_lo
	v_cmp_nlt_f32_e32 vcc_lo, 0x42b17218, v6
	v_mul_f32_e32 v10, 0x3fb8aa3b, v2
	v_cndmask_b32_e32 v5, 0x7f800000, v8, vcc_lo
	v_ldexp_f32 v8, v11, v9
	v_cmp_ngt_f32_e32 vcc_lo, 0xc2ce8ed0, v7
	s_delay_alu instid0(VALU_DEP_4)
	v_fma_f32 v11, 0x3fb8aa3b, v2, -v10
	v_rndne_f32_e32 v12, v10
	v_add_f32_e32 v4, v4, v5
	v_cndmask_b32_e32 v8, 0, v8, vcc_lo
	v_cmp_nlt_f32_e32 vcc_lo, 0x42b17218, v7
	v_fmac_f32_e32 v11, 0x32a5705f, v2
	s_delay_alu instid0(VALU_DEP_3) | instskip(SKIP_3) | instid1(VALU_DEP_4)
	v_cndmask_b32_e32 v7, 0x7f800000, v8, vcc_lo
	v_mul_f32_e32 v6, 0x3fb8aa3b, v0
	v_mul_f32_e32 v8, 0x3fb8aa3b, v1
	v_cmp_ngt_f32_e32 vcc_lo, 0xc2ce8ed0, v0
	v_add_f32_e32 v4, v4, v7
	s_delay_alu instid0(VALU_DEP_4) | instskip(SKIP_2) | instid1(VALU_DEP_2)
	v_fma_f32 v5, 0x3fb8aa3b, v0, -v6
	v_rndne_f32_e32 v9, v6
	v_rndne_f32_e32 v7, v8
	v_dual_fmac_f32 v5, 0x32a5705f, v0 :: v_dual_sub_f32 v6, v6, v9
	v_cvt_i32_f32_e32 v9, v9
	s_delay_alu instid0(VALU_DEP_2) | instskip(SKIP_3) | instid1(VALU_DEP_4)
	v_add_f32_e32 v5, v6, v5
	v_fma_f32 v6, 0x3fb8aa3b, v1, -v8
	v_sub_f32_e32 v8, v8, v7
	v_cvt_i32_f32_e32 v7, v7
	v_exp_f32_e32 v5, v5
	s_delay_alu instid0(VALU_DEP_3) | instskip(NEXT) | instid1(VALU_DEP_1)
	v_fmac_f32_e32 v6, 0x32a5705f, v1
	v_add_f32_e32 v6, v8, v6
	v_sub_f32_e32 v8, v10, v12
	v_fma_f32 v10, 0x3fb8aa3b, v3, -v13
	s_waitcnt_depctr 0xfff
	v_ldexp_f32 v5, v5, v9
	v_exp_f32_e32 v6, v6
	v_add_f32_e32 v8, v8, v11
	v_dual_fmac_f32 v10, 0x32a5705f, v3 :: v_dual_sub_f32 v9, v13, v17
	s_delay_alu instid0(VALU_DEP_3) | instskip(SKIP_1) | instid1(VALU_DEP_4)
	v_cndmask_b32_e32 v5, 0, v5, vcc_lo
	v_cmp_nlt_f32_e32 vcc_lo, 0x42b17218, v0
	v_exp_f32_e32 v8, v8
	s_delay_alu instid0(VALU_DEP_3) | instskip(NEXT) | instid1(TRANS32_DEP_2)
	v_add_f32_e32 v9, v9, v10
	v_ldexp_f32 v6, v6, v7
	v_cndmask_b32_e32 v0, 0x7f800000, v5, vcc_lo
	v_cmp_ngt_f32_e32 vcc_lo, 0xc2ce8ed0, v1
	v_cvt_i32_f32_e32 v5, v12
	v_exp_f32_e32 v7, v9
	s_delay_alu instid0(VALU_DEP_3) | instskip(SKIP_4) | instid1(VALU_DEP_4)
	v_add_f32_e32 v0, v4, v0
	v_cndmask_b32_e32 v6, 0, v6, vcc_lo
	v_cmp_nlt_f32_e32 vcc_lo, 0x42b17218, v1
	v_ldexp_f32 v4, v8, v5
	v_cvt_i32_f32_e32 v5, v17
	v_cndmask_b32_e32 v1, 0x7f800000, v6, vcc_lo
	v_cmp_ngt_f32_e32 vcc_lo, 0xc2ce8ed0, v2
	s_delay_alu instid0(TRANS32_DEP_1) | instid1(VALU_DEP_3)
	v_ldexp_f32 v5, v7, v5
	s_delay_alu instid0(VALU_DEP_3) | instskip(SKIP_2) | instid1(VALU_DEP_2)
	v_add_f32_e32 v0, v0, v1
	v_cndmask_b32_e32 v4, 0, v4, vcc_lo
	v_cmp_nlt_f32_e32 vcc_lo, 0x42b17218, v2
	v_cndmask_b32_e32 v1, 0x7f800000, v4, vcc_lo
	v_cmp_ngt_f32_e32 vcc_lo, 0xc2ce8ed0, v3
	s_delay_alu instid0(VALU_DEP_2) | instskip(SKIP_2) | instid1(VALU_DEP_2)
	v_add_f32_e32 v0, v0, v1
	v_cndmask_b32_e32 v2, 0, v5, vcc_lo
	v_cmp_nlt_f32_e32 vcc_lo, 0x42b17218, v3
	v_cndmask_b32_e32 v1, 0x7f800000, v2, vcc_lo
	v_cmp_eq_u32_e32 vcc_lo, 0, v16
	s_delay_alu instid0(VALU_DEP_2) | instskip(NEXT) | instid1(VALU_DEP_1)
	v_add_f32_e32 v0, v0, v1
	v_mov_b32_dpp v1, v0 quad_perm:[1,0,3,2] row_mask:0xf bank_mask:0xf
	s_delay_alu instid0(VALU_DEP_1) | instskip(NEXT) | instid1(VALU_DEP_1)
	v_add_f32_e32 v0, v0, v1
	v_mov_b32_dpp v1, v0 quad_perm:[2,3,0,1] row_mask:0xf bank_mask:0xf
	s_delay_alu instid0(VALU_DEP_1) | instskip(NEXT) | instid1(VALU_DEP_1)
	v_add_f32_e32 v0, v0, v1
	v_mov_b32_dpp v1, v0 row_xmask:7 row_mask:0xf bank_mask:0xf
	s_delay_alu instid0(VALU_DEP_1) | instskip(NEXT) | instid1(VALU_DEP_1)
	v_add_f32_e32 v0, v0, v1
	v_mov_b32_dpp v1, v0 row_xmask:15 row_mask:0xf bank_mask:0xf
	s_and_b32 exec_lo, exec_lo, vcc_lo
	s_cbranch_execz .LBB88_23
; %bb.19:
	s_delay_alu instid0(VALU_DEP_1)
	v_add_f32_e32 v0, v0, v1
	s_mov_b32 s0, 0x76543210
	s_delay_alu instid0(VALU_DEP_1) | instid1(SALU_CYCLE_1)
	v_permlanex16_b32 v1, v0, s0, 0xfedcba98 op_sel:[1,1]
	s_delay_alu instid0(VALU_DEP_1) | instskip(NEXT) | instid1(VALU_DEP_1)
	v_add_f32_e32 v0, v0, v1
	v_add_f32_e32 v0, v14, v0
	s_delay_alu instid0(VALU_DEP_1)
	v_cmp_neq_f32_e32 vcc_lo, 0, v0
	s_and_b32 exec_lo, exec_lo, vcc_lo
	s_cbranch_execz .LBB88_23
; %bb.20:
	s_and_not1_b32 vcc_lo, exec_lo, s3
	s_cbranch_vccnz .LBB88_23
; %bb.21:
	v_div_scale_f32 v2, null, v0, v0, 1.0
	v_div_scale_f32 v4, vcc_lo, 1.0, v0, 1.0
	s_delay_alu instid0(VALU_DEP_2) | instskip(SKIP_2) | instid1(VALU_DEP_1)
	v_rcp_f32_e32 v3, v2
	s_waitcnt_depctr 0xfff
	v_fma_f32 v1, -v2, v3, 1.0
	v_fmac_f32_e32 v3, v1, v3
	v_mul_lo_u32 v1, v15, s7
	s_delay_alu instid0(VALU_DEP_2) | instskip(NEXT) | instid1(VALU_DEP_1)
	v_mul_f32_e32 v5, v4, v3
	v_fma_f32 v6, -v2, v5, v4
	s_delay_alu instid0(VALU_DEP_1) | instskip(NEXT) | instid1(VALU_DEP_1)
	v_fmac_f32_e32 v5, v6, v3
	v_fma_f32 v4, -v2, v5, v4
	v_ashrrev_i32_e32 v2, 31, v1
	s_delay_alu instid0(VALU_DEP_2) | instskip(NEXT) | instid1(VALU_DEP_2)
	v_div_fmas_f32 v5, v4, v3, v5
	v_lshlrev_b64 v[3:4], 2, v[1:2]
	s_delay_alu instid0(VALU_DEP_2) | instskip(NEXT) | instid1(VALU_DEP_2)
	v_div_fixup_f32 v2, v5, v0, 1.0
	v_add_co_u32 v0, vcc_lo, s12, v3
	s_delay_alu instid0(VALU_DEP_3)
	v_add_co_ci_u32_e32 v1, vcc_lo, s13, v4, vcc_lo
.LBB88_22:                              ; =>This Inner Loop Header: Depth=1
	global_load_b32 v3, v[0:1], off
	s_add_i32 s4, s4, -1
	s_delay_alu instid0(SALU_CYCLE_1)
	s_cmp_lg_u32 s4, 0
	s_waitcnt vmcnt(0)
	v_mul_f32_e32 v3, v2, v3
	global_store_b32 v[0:1], v3, off
	v_add_co_u32 v0, vcc_lo, v0, 4
	v_add_co_ci_u32_e32 v1, vcc_lo, 0, v1, vcc_lo
	s_cbranch_scc1 .LBB88_22
.LBB88_23:
	s_nop 0
	s_sendmsg sendmsg(MSG_DEALLOC_VGPRS)
	s_endpgm
	.section	.rodata,"a",@progbits
	.p2align	6, 0x0
	.amdhsa_kernel _ZN4vllm3moe17topkGatingSoftmaxIfLi8ELi256ELi8ELi32ELb0ELi4ELNS0_23SharedExpertScoringFuncE1EEEvPKT_PKbPfiPiS9_iiiiii
		.amdhsa_group_segment_fixed_size 0
		.amdhsa_private_segment_fixed_size 0
		.amdhsa_kernarg_size 72
		.amdhsa_user_sgpr_count 15
		.amdhsa_user_sgpr_dispatch_ptr 0
		.amdhsa_user_sgpr_queue_ptr 0
		.amdhsa_user_sgpr_kernarg_segment_ptr 1
		.amdhsa_user_sgpr_dispatch_id 0
		.amdhsa_user_sgpr_private_segment_size 0
		.amdhsa_wavefront_size32 1
		.amdhsa_uses_dynamic_stack 0
		.amdhsa_enable_private_segment 0
		.amdhsa_system_sgpr_workgroup_id_x 1
		.amdhsa_system_sgpr_workgroup_id_y 0
		.amdhsa_system_sgpr_workgroup_id_z 0
		.amdhsa_system_sgpr_workgroup_info 0
		.amdhsa_system_vgpr_workitem_id 1
		.amdhsa_next_free_vgpr 37
		.amdhsa_next_free_sgpr 19
		.amdhsa_reserve_vcc 1
		.amdhsa_float_round_mode_32 0
		.amdhsa_float_round_mode_16_64 0
		.amdhsa_float_denorm_mode_32 3
		.amdhsa_float_denorm_mode_16_64 3
		.amdhsa_dx10_clamp 1
		.amdhsa_ieee_mode 1
		.amdhsa_fp16_overflow 0
		.amdhsa_workgroup_processor_mode 1
		.amdhsa_memory_ordered 1
		.amdhsa_forward_progress 0
		.amdhsa_shared_vgpr_count 0
		.amdhsa_exception_fp_ieee_invalid_op 0
		.amdhsa_exception_fp_denorm_src 0
		.amdhsa_exception_fp_ieee_div_zero 0
		.amdhsa_exception_fp_ieee_overflow 0
		.amdhsa_exception_fp_ieee_underflow 0
		.amdhsa_exception_fp_ieee_inexact 0
		.amdhsa_exception_int_div_zero 0
	.end_amdhsa_kernel
	.section	.text._ZN4vllm3moe17topkGatingSoftmaxIfLi8ELi256ELi8ELi32ELb0ELi4ELNS0_23SharedExpertScoringFuncE1EEEvPKT_PKbPfiPiS9_iiiiii,"axG",@progbits,_ZN4vllm3moe17topkGatingSoftmaxIfLi8ELi256ELi8ELi32ELb0ELi4ELNS0_23SharedExpertScoringFuncE1EEEvPKT_PKbPfiPiS9_iiiiii,comdat
.Lfunc_end88:
	.size	_ZN4vllm3moe17topkGatingSoftmaxIfLi8ELi256ELi8ELi32ELb0ELi4ELNS0_23SharedExpertScoringFuncE1EEEvPKT_PKbPfiPiS9_iiiiii, .Lfunc_end88-_ZN4vllm3moe17topkGatingSoftmaxIfLi8ELi256ELi8ELi32ELb0ELi4ELNS0_23SharedExpertScoringFuncE1EEEvPKT_PKbPfiPiS9_iiiiii
                                        ; -- End function
	.section	.AMDGPU.csdata,"",@progbits
; Kernel info:
; codeLenInByte = 4212
; NumSgprs: 21
; NumVgprs: 37
; ScratchSize: 0
; MemoryBound: 0
; FloatMode: 240
; IeeeMode: 1
; LDSByteSize: 0 bytes/workgroup (compile time only)
; SGPRBlocks: 2
; VGPRBlocks: 4
; NumSGPRsForWavesPerEU: 21
; NumVGPRsForWavesPerEU: 37
; Occupancy: 16
; WaveLimiterHint : 0
; COMPUTE_PGM_RSRC2:SCRATCH_EN: 0
; COMPUTE_PGM_RSRC2:USER_SGPR: 15
; COMPUTE_PGM_RSRC2:TRAP_HANDLER: 0
; COMPUTE_PGM_RSRC2:TGID_X_EN: 1
; COMPUTE_PGM_RSRC2:TGID_Y_EN: 0
; COMPUTE_PGM_RSRC2:TGID_Z_EN: 0
; COMPUTE_PGM_RSRC2:TIDIG_COMP_CNT: 1
	.section	.text._ZN4vllm3moe17topkGatingSoftmaxIfLi8ELi256ELi8ELi32ELb1ELi8ELNS0_23SharedExpertScoringFuncE1EEEvPKT_PKbPfiPiS9_iiiiii,"axG",@progbits,_ZN4vllm3moe17topkGatingSoftmaxIfLi8ELi256ELi8ELi32ELb1ELi8ELNS0_23SharedExpertScoringFuncE1EEEvPKT_PKbPfiPiS9_iiiiii,comdat
	.protected	_ZN4vllm3moe17topkGatingSoftmaxIfLi8ELi256ELi8ELi32ELb1ELi8ELNS0_23SharedExpertScoringFuncE1EEEvPKT_PKbPfiPiS9_iiiiii ; -- Begin function _ZN4vllm3moe17topkGatingSoftmaxIfLi8ELi256ELi8ELi32ELb1ELi8ELNS0_23SharedExpertScoringFuncE1EEEvPKT_PKbPfiPiS9_iiiiii
	.globl	_ZN4vllm3moe17topkGatingSoftmaxIfLi8ELi256ELi8ELi32ELb1ELi8ELNS0_23SharedExpertScoringFuncE1EEEvPKT_PKbPfiPiS9_iiiiii
	.p2align	8
	.type	_ZN4vllm3moe17topkGatingSoftmaxIfLi8ELi256ELi8ELi32ELb1ELi8ELNS0_23SharedExpertScoringFuncE1EEEvPKT_PKbPfiPiS9_iiiiii,@function
_ZN4vllm3moe17topkGatingSoftmaxIfLi8ELi256ELi8ELi32ELb1ELi8ELNS0_23SharedExpertScoringFuncE1EEEvPKT_PKbPfiPiS9_iiiiii: ; @_ZN4vllm3moe17topkGatingSoftmaxIfLi8ELi256ELi8ELi32ELb1ELi8ELNS0_23SharedExpertScoringFuncE1EEEvPKT_PKbPfiPiS9_iiiiii
; %bb.0:
	s_load_b32 s16, s[0:1], 0x18
	v_and_b32_e32 v1, 0x3ff, v0
	v_bfe_u32 v8, v0, 10, 10
	s_lshl_b32 s18, s15, 3
	s_mov_b32 s2, exec_lo
	s_delay_alu instid0(VALU_DEP_2) | instskip(NEXT) | instid1(VALU_DEP_1)
	v_lshrrev_b32_e32 v25, 5, v1
	v_add3_u32 v15, s18, v8, v25
	s_waitcnt lgkmcnt(0)
	s_delay_alu instid0(VALU_DEP_1)
	v_cmpx_gt_i32_e64 s16, v15
	s_cbranch_execz .LBB89_22
; %bb.1:
	s_clause 0x1
	s_load_b128 s[4:7], s[0:1], 0x0
	s_load_b64 s[12:13], s[0:1], 0x10
	s_waitcnt lgkmcnt(0)
	s_cmp_eq_u64 s[6:7], 0
	s_cbranch_scc1 .LBB89_3
; %bb.2:
	v_ashrrev_i32_e32 v0, 31, v15
	v_add_co_u32 v2, vcc_lo, s6, v15
	s_delay_alu instid0(VALU_DEP_2) | instskip(SKIP_3) | instid1(VALU_DEP_1)
	v_add_co_ci_u32_e32 v3, vcc_lo, s7, v0, vcc_lo
	global_load_u8 v0, v[2:3], off
	s_waitcnt vmcnt(0)
	v_and_b32_e32 v0, 1, v0
	v_cmp_eq_u32_e32 vcc_lo, 1, v0
	s_xor_b32 s2, vcc_lo, -1
	s_delay_alu instid0(SALU_CYCLE_1)
	s_or_not1_b32 s17, s2, exec_lo
	s_branch .LBB89_4
.LBB89_3:
	s_mov_b32 s17, -1
.LBB89_4:
	s_clause 0x1
	s_load_b64 s[14:15], s[0:1], 0x40
	s_load_b128 s[8:11], s[0:1], 0x30
	v_and_b32_e32 v16, 31, v1
	s_mov_b32 s2, exec_lo
	s_delay_alu instid0(VALU_DEP_1) | instskip(SKIP_2) | instid1(VALU_DEP_1)
	v_dual_mov_b32 v14, 0 :: v_dual_lshlrev_b32 v17, 3, v16
	s_waitcnt lgkmcnt(0)
	v_mul_lo_u32 v2, v15, s15
	v_ashrrev_i32_e32 v3, 31, v2
	s_delay_alu instid0(VALU_DEP_1) | instskip(SKIP_1) | instid1(VALU_DEP_2)
	v_lshlrev_b64 v[0:1], 2, v[2:3]
	v_lshlrev_b32_e32 v2, 5, v16
	v_add_co_u32 v9, vcc_lo, s4, v0
	s_delay_alu instid0(VALU_DEP_3) | instskip(NEXT) | instid1(VALU_DEP_2)
	v_add_co_ci_u32_e32 v10, vcc_lo, s5, v1, vcc_lo
	v_add_co_u32 v4, vcc_lo, v9, v2
	s_delay_alu instid0(VALU_DEP_2)
	v_add_co_ci_u32_e32 v5, vcc_lo, 0, v10, vcc_lo
	s_clause 0x1
	global_load_b128 v[0:3], v[4:5], off offset:16
	global_load_b128 v[4:7], v[4:5], off
	v_cmpx_gt_u32_e32 8, v16
	s_cbranch_execz .LBB89_6
; %bb.5:
	v_lshlrev_b32_e32 v11, 2, v16
	s_delay_alu instid0(VALU_DEP_1)
	v_add_co_u32 v9, vcc_lo, v9, v11
	v_add_co_ci_u32_e32 v10, vcc_lo, 0, v10, vcc_lo
	global_load_b32 v9, v[9:10], off offset:1024
	s_waitcnt vmcnt(0)
	v_mul_f32_e32 v10, 0xbfb8aa3b, v9
	v_cmp_nlt_f32_e32 vcc_lo, 0x42ce8ed0, v9
	s_delay_alu instid0(VALU_DEP_2) | instskip(SKIP_1) | instid1(VALU_DEP_1)
	v_fma_f32 v11, 0xbfb8aa3b, v9, -v10
	v_rndne_f32_e32 v12, v10
	v_dual_fmamk_f32 v11, v9, 0xb2a5705f, v11 :: v_dual_sub_f32 v10, v10, v12
	s_delay_alu instid0(VALU_DEP_1) | instskip(SKIP_1) | instid1(VALU_DEP_2)
	v_add_f32_e32 v10, v10, v11
	v_cvt_i32_f32_e32 v11, v12
	v_exp_f32_e32 v10, v10
	s_waitcnt_depctr 0xfff
	v_ldexp_f32 v10, v10, v11
	s_delay_alu instid0(VALU_DEP_1) | instskip(SKIP_1) | instid1(VALU_DEP_2)
	v_cndmask_b32_e32 v10, 0, v10, vcc_lo
	v_cmp_ngt_f32_e32 vcc_lo, 0xc2b17218, v9
	v_cndmask_b32_e32 v9, 0x7f800000, v10, vcc_lo
	s_delay_alu instid0(VALU_DEP_1) | instskip(NEXT) | instid1(VALU_DEP_1)
	v_add_f32_e32 v11, 1.0, v9
	v_div_scale_f32 v10, null, v11, v11, 1.0
	v_div_scale_f32 v13, vcc_lo, 1.0, v11, 1.0
	s_delay_alu instid0(VALU_DEP_2) | instskip(SKIP_2) | instid1(VALU_DEP_1)
	v_rcp_f32_e32 v12, v10
	s_waitcnt_depctr 0xfff
	v_fma_f32 v9, -v10, v12, 1.0
	v_fmac_f32_e32 v12, v9, v12
	v_mul_lo_u32 v9, v15, s11
	s_delay_alu instid0(VALU_DEP_2) | instskip(NEXT) | instid1(VALU_DEP_2)
	v_mul_f32_e32 v18, v13, v12
	v_add3_u32 v9, v9, s8, v16
	s_delay_alu instid0(VALU_DEP_2) | instskip(NEXT) | instid1(VALU_DEP_1)
	v_fma_f32 v19, -v10, v18, v13
	v_fmac_f32_e32 v18, v19, v12
	s_delay_alu instid0(VALU_DEP_1) | instskip(NEXT) | instid1(VALU_DEP_4)
	v_fma_f32 v13, -v10, v18, v13
	v_ashrrev_i32_e32 v10, 31, v9
	s_delay_alu instid0(VALU_DEP_2) | instskip(NEXT) | instid1(VALU_DEP_2)
	v_div_fmas_f32 v12, v13, v12, v18
	v_lshlrev_b64 v[9:10], 2, v[9:10]
	s_delay_alu instid0(VALU_DEP_2) | instskip(NEXT) | instid1(VALU_DEP_2)
	v_div_fixup_f32 v11, v12, v11, 1.0
	v_add_co_u32 v9, vcc_lo, s12, v9
	s_delay_alu instid0(VALU_DEP_3)
	v_add_co_ci_u32_e32 v10, vcc_lo, s13, v10, vcc_lo
	global_store_b32 v[9:10], v11, off
.LBB89_6:
	s_or_b32 exec_lo, exec_lo, s2
	v_or_b32_e32 v18, 1, v17
	s_waitcnt vmcnt(0)
	v_cmp_lt_f32_e32 vcc_lo, v4, v5
	v_or_b32_e32 v19, 2, v17
	v_or_b32_e32 v20, 3, v17
	;; [unrolled: 1-line block ×4, first 2 shown]
	v_dual_cndmask_b32 v9, v17, v18 :: v_dual_cndmask_b32 v10, v4, v5
	v_or_b32_e32 v23, 6, v17
	v_or_b32_e32 v24, 7, v17
	s_delay_alu instid0(VALU_DEP_3) | instskip(NEXT) | instid1(VALU_DEP_4)
	v_cmp_lt_f32_e32 vcc_lo, v10, v6
	v_dual_cndmask_b32 v9, v9, v19 :: v_dual_cndmask_b32 v10, v10, v6
	s_delay_alu instid0(VALU_DEP_1) | instskip(NEXT) | instid1(VALU_DEP_2)
	v_cmp_lt_f32_e32 vcc_lo, v10, v7
	v_dual_cndmask_b32 v9, v9, v20 :: v_dual_cndmask_b32 v10, v10, v7
	s_delay_alu instid0(VALU_DEP_1) | instskip(NEXT) | instid1(VALU_DEP_2)
	;; [unrolled: 3-line block ×6, first 2 shown]
	v_mov_b32_dpp v11, v9 quad_perm:[1,0,3,2] row_mask:0xf bank_mask:0xf
	v_mov_b32_dpp v12, v10 quad_perm:[1,0,3,2] row_mask:0xf bank_mask:0xf
	s_delay_alu instid0(VALU_DEP_2) | instskip(NEXT) | instid1(VALU_DEP_2)
	v_cmp_lt_i32_e32 vcc_lo, v11, v9
	v_cmp_eq_f32_e64 s2, v10, v12
	v_cmp_lt_f32_e64 s3, v10, v12
	s_delay_alu instid0(VALU_DEP_2)
	s_and_b32 s2, s2, vcc_lo
	s_delay_alu instid0(VALU_DEP_1) | instid1(SALU_CYCLE_1)
	s_or_b32 vcc_lo, s3, s2
	v_dual_cndmask_b32 v10, v10, v12 :: v_dual_cndmask_b32 v9, v9, v11
	s_delay_alu instid0(VALU_DEP_1) | instskip(NEXT) | instid1(VALU_DEP_2)
	v_mov_b32_dpp v11, v10 quad_perm:[2,3,0,1] row_mask:0xf bank_mask:0xf
	v_mov_b32_dpp v12, v9 quad_perm:[2,3,0,1] row_mask:0xf bank_mask:0xf
	s_delay_alu instid0(VALU_DEP_2) | instskip(NEXT) | instid1(VALU_DEP_2)
	v_cmp_eq_f32_e32 vcc_lo, v10, v11
	v_cmp_lt_i32_e64 s2, v12, v9
	v_cmp_lt_f32_e64 s3, v10, v11
	s_delay_alu instid0(VALU_DEP_2)
	s_and_b32 s2, vcc_lo, s2
	s_delay_alu instid0(VALU_DEP_1) | instid1(SALU_CYCLE_1)
	s_or_b32 vcc_lo, s3, s2
	v_dual_cndmask_b32 v10, v10, v11 :: v_dual_cndmask_b32 v11, v9, v12
	s_delay_alu instid0(VALU_DEP_1) | instskip(NEXT) | instid1(VALU_DEP_2)
	v_mov_b32_dpp v9, v10 row_xmask:7 row_mask:0xf bank_mask:0xf
	v_mov_b32_dpp v12, v11 row_xmask:7 row_mask:0xf bank_mask:0xf
	s_delay_alu instid0(VALU_DEP_2) | instskip(NEXT) | instid1(VALU_DEP_2)
	v_cmp_eq_f32_e32 vcc_lo, v10, v9
	v_cmp_lt_i32_e64 s2, v12, v11
	v_cmp_lt_f32_e64 s3, v10, v9
	s_delay_alu instid0(VALU_DEP_2)
	s_and_b32 s2, vcc_lo, s2
	s_delay_alu instid0(VALU_DEP_1) | instid1(SALU_CYCLE_1)
	s_or_b32 vcc_lo, s3, s2
	s_cmp_gt_i32 s8, 0
	v_dual_cndmask_b32 v9, v10, v9 :: v_dual_cndmask_b32 v10, v11, v12
	v_cmp_eq_u32_e32 vcc_lo, 0, v16
	s_cselect_b32 s15, -1, 0
	s_cmp_lt_i32 s8, 1
	s_delay_alu instid0(VALU_DEP_2) | instskip(SKIP_1) | instid1(VALU_DEP_2)
	v_mov_b32_dpp v12, v9 row_xmask:15 row_mask:0xf bank_mask:0xf
	v_mov_b32_dpp v11, v10 row_xmask:15 row_mask:0xf bank_mask:0xf
	v_cmp_lt_f32_e64 s2, v9, v12
	v_cmp_eq_f32_e64 s3, v9, v12
	s_delay_alu instid0(VALU_DEP_3)
	v_cmp_lt_i32_e64 s4, v11, v10
	s_cbranch_scc1 .LBB89_18
; %bb.7:
	s_delay_alu instid0(VALU_DEP_1)
	s_and_b32 s3, s3, s4
	s_load_b128 s[4:7], s[0:1], 0x20
	s_or_b32 s2, s2, s3
	v_mul_lo_u32 v13, v15, s8
	v_cndmask_b32_e64 v12, v9, v12, s2
	v_cndmask_b32_e64 v10, v10, v11, s2
	s_mov_b32 s2, 0x76543210
	v_mul_lo_u32 v9, v15, s11
	v_mul_lo_u32 v11, v15, s14
	v_permlanex16_b32 v14, v12, s2, 0xfedcba98 op_sel:[1,1]
	v_permlanex16_b32 v26, v10, s2, 0xfedcba98 op_sel:[1,1]
	s_delay_alu instid0(VALU_DEP_2) | instskip(NEXT) | instid1(VALU_DEP_2)
	v_cmp_eq_f32_e64 s0, v12, v14
	v_cmp_lt_i32_e64 s1, v26, v10
	v_cmp_lt_f32_e64 s2, v12, v14
	s_delay_alu instid0(VALU_DEP_2)
	s_and_b32 s0, s0, s1
	s_delay_alu instid0(VALU_DEP_1) | instid1(SALU_CYCLE_1)
	s_or_b32 s0, s2, s0
	s_delay_alu instid0(SALU_CYCLE_1)
	v_cndmask_b32_e64 v27, v10, v26, s0
	v_cndmask_b32_e64 v26, v12, v14, s0
	v_mov_b32_e32 v14, 0
	s_and_saveexec_b32 s2, vcc_lo
	s_cbranch_execz .LBB89_9
; %bb.8:
	s_delay_alu instid0(VALU_DEP_2)
	v_sub_f32_e32 v34, v26, v26
	v_cmp_le_i32_e64 s0, s9, v27
	v_cmp_gt_i32_e64 s1, s10, v27
	v_subrev_nc_u32_e32 v35, s9, v27
	v_ashrrev_i32_e32 v14, 31, v13
	v_mul_f32_e32 v10, 0x3fb8aa3b, v34
	s_delay_alu instid0(VALU_DEP_4) | instskip(NEXT) | instid1(SALU_CYCLE_1)
	s_and_b32 s0, s0, s1
	s_and_b32 s0, s17, s0
	s_delay_alu instid0(VALU_DEP_1) | instskip(SKIP_2) | instid1(VALU_DEP_3)
	v_rndne_f32_e32 v30, v10
	v_fma_f32 v12, 0x3fb8aa3b, v34, -v10
	v_lshlrev_b64 v[32:33], 2, v[13:14]
	v_sub_f32_e32 v10, v10, v30
	s_delay_alu instid0(VALU_DEP_3) | instskip(NEXT) | instid1(VALU_DEP_1)
	v_fmamk_f32 v12, v34, 0x32a5705f, v12
	v_add_f32_e32 v12, v10, v12
	v_ashrrev_i32_e32 v10, 31, v9
	s_delay_alu instid0(VALU_DEP_2) | instskip(NEXT) | instid1(VALU_DEP_1)
	v_exp_f32_e32 v36, v12
	v_lshlrev_b64 v[28:29], 2, v[9:10]
	v_ashrrev_i32_e32 v12, 31, v11
	v_cvt_i32_f32_e32 v10, v30
	s_delay_alu instid0(VALU_DEP_2) | instskip(SKIP_2) | instid1(VALU_DEP_1)
	v_lshlrev_b64 v[30:31], 2, v[11:12]
	v_cndmask_b32_e64 v12, 0x100, v35, s0
	v_add_co_u32 v28, s0, s12, v28
	v_add_co_ci_u32_e64 v29, s0, s13, v29, s0
	s_delay_alu instid0(TRANS32_DEP_1) | instskip(SKIP_1) | instid1(VALU_DEP_1)
	v_ldexp_f32 v10, v36, v10
	v_cmp_ngt_f32_e64 s0, 0xc2ce8ed0, v34
	v_cndmask_b32_e64 v10, 0, v10, s0
	s_waitcnt lgkmcnt(0)
	v_add_co_u32 v30, s0, s4, v30
	s_delay_alu instid0(VALU_DEP_1) | instskip(SKIP_1) | instid1(VALU_DEP_1)
	v_add_co_ci_u32_e64 v31, s0, s5, v31, s0
	v_cmp_nlt_f32_e64 s0, 0x42b17218, v34
	v_cndmask_b32_e64 v14, 0x7f800000, v10, s0
	v_add_co_u32 v32, s0, s6, v32
	s_delay_alu instid0(VALU_DEP_1)
	v_add_co_ci_u32_e64 v33, s0, s7, v33, s0
	global_store_b32 v[30:31], v12, off
	global_store_b32 v[28:29], v14, off
	global_store_b32 v[32:33], v15, off
.LBB89_9:
	s_or_b32 exec_lo, exec_lo, s2
	v_ashrrev_i32_e32 v10, 31, v27
	s_mov_b32 s1, exec_lo
	s_delay_alu instid0(VALU_DEP_1) | instskip(NEXT) | instid1(VALU_DEP_1)
	v_lshrrev_b32_e32 v12, 29, v10
	v_add_nc_u32_e32 v12, v27, v12
	s_delay_alu instid0(VALU_DEP_1) | instskip(SKIP_1) | instid1(VALU_DEP_2)
	v_ashrrev_i32_e32 v28, 31, v12
	v_ashrrev_i32_e32 v12, 3, v12
	v_lshrrev_b32_e32 v28, 27, v28
	s_delay_alu instid0(VALU_DEP_1) | instskip(NEXT) | instid1(VALU_DEP_1)
	v_add_nc_u32_e32 v28, v12, v28
	v_and_b32_e32 v28, 0xffffffe0, v28
	s_delay_alu instid0(VALU_DEP_1) | instskip(NEXT) | instid1(VALU_DEP_1)
	v_sub_nc_u32_e32 v28, v12, v28
	v_cmpx_eq_u32_e64 v16, v28
	s_cbranch_execz .LBB89_11
; %bb.10:
	v_lshrrev_b32_e32 v10, 24, v10
	v_lshlrev_b32_e32 v12, 3, v12
	s_delay_alu instid0(VALU_DEP_2) | instskip(NEXT) | instid1(VALU_DEP_2)
	v_add_nc_u32_e32 v10, v27, v10
	v_sub_nc_u32_e32 v12, v27, v12
	s_delay_alu instid0(VALU_DEP_2) | instskip(NEXT) | instid1(VALU_DEP_1)
	v_ashrrev_i32_e32 v10, 8, v10
	v_lshl_add_u32 v10, v10, 3, v12
	s_delay_alu instid0(VALU_DEP_1) | instskip(NEXT) | instid1(VALU_DEP_1)
	v_cmp_ne_u32_e64 s0, 7, v10
	v_cndmask_b32_e64 v3, 0xff800000, v3, s0
	v_cmp_ne_u32_e64 s0, 6, v10
	s_delay_alu instid0(VALU_DEP_1) | instskip(SKIP_1) | instid1(VALU_DEP_1)
	v_cndmask_b32_e64 v2, 0xff800000, v2, s0
	v_cmp_ne_u32_e64 s0, 5, v10
	v_cndmask_b32_e64 v1, 0xff800000, v1, s0
	v_cmp_ne_u32_e64 s0, 4, v10
	s_delay_alu instid0(VALU_DEP_1) | instskip(SKIP_1) | instid1(VALU_DEP_1)
	v_cndmask_b32_e64 v0, 0xff800000, v0, s0
	;; [unrolled: 5-line block ×3, first 2 shown]
	v_cmp_ne_u32_e64 s0, 1, v10
	v_cndmask_b32_e64 v5, 0xff800000, v5, s0
	v_cmp_ne_u32_e64 s0, 0, v10
	s_delay_alu instid0(VALU_DEP_1)
	v_cndmask_b32_e64 v4, 0xff800000, v4, s0
.LBB89_11:
	s_or_b32 exec_lo, exec_lo, s1
	s_cmp_eq_u32 s8, 1
	s_cbranch_scc1 .LBB89_18
; %bb.12:
	v_add_nc_u32_e32 v12, s16, v8
	v_add_nc_u32_e32 v8, 1, v13
	;; [unrolled: 1-line block ×3, first 2 shown]
	s_add_i32 s3, s8, -1
	s_mov_b32 s14, 0x76543210
	v_add3_u32 v25, v12, v25, s18
	v_add_nc_u32_e32 v12, 1, v9
	s_branch .LBB89_14
.LBB89_13:                              ;   in Loop: Header=BB89_14 Depth=1
	s_or_b32 exec_lo, exec_lo, s1
	v_add_nc_u32_e32 v25, s16, v25
	v_add_nc_u32_e32 v8, 1, v8
	;; [unrolled: 1-line block ×4, first 2 shown]
	s_add_i32 s3, s3, -1
	s_delay_alu instid0(SALU_CYCLE_1)
	s_cmp_eq_u32 s3, 0
	s_cbranch_scc1 .LBB89_18
.LBB89_14:                              ; =>This Inner Loop Header: Depth=1
	v_cmp_gt_f32_e64 s0, v5, v4
	s_delay_alu instid0(VALU_DEP_1) | instskip(SKIP_1) | instid1(VALU_DEP_2)
	v_cndmask_b32_e64 v11, v4, v5, s0
	v_cndmask_b32_e64 v9, v17, v18, s0
	v_cmp_gt_f32_e64 s0, v6, v11
	s_delay_alu instid0(VALU_DEP_1) | instskip(NEXT) | instid1(VALU_DEP_3)
	v_cndmask_b32_e64 v11, v11, v6, s0
	v_cndmask_b32_e64 v9, v9, v19, s0
	s_delay_alu instid0(VALU_DEP_2) | instskip(NEXT) | instid1(VALU_DEP_1)
	v_cmp_gt_f32_e64 s0, v7, v11
	v_cndmask_b32_e64 v11, v11, v7, s0
	s_delay_alu instid0(VALU_DEP_3) | instskip(NEXT) | instid1(VALU_DEP_2)
	v_cndmask_b32_e64 v9, v9, v20, s0
	v_cmp_gt_f32_e64 s0, v0, v11
	s_delay_alu instid0(VALU_DEP_1) | instskip(NEXT) | instid1(VALU_DEP_3)
	v_cndmask_b32_e64 v11, v11, v0, s0
	v_cndmask_b32_e64 v9, v9, v21, s0
	s_delay_alu instid0(VALU_DEP_2) | instskip(NEXT) | instid1(VALU_DEP_1)
	v_cmp_gt_f32_e64 s0, v1, v11
	v_cndmask_b32_e64 v11, v11, v1, s0
	s_delay_alu instid0(VALU_DEP_3) | instskip(NEXT) | instid1(VALU_DEP_2)
	v_cndmask_b32_e64 v9, v9, v22, s0
	v_cmp_gt_f32_e64 s0, v2, v11
	s_delay_alu instid0(VALU_DEP_1) | instskip(NEXT) | instid1(VALU_DEP_3)
	v_cndmask_b32_e64 v11, v11, v2, s0
	v_cndmask_b32_e64 v9, v9, v23, s0
	s_delay_alu instid0(VALU_DEP_2) | instskip(NEXT) | instid1(VALU_DEP_1)
	v_cmp_gt_f32_e64 s0, v3, v11
	v_cndmask_b32_e64 v9, v9, v24, s0
	v_cndmask_b32_e64 v11, v11, v3, s0
	s_delay_alu instid0(VALU_DEP_2) | instskip(NEXT) | instid1(VALU_DEP_2)
	v_mov_b32_dpp v13, v9 quad_perm:[1,0,3,2] row_mask:0xf bank_mask:0xf
	v_mov_b32_dpp v27, v11 quad_perm:[1,0,3,2] row_mask:0xf bank_mask:0xf
	s_delay_alu instid0(VALU_DEP_2) | instskip(NEXT) | instid1(VALU_DEP_2)
	v_cmp_lt_i32_e64 s0, v13, v9
	v_cmp_eq_f32_e64 s1, v11, v27
	v_cmp_lt_f32_e64 s2, v11, v27
	s_delay_alu instid0(VALU_DEP_2)
	s_and_b32 s0, s1, s0
	s_delay_alu instid0(VALU_DEP_1) | instid1(SALU_CYCLE_1)
	s_or_b32 s0, s2, s0
	s_delay_alu instid0(SALU_CYCLE_1) | instskip(SKIP_1) | instid1(VALU_DEP_2)
	v_cndmask_b32_e64 v11, v11, v27, s0
	v_cndmask_b32_e64 v9, v9, v13, s0
	v_mov_b32_dpp v13, v11 quad_perm:[2,3,0,1] row_mask:0xf bank_mask:0xf
	s_delay_alu instid0(VALU_DEP_2) | instskip(NEXT) | instid1(VALU_DEP_2)
	v_mov_b32_dpp v27, v9 quad_perm:[2,3,0,1] row_mask:0xf bank_mask:0xf
	v_cmp_eq_f32_e64 s0, v11, v13
	s_delay_alu instid0(VALU_DEP_2) | instskip(SKIP_1) | instid1(VALU_DEP_2)
	v_cmp_lt_i32_e64 s1, v27, v9
	v_cmp_lt_f32_e64 s2, v11, v13
	s_and_b32 s0, s0, s1
	s_delay_alu instid0(VALU_DEP_1) | instid1(SALU_CYCLE_1)
	s_or_b32 s0, s2, s0
	s_delay_alu instid0(SALU_CYCLE_1) | instskip(SKIP_1) | instid1(VALU_DEP_2)
	v_cndmask_b32_e64 v11, v11, v13, s0
	v_cndmask_b32_e64 v9, v9, v27, s0
	v_mov_b32_dpp v13, v11 row_xmask:7 row_mask:0xf bank_mask:0xf
	s_delay_alu instid0(VALU_DEP_2) | instskip(NEXT) | instid1(VALU_DEP_2)
	v_mov_b32_dpp v27, v9 row_xmask:7 row_mask:0xf bank_mask:0xf
	v_cmp_eq_f32_e64 s0, v11, v13
	s_delay_alu instid0(VALU_DEP_2) | instskip(SKIP_1) | instid1(VALU_DEP_2)
	v_cmp_lt_i32_e64 s1, v27, v9
	v_cmp_lt_f32_e64 s2, v11, v13
	s_and_b32 s0, s0, s1
	s_delay_alu instid0(VALU_DEP_1) | instid1(SALU_CYCLE_1)
	s_or_b32 s0, s2, s0
	s_delay_alu instid0(SALU_CYCLE_1) | instskip(SKIP_1) | instid1(VALU_DEP_2)
	v_cndmask_b32_e64 v11, v11, v13, s0
	v_cndmask_b32_e64 v13, v9, v27, s0
	v_mov_b32_dpp v9, v11 row_xmask:15 row_mask:0xf bank_mask:0xf
	s_delay_alu instid0(VALU_DEP_2) | instskip(NEXT) | instid1(VALU_DEP_2)
	v_mov_b32_dpp v27, v13 row_xmask:15 row_mask:0xf bank_mask:0xf
	v_cmp_eq_f32_e64 s0, v11, v9
	s_delay_alu instid0(VALU_DEP_2) | instskip(SKIP_1) | instid1(VALU_DEP_2)
	v_cmp_lt_i32_e64 s1, v27, v13
	v_cmp_lt_f32_e64 s2, v11, v9
	s_and_b32 s0, s0, s1
	s_delay_alu instid0(VALU_DEP_1) | instid1(SALU_CYCLE_1)
	s_or_b32 s0, s2, s0
	s_delay_alu instid0(SALU_CYCLE_1) | instskip(SKIP_1) | instid1(VALU_DEP_2)
	v_cndmask_b32_e64 v9, v11, v9, s0
	v_cndmask_b32_e64 v13, v13, v27, s0
	v_permlanex16_b32 v11, v9, s14, 0xfedcba98 op_sel:[1,1]
	s_delay_alu instid0(VALU_DEP_2) | instskip(NEXT) | instid1(VALU_DEP_2)
	v_permlanex16_b32 v27, v13, s14, 0xfedcba98 op_sel:[1,1]
	v_cmp_eq_f32_e64 s0, v9, v11
	s_delay_alu instid0(VALU_DEP_2) | instskip(SKIP_1) | instid1(VALU_DEP_2)
	v_cmp_lt_i32_e64 s1, v27, v13
	v_cmp_lt_f32_e64 s2, v9, v11
	s_and_b32 s0, s0, s1
	s_delay_alu instid0(VALU_DEP_1) | instid1(SALU_CYCLE_1)
	s_or_b32 s0, s2, s0
	s_delay_alu instid0(SALU_CYCLE_1)
	v_cndmask_b32_e64 v27, v13, v27, s0
	s_and_saveexec_b32 s2, vcc_lo
	s_cbranch_execz .LBB89_16
; %bb.15:                               ;   in Loop: Header=BB89_14 Depth=1
	v_cndmask_b32_e64 v9, v9, v11, s0
	s_delay_alu instid0(VALU_DEP_2) | instskip(SKIP_4) | instid1(VALU_DEP_4)
	v_cmp_le_i32_e64 s0, s9, v27
	v_cmp_gt_i32_e64 s1, s10, v27
	v_ashrrev_i32_e32 v13, 31, v12
	v_subrev_nc_u32_e32 v35, s9, v27
	v_sub_f32_e32 v34, v9, v26
	s_and_b32 s0, s0, s1
	s_delay_alu instid0(SALU_CYCLE_1) | instskip(NEXT) | instid1(VALU_DEP_1)
	s_and_b32 s0, s17, s0
	v_mul_f32_e32 v9, 0x3fb8aa3b, v34
	s_delay_alu instid0(VALU_DEP_1) | instskip(SKIP_1) | instid1(VALU_DEP_2)
	v_fma_f32 v11, 0x3fb8aa3b, v34, -v9
	v_rndne_f32_e32 v28, v9
	v_fmac_f32_e32 v11, 0x32a5705f, v34
	s_delay_alu instid0(VALU_DEP_2) | instskip(SKIP_2) | instid1(VALU_DEP_3)
	v_sub_f32_e32 v9, v9, v28
	v_cvt_i32_f32_e32 v33, v28
	v_lshlrev_b64 v[28:29], 2, v[12:13]
	v_add_f32_e32 v9, v9, v11
	v_ashrrev_i32_e32 v11, 31, v10
	s_delay_alu instid0(VALU_DEP_2) | instskip(SKIP_1) | instid1(VALU_DEP_2)
	v_exp_f32_e32 v32, v9
	v_ashrrev_i32_e32 v9, 31, v8
	v_lshlrev_b64 v[30:31], 2, v[10:11]
	s_waitcnt_depctr 0xfff
	v_ldexp_f32 v11, v32, v33
	v_lshlrev_b64 v[32:33], 2, v[8:9]
	v_cndmask_b32_e64 v9, 0x100, v35, s0
	v_cmp_ngt_f32_e64 s0, 0xc2ce8ed0, v34
	s_delay_alu instid0(VALU_DEP_1) | instskip(SKIP_1) | instid1(VALU_DEP_1)
	v_cndmask_b32_e64 v11, 0, v11, s0
	v_add_co_u32 v28, s0, s12, v28
	v_add_co_ci_u32_e64 v29, s0, s13, v29, s0
	v_cmp_nlt_f32_e64 s0, 0x42b17218, v34
	s_delay_alu instid0(VALU_DEP_1) | instskip(SKIP_2) | instid1(VALU_DEP_1)
	v_cndmask_b32_e64 v11, 0x7f800000, v11, s0
	s_waitcnt lgkmcnt(0)
	v_add_co_u32 v30, s0, s4, v30
	v_add_co_ci_u32_e64 v31, s0, s5, v31, s0
	s_delay_alu instid0(VALU_DEP_3) | instskip(SKIP_1) | instid1(VALU_DEP_1)
	v_add_f32_e32 v14, v14, v11
	v_add_co_u32 v32, s0, s6, v32
	v_add_co_ci_u32_e64 v33, s0, s7, v33, s0
	global_store_b32 v[28:29], v11, off
	global_store_b32 v[30:31], v9, off
	global_store_b32 v[32:33], v25, off
.LBB89_16:                              ;   in Loop: Header=BB89_14 Depth=1
	s_or_b32 exec_lo, exec_lo, s2
	s_delay_alu instid0(VALU_DEP_1) | instskip(SKIP_1) | instid1(VALU_DEP_1)
	v_ashrrev_i32_e32 v9, 31, v27
	s_mov_b32 s1, exec_lo
	v_lshrrev_b32_e32 v11, 29, v9
	s_delay_alu instid0(VALU_DEP_1) | instskip(NEXT) | instid1(VALU_DEP_1)
	v_add_nc_u32_e32 v11, v27, v11
	v_ashrrev_i32_e32 v13, 31, v11
	v_ashrrev_i32_e32 v11, 3, v11
	s_delay_alu instid0(VALU_DEP_2) | instskip(NEXT) | instid1(VALU_DEP_1)
	v_lshrrev_b32_e32 v13, 27, v13
	v_add_nc_u32_e32 v13, v11, v13
	s_delay_alu instid0(VALU_DEP_1) | instskip(NEXT) | instid1(VALU_DEP_1)
	v_and_b32_e32 v13, 0xffffffe0, v13
	v_sub_nc_u32_e32 v13, v11, v13
	s_delay_alu instid0(VALU_DEP_1)
	v_cmpx_eq_u32_e64 v16, v13
	s_cbranch_execz .LBB89_13
; %bb.17:                               ;   in Loop: Header=BB89_14 Depth=1
	v_lshrrev_b32_e32 v9, 24, v9
	v_lshlrev_b32_e32 v11, 3, v11
	s_delay_alu instid0(VALU_DEP_2) | instskip(NEXT) | instid1(VALU_DEP_2)
	v_add_nc_u32_e32 v9, v27, v9
	v_sub_nc_u32_e32 v11, v27, v11
	s_delay_alu instid0(VALU_DEP_2) | instskip(NEXT) | instid1(VALU_DEP_1)
	v_ashrrev_i32_e32 v9, 8, v9
	v_lshl_add_u32 v9, v9, 3, v11
	s_delay_alu instid0(VALU_DEP_1) | instskip(NEXT) | instid1(VALU_DEP_1)
	v_cmp_ne_u32_e64 s0, 7, v9
	v_cndmask_b32_e64 v3, 0xff800000, v3, s0
	v_cmp_ne_u32_e64 s0, 6, v9
	s_delay_alu instid0(VALU_DEP_1) | instskip(SKIP_1) | instid1(VALU_DEP_1)
	v_cndmask_b32_e64 v2, 0xff800000, v2, s0
	v_cmp_ne_u32_e64 s0, 5, v9
	v_cndmask_b32_e64 v1, 0xff800000, v1, s0
	v_cmp_ne_u32_e64 s0, 4, v9
	s_delay_alu instid0(VALU_DEP_1) | instskip(SKIP_1) | instid1(VALU_DEP_1)
	v_cndmask_b32_e64 v0, 0xff800000, v0, s0
	;; [unrolled: 5-line block ×3, first 2 shown]
	v_cmp_ne_u32_e64 s0, 1, v9
	v_cndmask_b32_e64 v5, 0xff800000, v5, s0
	v_cmp_ne_u32_e64 s0, 0, v9
	s_delay_alu instid0(VALU_DEP_1)
	v_cndmask_b32_e64 v4, 0xff800000, v4, s0
	s_branch .LBB89_13
.LBB89_18:
	v_cmp_eq_u32_e32 vcc_lo, 0, v16
	v_cmp_neq_f32_e64 s0, 0, v14
	s_delay_alu instid0(VALU_DEP_1) | instskip(NEXT) | instid1(SALU_CYCLE_1)
	s_and_b32 s0, vcc_lo, s0
	s_and_b32 exec_lo, exec_lo, s0
	s_cbranch_execz .LBB89_22
; %bb.19:
	s_and_not1_b32 vcc_lo, exec_lo, s15
	s_cbranch_vccnz .LBB89_22
; %bb.20:
	v_div_scale_f32 v1, null, v14, v14, 1.0
	v_div_scale_f32 v3, vcc_lo, 1.0, v14, 1.0
	s_delay_alu instid0(VALU_DEP_2) | instskip(SKIP_2) | instid1(VALU_DEP_1)
	v_rcp_f32_e32 v2, v1
	s_waitcnt_depctr 0xfff
	v_fma_f32 v0, -v1, v2, 1.0
	v_fmac_f32_e32 v2, v0, v2
	v_mul_lo_u32 v0, v15, s11
	s_delay_alu instid0(VALU_DEP_2) | instskip(NEXT) | instid1(VALU_DEP_1)
	v_mul_f32_e32 v4, v3, v2
	v_fma_f32 v5, -v1, v4, v3
	s_delay_alu instid0(VALU_DEP_1) | instskip(NEXT) | instid1(VALU_DEP_1)
	v_fmac_f32_e32 v4, v5, v2
	v_fma_f32 v3, -v1, v4, v3
	v_ashrrev_i32_e32 v1, 31, v0
	s_delay_alu instid0(VALU_DEP_2) | instskip(NEXT) | instid1(VALU_DEP_2)
	v_div_fmas_f32 v2, v3, v2, v4
	v_lshlrev_b64 v[0:1], 2, v[0:1]
	s_delay_alu instid0(VALU_DEP_2) | instskip(NEXT) | instid1(VALU_DEP_2)
	v_div_fixup_f32 v2, v2, v14, 1.0
	v_add_co_u32 v0, vcc_lo, s12, v0
	s_delay_alu instid0(VALU_DEP_3)
	v_add_co_ci_u32_e32 v1, vcc_lo, s13, v1, vcc_lo
.LBB89_21:                              ; =>This Inner Loop Header: Depth=1
	global_load_b32 v3, v[0:1], off
	s_add_i32 s8, s8, -1
	s_delay_alu instid0(SALU_CYCLE_1)
	s_cmp_lg_u32 s8, 0
	s_waitcnt vmcnt(0)
	v_mul_f32_e32 v3, v2, v3
	global_store_b32 v[0:1], v3, off
	v_add_co_u32 v0, vcc_lo, v0, 4
	v_add_co_ci_u32_e32 v1, vcc_lo, 0, v1, vcc_lo
	s_cbranch_scc1 .LBB89_21
.LBB89_22:
	s_nop 0
	s_sendmsg sendmsg(MSG_DEALLOC_VGPRS)
	s_endpgm
	.section	.rodata,"a",@progbits
	.p2align	6, 0x0
	.amdhsa_kernel _ZN4vllm3moe17topkGatingSoftmaxIfLi8ELi256ELi8ELi32ELb1ELi8ELNS0_23SharedExpertScoringFuncE1EEEvPKT_PKbPfiPiS9_iiiiii
		.amdhsa_group_segment_fixed_size 0
		.amdhsa_private_segment_fixed_size 0
		.amdhsa_kernarg_size 72
		.amdhsa_user_sgpr_count 15
		.amdhsa_user_sgpr_dispatch_ptr 0
		.amdhsa_user_sgpr_queue_ptr 0
		.amdhsa_user_sgpr_kernarg_segment_ptr 1
		.amdhsa_user_sgpr_dispatch_id 0
		.amdhsa_user_sgpr_private_segment_size 0
		.amdhsa_wavefront_size32 1
		.amdhsa_uses_dynamic_stack 0
		.amdhsa_enable_private_segment 0
		.amdhsa_system_sgpr_workgroup_id_x 1
		.amdhsa_system_sgpr_workgroup_id_y 0
		.amdhsa_system_sgpr_workgroup_id_z 0
		.amdhsa_system_sgpr_workgroup_info 0
		.amdhsa_system_vgpr_workitem_id 1
		.amdhsa_next_free_vgpr 37
		.amdhsa_next_free_sgpr 19
		.amdhsa_reserve_vcc 1
		.amdhsa_float_round_mode_32 0
		.amdhsa_float_round_mode_16_64 0
		.amdhsa_float_denorm_mode_32 3
		.amdhsa_float_denorm_mode_16_64 3
		.amdhsa_dx10_clamp 1
		.amdhsa_ieee_mode 1
		.amdhsa_fp16_overflow 0
		.amdhsa_workgroup_processor_mode 1
		.amdhsa_memory_ordered 1
		.amdhsa_forward_progress 0
		.amdhsa_shared_vgpr_count 0
		.amdhsa_exception_fp_ieee_invalid_op 0
		.amdhsa_exception_fp_denorm_src 0
		.amdhsa_exception_fp_ieee_div_zero 0
		.amdhsa_exception_fp_ieee_overflow 0
		.amdhsa_exception_fp_ieee_underflow 0
		.amdhsa_exception_fp_ieee_inexact 0
		.amdhsa_exception_int_div_zero 0
	.end_amdhsa_kernel
	.section	.text._ZN4vllm3moe17topkGatingSoftmaxIfLi8ELi256ELi8ELi32ELb1ELi8ELNS0_23SharedExpertScoringFuncE1EEEvPKT_PKbPfiPiS9_iiiiii,"axG",@progbits,_ZN4vllm3moe17topkGatingSoftmaxIfLi8ELi256ELi8ELi32ELb1ELi8ELNS0_23SharedExpertScoringFuncE1EEEvPKT_PKbPfiPiS9_iiiiii,comdat
.Lfunc_end89:
	.size	_ZN4vllm3moe17topkGatingSoftmaxIfLi8ELi256ELi8ELi32ELb1ELi8ELNS0_23SharedExpertScoringFuncE1EEEvPKT_PKbPfiPiS9_iiiiii, .Lfunc_end89-_ZN4vllm3moe17topkGatingSoftmaxIfLi8ELi256ELi8ELi32ELb1ELi8ELNS0_23SharedExpertScoringFuncE1EEEvPKT_PKbPfiPiS9_iiiiii
                                        ; -- End function
	.section	.AMDGPU.csdata,"",@progbits
; Kernel info:
; codeLenInByte = 3292
; NumSgprs: 21
; NumVgprs: 37
; ScratchSize: 0
; MemoryBound: 0
; FloatMode: 240
; IeeeMode: 1
; LDSByteSize: 0 bytes/workgroup (compile time only)
; SGPRBlocks: 2
; VGPRBlocks: 4
; NumSGPRsForWavesPerEU: 21
; NumVGPRsForWavesPerEU: 37
; Occupancy: 16
; WaveLimiterHint : 0
; COMPUTE_PGM_RSRC2:SCRATCH_EN: 0
; COMPUTE_PGM_RSRC2:USER_SGPR: 15
; COMPUTE_PGM_RSRC2:TRAP_HANDLER: 0
; COMPUTE_PGM_RSRC2:TGID_X_EN: 1
; COMPUTE_PGM_RSRC2:TGID_Y_EN: 0
; COMPUTE_PGM_RSRC2:TGID_Z_EN: 0
; COMPUTE_PGM_RSRC2:TIDIG_COMP_CNT: 1
	.section	.text._ZN4vllm3moe17topkGatingSoftmaxIfLi8ELi256ELi8ELi32ELb0ELi8ELNS0_23SharedExpertScoringFuncE1EEEvPKT_PKbPfiPiS9_iiiiii,"axG",@progbits,_ZN4vllm3moe17topkGatingSoftmaxIfLi8ELi256ELi8ELi32ELb0ELi8ELNS0_23SharedExpertScoringFuncE1EEEvPKT_PKbPfiPiS9_iiiiii,comdat
	.protected	_ZN4vllm3moe17topkGatingSoftmaxIfLi8ELi256ELi8ELi32ELb0ELi8ELNS0_23SharedExpertScoringFuncE1EEEvPKT_PKbPfiPiS9_iiiiii ; -- Begin function _ZN4vllm3moe17topkGatingSoftmaxIfLi8ELi256ELi8ELi32ELb0ELi8ELNS0_23SharedExpertScoringFuncE1EEEvPKT_PKbPfiPiS9_iiiiii
	.globl	_ZN4vllm3moe17topkGatingSoftmaxIfLi8ELi256ELi8ELi32ELb0ELi8ELNS0_23SharedExpertScoringFuncE1EEEvPKT_PKbPfiPiS9_iiiiii
	.p2align	8
	.type	_ZN4vllm3moe17topkGatingSoftmaxIfLi8ELi256ELi8ELi32ELb0ELi8ELNS0_23SharedExpertScoringFuncE1EEEvPKT_PKbPfiPiS9_iiiiii,@function
_ZN4vllm3moe17topkGatingSoftmaxIfLi8ELi256ELi8ELi32ELb0ELi8ELNS0_23SharedExpertScoringFuncE1EEEvPKT_PKbPfiPiS9_iiiiii: ; @_ZN4vllm3moe17topkGatingSoftmaxIfLi8ELi256ELi8ELi32ELb0ELi8ELNS0_23SharedExpertScoringFuncE1EEEvPKT_PKbPfiPiS9_iiiiii
; %bb.0:
	s_load_b32 s16, s[0:1], 0x18
	v_and_b32_e32 v1, 0x3ff, v0
	v_bfe_u32 v8, v0, 10, 10
	s_lshl_b32 s18, s15, 3
	s_mov_b32 s2, exec_lo
	s_delay_alu instid0(VALU_DEP_2) | instskip(NEXT) | instid1(VALU_DEP_1)
	v_lshrrev_b32_e32 v26, 5, v1
	v_add3_u32 v15, s18, v8, v26
	s_waitcnt lgkmcnt(0)
	s_delay_alu instid0(VALU_DEP_1)
	v_cmpx_gt_i32_e64 s16, v15
	s_cbranch_execz .LBB90_23
; %bb.1:
	s_clause 0x1
	s_load_b128 s[4:7], s[0:1], 0x0
	s_load_b64 s[12:13], s[0:1], 0x10
	s_waitcnt lgkmcnt(0)
	s_cmp_eq_u64 s[6:7], 0
	s_cbranch_scc1 .LBB90_3
; %bb.2:
	v_ashrrev_i32_e32 v0, 31, v15
	v_add_co_u32 v2, vcc_lo, s6, v15
	s_delay_alu instid0(VALU_DEP_2) | instskip(SKIP_3) | instid1(VALU_DEP_1)
	v_add_co_ci_u32_e32 v3, vcc_lo, s7, v0, vcc_lo
	global_load_u8 v0, v[2:3], off
	s_waitcnt vmcnt(0)
	v_and_b32_e32 v0, 1, v0
	v_cmp_eq_u32_e32 vcc_lo, 1, v0
	s_xor_b32 s2, vcc_lo, -1
	s_delay_alu instid0(SALU_CYCLE_1)
	s_or_not1_b32 s17, s2, exec_lo
	s_branch .LBB90_4
.LBB90_3:
	s_mov_b32 s17, -1
.LBB90_4:
	s_load_b64 s[14:15], s[0:1], 0x40
	v_and_b32_e32 v16, 31, v1
	v_mov_b32_e32 v14, 0
	s_mov_b32 s2, exec_lo
	s_delay_alu instid0(VALU_DEP_2) | instskip(SKIP_2) | instid1(VALU_DEP_1)
	v_lshlrev_b32_e32 v18, 3, v16
	s_waitcnt lgkmcnt(0)
	v_mul_lo_u32 v2, v15, s15
	v_ashrrev_i32_e32 v3, 31, v2
	s_delay_alu instid0(VALU_DEP_1) | instskip(SKIP_1) | instid1(VALU_DEP_2)
	v_lshlrev_b64 v[0:1], 2, v[2:3]
	v_lshlrev_b32_e32 v2, 5, v16
	v_add_co_u32 v9, vcc_lo, s4, v0
	s_delay_alu instid0(VALU_DEP_3) | instskip(SKIP_1) | instid1(VALU_DEP_2)
	v_add_co_ci_u32_e32 v10, vcc_lo, s5, v1, vcc_lo
	s_load_b128 s[4:7], s[0:1], 0x30
	v_add_co_u32 v4, vcc_lo, v9, v2
	s_delay_alu instid0(VALU_DEP_2)
	v_add_co_ci_u32_e32 v5, vcc_lo, 0, v10, vcc_lo
	s_clause 0x1
	global_load_b128 v[0:3], v[4:5], off offset:16
	global_load_b128 v[4:7], v[4:5], off
	v_cmpx_gt_u32_e32 8, v16
	s_cbranch_execz .LBB90_6
; %bb.5:
	v_lshlrev_b32_e32 v11, 2, v16
	s_delay_alu instid0(VALU_DEP_1)
	v_add_co_u32 v9, vcc_lo, v9, v11
	v_add_co_ci_u32_e32 v10, vcc_lo, 0, v10, vcc_lo
	global_load_b32 v9, v[9:10], off offset:1024
	s_waitcnt vmcnt(0)
	v_mul_f32_e32 v10, 0xbfb8aa3b, v9
	v_cmp_nlt_f32_e32 vcc_lo, 0x42ce8ed0, v9
	s_delay_alu instid0(VALU_DEP_2) | instskip(SKIP_1) | instid1(VALU_DEP_1)
	v_fma_f32 v11, 0xbfb8aa3b, v9, -v10
	v_rndne_f32_e32 v12, v10
	v_dual_fmamk_f32 v11, v9, 0xb2a5705f, v11 :: v_dual_sub_f32 v10, v10, v12
	s_delay_alu instid0(VALU_DEP_1) | instskip(SKIP_1) | instid1(VALU_DEP_2)
	v_add_f32_e32 v10, v10, v11
	v_cvt_i32_f32_e32 v11, v12
	v_exp_f32_e32 v10, v10
	s_waitcnt_depctr 0xfff
	v_ldexp_f32 v10, v10, v11
	s_delay_alu instid0(VALU_DEP_1) | instskip(SKIP_1) | instid1(VALU_DEP_2)
	v_cndmask_b32_e32 v10, 0, v10, vcc_lo
	v_cmp_ngt_f32_e32 vcc_lo, 0xc2b17218, v9
	v_cndmask_b32_e32 v9, 0x7f800000, v10, vcc_lo
	s_delay_alu instid0(VALU_DEP_1) | instskip(NEXT) | instid1(VALU_DEP_1)
	v_add_f32_e32 v11, 1.0, v9
	v_div_scale_f32 v10, null, v11, v11, 1.0
	v_div_scale_f32 v13, vcc_lo, 1.0, v11, 1.0
	s_delay_alu instid0(VALU_DEP_2) | instskip(SKIP_2) | instid1(VALU_DEP_1)
	v_rcp_f32_e32 v12, v10
	s_waitcnt_depctr 0xfff
	v_fma_f32 v9, -v10, v12, 1.0
	v_fmac_f32_e32 v12, v9, v12
	s_waitcnt lgkmcnt(0)
	v_mul_lo_u32 v9, v15, s7
	s_delay_alu instid0(VALU_DEP_2) | instskip(NEXT) | instid1(VALU_DEP_2)
	v_mul_f32_e32 v17, v13, v12
	v_add3_u32 v9, v9, s4, v16
	s_delay_alu instid0(VALU_DEP_2) | instskip(NEXT) | instid1(VALU_DEP_1)
	v_fma_f32 v19, -v10, v17, v13
	v_fmac_f32_e32 v17, v19, v12
	s_delay_alu instid0(VALU_DEP_1) | instskip(NEXT) | instid1(VALU_DEP_4)
	v_fma_f32 v13, -v10, v17, v13
	v_ashrrev_i32_e32 v10, 31, v9
	s_delay_alu instid0(VALU_DEP_2) | instskip(NEXT) | instid1(VALU_DEP_2)
	v_div_fmas_f32 v12, v13, v12, v17
	v_lshlrev_b64 v[9:10], 2, v[9:10]
	s_delay_alu instid0(VALU_DEP_2) | instskip(NEXT) | instid1(VALU_DEP_2)
	v_div_fixup_f32 v11, v12, v11, 1.0
	v_add_co_u32 v9, vcc_lo, s12, v9
	s_delay_alu instid0(VALU_DEP_3)
	v_add_co_ci_u32_e32 v10, vcc_lo, s13, v10, vcc_lo
	global_store_b32 v[9:10], v11, off
.LBB90_6:
	s_or_b32 exec_lo, exec_lo, s2
	v_or_b32_e32 v19, 1, v18
	s_waitcnt vmcnt(0)
	v_cmp_lt_f32_e32 vcc_lo, v4, v5
	v_or_b32_e32 v20, 2, v18
	v_or_b32_e32 v21, 3, v18
	;; [unrolled: 1-line block ×4, first 2 shown]
	v_dual_cndmask_b32 v9, v18, v19 :: v_dual_cndmask_b32 v10, v4, v5
	v_or_b32_e32 v24, 6, v18
	v_or_b32_e32 v25, 7, v18
	s_delay_alu instid0(VALU_DEP_3) | instskip(NEXT) | instid1(VALU_DEP_4)
	v_cmp_lt_f32_e32 vcc_lo, v10, v6
	v_dual_cndmask_b32 v9, v9, v20 :: v_dual_cndmask_b32 v10, v10, v6
	s_delay_alu instid0(VALU_DEP_1) | instskip(NEXT) | instid1(VALU_DEP_2)
	v_cmp_lt_f32_e32 vcc_lo, v10, v7
	v_dual_cndmask_b32 v9, v9, v21 :: v_dual_cndmask_b32 v10, v10, v7
	s_delay_alu instid0(VALU_DEP_1) | instskip(NEXT) | instid1(VALU_DEP_2)
	;; [unrolled: 3-line block ×6, first 2 shown]
	v_mov_b32_dpp v11, v9 quad_perm:[1,0,3,2] row_mask:0xf bank_mask:0xf
	v_mov_b32_dpp v12, v10 quad_perm:[1,0,3,2] row_mask:0xf bank_mask:0xf
	s_delay_alu instid0(VALU_DEP_2) | instskip(NEXT) | instid1(VALU_DEP_2)
	v_cmp_lt_i32_e32 vcc_lo, v11, v9
	v_cmp_eq_f32_e64 s2, v10, v12
	v_cmp_lt_f32_e64 s3, v10, v12
	s_delay_alu instid0(VALU_DEP_2)
	s_and_b32 s2, s2, vcc_lo
	s_delay_alu instid0(VALU_DEP_1) | instid1(SALU_CYCLE_1)
	s_or_b32 vcc_lo, s3, s2
	v_dual_cndmask_b32 v10, v10, v12 :: v_dual_cndmask_b32 v9, v9, v11
	s_delay_alu instid0(VALU_DEP_1) | instskip(NEXT) | instid1(VALU_DEP_2)
	v_mov_b32_dpp v11, v10 quad_perm:[2,3,0,1] row_mask:0xf bank_mask:0xf
	v_mov_b32_dpp v12, v9 quad_perm:[2,3,0,1] row_mask:0xf bank_mask:0xf
	s_delay_alu instid0(VALU_DEP_2) | instskip(NEXT) | instid1(VALU_DEP_2)
	v_cmp_eq_f32_e32 vcc_lo, v10, v11
	v_cmp_lt_i32_e64 s2, v12, v9
	v_cmp_lt_f32_e64 s3, v10, v11
	s_delay_alu instid0(VALU_DEP_2)
	s_and_b32 s2, vcc_lo, s2
	s_delay_alu instid0(VALU_DEP_1) | instid1(SALU_CYCLE_1)
	s_or_b32 vcc_lo, s3, s2
	v_dual_cndmask_b32 v10, v10, v11 :: v_dual_cndmask_b32 v9, v9, v12
	s_delay_alu instid0(VALU_DEP_1) | instskip(NEXT) | instid1(VALU_DEP_2)
	v_mov_b32_dpp v11, v10 row_xmask:7 row_mask:0xf bank_mask:0xf
	v_mov_b32_dpp v12, v9 row_xmask:7 row_mask:0xf bank_mask:0xf
	s_delay_alu instid0(VALU_DEP_2) | instskip(NEXT) | instid1(VALU_DEP_2)
	v_cmp_eq_f32_e32 vcc_lo, v10, v11
	v_cmp_lt_i32_e64 s2, v12, v9
	v_cmp_lt_f32_e64 s3, v10, v11
	s_delay_alu instid0(VALU_DEP_2)
	s_and_b32 s2, vcc_lo, s2
	s_delay_alu instid0(VALU_DEP_1) | instid1(SALU_CYCLE_1)
	s_or_b32 vcc_lo, s3, s2
	v_dual_cndmask_b32 v10, v10, v11 :: v_dual_cndmask_b32 v9, v9, v12
	s_delay_alu instid0(VALU_DEP_1) | instskip(NEXT) | instid1(VALU_DEP_2)
	v_mov_b32_dpp v11, v10 row_xmask:15 row_mask:0xf bank_mask:0xf
	v_mov_b32_dpp v12, v9 row_xmask:15 row_mask:0xf bank_mask:0xf
	s_delay_alu instid0(VALU_DEP_2) | instskip(NEXT) | instid1(VALU_DEP_2)
	v_cmp_eq_f32_e32 vcc_lo, v10, v11
	v_cmp_lt_i32_e64 s2, v12, v9
	v_cmp_lt_f32_e64 s3, v10, v11
	s_delay_alu instid0(VALU_DEP_2)
	s_and_b32 s2, vcc_lo, s2
	s_delay_alu instid0(VALU_DEP_1) | instid1(SALU_CYCLE_1)
	s_or_b32 vcc_lo, s3, s2
	s_mov_b32 s2, 0x76543210
	v_dual_cndmask_b32 v11, v10, v11 :: v_dual_cndmask_b32 v10, v9, v12
	s_delay_alu instid0(VALU_DEP_1) | instskip(NEXT) | instid1(VALU_DEP_2)
	v_permlanex16_b32 v9, v11, s2, 0xfedcba98 op_sel:[1,1]
	v_permlanex16_b32 v12, v10, s2, 0xfedcba98 op_sel:[1,1]
	s_delay_alu instid0(VALU_DEP_2) | instskip(NEXT) | instid1(VALU_DEP_2)
	v_cmp_eq_f32_e32 vcc_lo, v11, v9
	v_cmp_lt_i32_e64 s2, v12, v10
	v_cmp_lt_f32_e64 s3, v11, v9
	s_delay_alu instid0(VALU_DEP_2) | instskip(SKIP_1) | instid1(VALU_DEP_2)
	s_and_b32 s2, vcc_lo, s2
	v_cmp_eq_u32_e32 vcc_lo, 0, v16
	s_or_b32 s2, s3, s2
	s_waitcnt lgkmcnt(0)
	s_cmp_gt_i32 s4, 0
	v_cndmask_b32_e64 v17, v11, v9, s2
	s_cselect_b32 s3, -1, 0
	s_cmp_lt_i32 s4, 1
	s_cbranch_scc1 .LBB90_18
; %bb.7:
	s_load_b128 s[8:11], s[0:1], 0x20
	v_mul_lo_u32 v9, v15, s7
	v_mul_lo_u32 v11, v15, s14
	;; [unrolled: 1-line block ×3, first 2 shown]
	v_cndmask_b32_e64 v27, v10, v12, s2
	v_mov_b32_e32 v14, 0
	s_and_saveexec_b32 s2, vcc_lo
	s_cbranch_execz .LBB90_9
; %bb.8:
	v_sub_f32_e32 v34, v17, v17
	v_cmp_le_i32_e64 s0, s5, v27
	v_cmp_gt_i32_e64 s1, s6, v27
	v_subrev_nc_u32_e32 v35, s5, v27
	v_ashrrev_i32_e32 v14, 31, v13
	v_mul_f32_e32 v10, 0x3fb8aa3b, v34
	s_delay_alu instid0(VALU_DEP_4) | instskip(NEXT) | instid1(SALU_CYCLE_1)
	s_and_b32 s0, s0, s1
	s_and_b32 s0, s17, s0
	s_delay_alu instid0(VALU_DEP_1) | instskip(SKIP_2) | instid1(VALU_DEP_3)
	v_rndne_f32_e32 v30, v10
	v_fma_f32 v12, 0x3fb8aa3b, v34, -v10
	v_lshlrev_b64 v[32:33], 2, v[13:14]
	v_sub_f32_e32 v10, v10, v30
	s_delay_alu instid0(VALU_DEP_3) | instskip(NEXT) | instid1(VALU_DEP_1)
	v_fmamk_f32 v12, v34, 0x32a5705f, v12
	v_add_f32_e32 v12, v10, v12
	v_ashrrev_i32_e32 v10, 31, v9
	s_delay_alu instid0(VALU_DEP_2) | instskip(NEXT) | instid1(VALU_DEP_1)
	v_exp_f32_e32 v36, v12
	v_lshlrev_b64 v[28:29], 2, v[9:10]
	v_ashrrev_i32_e32 v12, 31, v11
	v_cvt_i32_f32_e32 v10, v30
	s_delay_alu instid0(VALU_DEP_2) | instskip(SKIP_2) | instid1(VALU_DEP_1)
	v_lshlrev_b64 v[30:31], 2, v[11:12]
	v_cndmask_b32_e64 v12, 0x100, v35, s0
	v_add_co_u32 v28, s0, s12, v28
	v_add_co_ci_u32_e64 v29, s0, s13, v29, s0
	s_delay_alu instid0(TRANS32_DEP_1) | instskip(SKIP_1) | instid1(VALU_DEP_1)
	v_ldexp_f32 v10, v36, v10
	v_cmp_ngt_f32_e64 s0, 0xc2ce8ed0, v34
	v_cndmask_b32_e64 v10, 0, v10, s0
	s_waitcnt lgkmcnt(0)
	v_add_co_u32 v30, s0, s8, v30
	s_delay_alu instid0(VALU_DEP_1) | instskip(SKIP_1) | instid1(VALU_DEP_1)
	v_add_co_ci_u32_e64 v31, s0, s9, v31, s0
	v_cmp_nlt_f32_e64 s0, 0x42b17218, v34
	v_cndmask_b32_e64 v14, 0x7f800000, v10, s0
	v_add_co_u32 v32, s0, s10, v32
	s_delay_alu instid0(VALU_DEP_1)
	v_add_co_ci_u32_e64 v33, s0, s11, v33, s0
	global_store_b32 v[30:31], v12, off
	global_store_b32 v[28:29], v14, off
	;; [unrolled: 1-line block ×3, first 2 shown]
.LBB90_9:
	s_or_b32 exec_lo, exec_lo, s2
	v_ashrrev_i32_e32 v10, 31, v27
	s_mov_b32 s1, exec_lo
	s_delay_alu instid0(VALU_DEP_1) | instskip(NEXT) | instid1(VALU_DEP_1)
	v_lshrrev_b32_e32 v12, 29, v10
	v_add_nc_u32_e32 v12, v27, v12
	s_delay_alu instid0(VALU_DEP_1) | instskip(SKIP_1) | instid1(VALU_DEP_2)
	v_ashrrev_i32_e32 v28, 31, v12
	v_ashrrev_i32_e32 v12, 3, v12
	v_lshrrev_b32_e32 v28, 27, v28
	s_delay_alu instid0(VALU_DEP_1) | instskip(NEXT) | instid1(VALU_DEP_1)
	v_add_nc_u32_e32 v28, v12, v28
	v_and_b32_e32 v28, 0xffffffe0, v28
	s_delay_alu instid0(VALU_DEP_1) | instskip(NEXT) | instid1(VALU_DEP_1)
	v_sub_nc_u32_e32 v28, v12, v28
	v_cmpx_eq_u32_e64 v16, v28
	s_cbranch_execz .LBB90_11
; %bb.10:
	v_lshrrev_b32_e32 v10, 24, v10
	v_lshlrev_b32_e32 v12, 3, v12
	s_delay_alu instid0(VALU_DEP_2) | instskip(NEXT) | instid1(VALU_DEP_2)
	v_add_nc_u32_e32 v10, v27, v10
	v_sub_nc_u32_e32 v12, v27, v12
	s_delay_alu instid0(VALU_DEP_2) | instskip(NEXT) | instid1(VALU_DEP_1)
	v_ashrrev_i32_e32 v10, 8, v10
	v_lshl_add_u32 v10, v10, 3, v12
	s_delay_alu instid0(VALU_DEP_1) | instskip(NEXT) | instid1(VALU_DEP_1)
	v_cmp_ne_u32_e64 s0, 7, v10
	v_cndmask_b32_e64 v3, 0xff800000, v3, s0
	v_cmp_ne_u32_e64 s0, 6, v10
	s_delay_alu instid0(VALU_DEP_1) | instskip(SKIP_1) | instid1(VALU_DEP_1)
	v_cndmask_b32_e64 v2, 0xff800000, v2, s0
	v_cmp_ne_u32_e64 s0, 5, v10
	v_cndmask_b32_e64 v1, 0xff800000, v1, s0
	v_cmp_ne_u32_e64 s0, 4, v10
	s_delay_alu instid0(VALU_DEP_1) | instskip(SKIP_1) | instid1(VALU_DEP_1)
	v_cndmask_b32_e64 v0, 0xff800000, v0, s0
	;; [unrolled: 5-line block ×3, first 2 shown]
	v_cmp_ne_u32_e64 s0, 1, v10
	v_cndmask_b32_e64 v5, 0xff800000, v5, s0
	v_cmp_ne_u32_e64 s0, 0, v10
	s_delay_alu instid0(VALU_DEP_1)
	v_cndmask_b32_e64 v4, 0xff800000, v4, s0
.LBB90_11:
	s_or_b32 exec_lo, exec_lo, s1
	s_cmp_eq_u32 s4, 1
	s_cbranch_scc1 .LBB90_18
; %bb.12:
	v_add_nc_u32_e32 v12, s16, v8
	v_add_nc_u32_e32 v8, 1, v13
	;; [unrolled: 1-line block ×3, first 2 shown]
	s_add_i32 s14, s4, -1
	s_mov_b32 s15, 0x76543210
	v_add3_u32 v26, v12, v26, s18
	v_add_nc_u32_e32 v12, 1, v9
	s_branch .LBB90_14
.LBB90_13:                              ;   in Loop: Header=BB90_14 Depth=1
	s_or_b32 exec_lo, exec_lo, s1
	v_add_nc_u32_e32 v26, s16, v26
	v_add_nc_u32_e32 v8, 1, v8
	;; [unrolled: 1-line block ×4, first 2 shown]
	s_add_i32 s14, s14, -1
	s_delay_alu instid0(SALU_CYCLE_1)
	s_cmp_eq_u32 s14, 0
	s_cbranch_scc1 .LBB90_18
.LBB90_14:                              ; =>This Inner Loop Header: Depth=1
	v_cmp_gt_f32_e64 s0, v5, v4
	s_delay_alu instid0(VALU_DEP_1) | instskip(SKIP_1) | instid1(VALU_DEP_2)
	v_cndmask_b32_e64 v11, v4, v5, s0
	v_cndmask_b32_e64 v9, v18, v19, s0
	v_cmp_gt_f32_e64 s0, v6, v11
	s_delay_alu instid0(VALU_DEP_1) | instskip(NEXT) | instid1(VALU_DEP_3)
	v_cndmask_b32_e64 v11, v11, v6, s0
	v_cndmask_b32_e64 v9, v9, v20, s0
	s_delay_alu instid0(VALU_DEP_2) | instskip(NEXT) | instid1(VALU_DEP_1)
	v_cmp_gt_f32_e64 s0, v7, v11
	v_cndmask_b32_e64 v11, v11, v7, s0
	s_delay_alu instid0(VALU_DEP_3) | instskip(NEXT) | instid1(VALU_DEP_2)
	v_cndmask_b32_e64 v9, v9, v21, s0
	v_cmp_gt_f32_e64 s0, v0, v11
	s_delay_alu instid0(VALU_DEP_1) | instskip(NEXT) | instid1(VALU_DEP_3)
	v_cndmask_b32_e64 v11, v11, v0, s0
	v_cndmask_b32_e64 v9, v9, v22, s0
	s_delay_alu instid0(VALU_DEP_2) | instskip(NEXT) | instid1(VALU_DEP_1)
	v_cmp_gt_f32_e64 s0, v1, v11
	v_cndmask_b32_e64 v11, v11, v1, s0
	s_delay_alu instid0(VALU_DEP_3) | instskip(NEXT) | instid1(VALU_DEP_2)
	v_cndmask_b32_e64 v9, v9, v23, s0
	v_cmp_gt_f32_e64 s0, v2, v11
	s_delay_alu instid0(VALU_DEP_1) | instskip(NEXT) | instid1(VALU_DEP_3)
	v_cndmask_b32_e64 v11, v11, v2, s0
	v_cndmask_b32_e64 v9, v9, v24, s0
	s_delay_alu instid0(VALU_DEP_2) | instskip(NEXT) | instid1(VALU_DEP_1)
	v_cmp_gt_f32_e64 s0, v3, v11
	v_cndmask_b32_e64 v9, v9, v25, s0
	v_cndmask_b32_e64 v11, v11, v3, s0
	s_delay_alu instid0(VALU_DEP_2) | instskip(NEXT) | instid1(VALU_DEP_2)
	v_mov_b32_dpp v13, v9 quad_perm:[1,0,3,2] row_mask:0xf bank_mask:0xf
	v_mov_b32_dpp v27, v11 quad_perm:[1,0,3,2] row_mask:0xf bank_mask:0xf
	s_delay_alu instid0(VALU_DEP_2) | instskip(NEXT) | instid1(VALU_DEP_2)
	v_cmp_lt_i32_e64 s0, v13, v9
	v_cmp_eq_f32_e64 s1, v11, v27
	v_cmp_lt_f32_e64 s2, v11, v27
	s_delay_alu instid0(VALU_DEP_2)
	s_and_b32 s0, s1, s0
	s_delay_alu instid0(VALU_DEP_1) | instid1(SALU_CYCLE_1)
	s_or_b32 s0, s2, s0
	s_delay_alu instid0(SALU_CYCLE_1) | instskip(SKIP_1) | instid1(VALU_DEP_2)
	v_cndmask_b32_e64 v11, v11, v27, s0
	v_cndmask_b32_e64 v9, v9, v13, s0
	v_mov_b32_dpp v13, v11 quad_perm:[2,3,0,1] row_mask:0xf bank_mask:0xf
	s_delay_alu instid0(VALU_DEP_2) | instskip(NEXT) | instid1(VALU_DEP_2)
	v_mov_b32_dpp v27, v9 quad_perm:[2,3,0,1] row_mask:0xf bank_mask:0xf
	v_cmp_eq_f32_e64 s0, v11, v13
	s_delay_alu instid0(VALU_DEP_2) | instskip(SKIP_1) | instid1(VALU_DEP_2)
	v_cmp_lt_i32_e64 s1, v27, v9
	v_cmp_lt_f32_e64 s2, v11, v13
	s_and_b32 s0, s0, s1
	s_delay_alu instid0(VALU_DEP_1) | instid1(SALU_CYCLE_1)
	s_or_b32 s0, s2, s0
	s_delay_alu instid0(SALU_CYCLE_1) | instskip(SKIP_1) | instid1(VALU_DEP_2)
	v_cndmask_b32_e64 v11, v11, v13, s0
	v_cndmask_b32_e64 v9, v9, v27, s0
	v_mov_b32_dpp v13, v11 row_xmask:7 row_mask:0xf bank_mask:0xf
	s_delay_alu instid0(VALU_DEP_2) | instskip(NEXT) | instid1(VALU_DEP_2)
	v_mov_b32_dpp v27, v9 row_xmask:7 row_mask:0xf bank_mask:0xf
	v_cmp_eq_f32_e64 s0, v11, v13
	s_delay_alu instid0(VALU_DEP_2) | instskip(SKIP_1) | instid1(VALU_DEP_2)
	v_cmp_lt_i32_e64 s1, v27, v9
	v_cmp_lt_f32_e64 s2, v11, v13
	s_and_b32 s0, s0, s1
	s_delay_alu instid0(VALU_DEP_1) | instid1(SALU_CYCLE_1)
	s_or_b32 s0, s2, s0
	s_delay_alu instid0(SALU_CYCLE_1) | instskip(SKIP_1) | instid1(VALU_DEP_2)
	v_cndmask_b32_e64 v11, v11, v13, s0
	v_cndmask_b32_e64 v13, v9, v27, s0
	v_mov_b32_dpp v9, v11 row_xmask:15 row_mask:0xf bank_mask:0xf
	s_delay_alu instid0(VALU_DEP_2) | instskip(NEXT) | instid1(VALU_DEP_2)
	v_mov_b32_dpp v27, v13 row_xmask:15 row_mask:0xf bank_mask:0xf
	v_cmp_eq_f32_e64 s0, v11, v9
	s_delay_alu instid0(VALU_DEP_2) | instskip(SKIP_1) | instid1(VALU_DEP_2)
	v_cmp_lt_i32_e64 s1, v27, v13
	v_cmp_lt_f32_e64 s2, v11, v9
	s_and_b32 s0, s0, s1
	s_delay_alu instid0(VALU_DEP_1) | instid1(SALU_CYCLE_1)
	s_or_b32 s0, s2, s0
	s_delay_alu instid0(SALU_CYCLE_1) | instskip(SKIP_1) | instid1(VALU_DEP_2)
	v_cndmask_b32_e64 v9, v11, v9, s0
	v_cndmask_b32_e64 v13, v13, v27, s0
	v_permlanex16_b32 v11, v9, s15, 0xfedcba98 op_sel:[1,1]
	s_delay_alu instid0(VALU_DEP_2) | instskip(NEXT) | instid1(VALU_DEP_2)
	v_permlanex16_b32 v27, v13, s15, 0xfedcba98 op_sel:[1,1]
	v_cmp_eq_f32_e64 s0, v9, v11
	s_delay_alu instid0(VALU_DEP_2) | instskip(SKIP_1) | instid1(VALU_DEP_2)
	v_cmp_lt_i32_e64 s1, v27, v13
	v_cmp_lt_f32_e64 s2, v9, v11
	s_and_b32 s0, s0, s1
	s_delay_alu instid0(VALU_DEP_1) | instid1(SALU_CYCLE_1)
	s_or_b32 s0, s2, s0
	s_delay_alu instid0(SALU_CYCLE_1)
	v_cndmask_b32_e64 v27, v13, v27, s0
	s_and_saveexec_b32 s2, vcc_lo
	s_cbranch_execz .LBB90_16
; %bb.15:                               ;   in Loop: Header=BB90_14 Depth=1
	v_cndmask_b32_e64 v9, v9, v11, s0
	s_delay_alu instid0(VALU_DEP_2) | instskip(SKIP_4) | instid1(VALU_DEP_4)
	v_cmp_le_i32_e64 s0, s5, v27
	v_cmp_gt_i32_e64 s1, s6, v27
	v_ashrrev_i32_e32 v13, 31, v12
	v_subrev_nc_u32_e32 v35, s5, v27
	v_sub_f32_e32 v34, v9, v17
	s_and_b32 s0, s0, s1
	s_delay_alu instid0(SALU_CYCLE_1) | instskip(NEXT) | instid1(VALU_DEP_1)
	s_and_b32 s0, s17, s0
	v_mul_f32_e32 v9, 0x3fb8aa3b, v34
	s_delay_alu instid0(VALU_DEP_1) | instskip(SKIP_1) | instid1(VALU_DEP_2)
	v_fma_f32 v11, 0x3fb8aa3b, v34, -v9
	v_rndne_f32_e32 v28, v9
	v_fmac_f32_e32 v11, 0x32a5705f, v34
	s_delay_alu instid0(VALU_DEP_2) | instskip(SKIP_2) | instid1(VALU_DEP_3)
	v_sub_f32_e32 v9, v9, v28
	v_cvt_i32_f32_e32 v33, v28
	v_lshlrev_b64 v[28:29], 2, v[12:13]
	v_add_f32_e32 v9, v9, v11
	v_ashrrev_i32_e32 v11, 31, v10
	s_delay_alu instid0(VALU_DEP_2) | instskip(SKIP_1) | instid1(VALU_DEP_2)
	v_exp_f32_e32 v32, v9
	v_ashrrev_i32_e32 v9, 31, v8
	v_lshlrev_b64 v[30:31], 2, v[10:11]
	s_waitcnt_depctr 0xfff
	v_ldexp_f32 v11, v32, v33
	v_lshlrev_b64 v[32:33], 2, v[8:9]
	v_cndmask_b32_e64 v9, 0x100, v35, s0
	v_cmp_ngt_f32_e64 s0, 0xc2ce8ed0, v34
	s_delay_alu instid0(VALU_DEP_1) | instskip(SKIP_1) | instid1(VALU_DEP_1)
	v_cndmask_b32_e64 v11, 0, v11, s0
	v_add_co_u32 v28, s0, s12, v28
	v_add_co_ci_u32_e64 v29, s0, s13, v29, s0
	v_cmp_nlt_f32_e64 s0, 0x42b17218, v34
	s_delay_alu instid0(VALU_DEP_1) | instskip(SKIP_2) | instid1(VALU_DEP_1)
	v_cndmask_b32_e64 v11, 0x7f800000, v11, s0
	s_waitcnt lgkmcnt(0)
	v_add_co_u32 v30, s0, s8, v30
	v_add_co_ci_u32_e64 v31, s0, s9, v31, s0
	s_delay_alu instid0(VALU_DEP_3) | instskip(SKIP_1) | instid1(VALU_DEP_1)
	v_add_f32_e32 v14, v14, v11
	v_add_co_u32 v32, s0, s10, v32
	v_add_co_ci_u32_e64 v33, s0, s11, v33, s0
	global_store_b32 v[28:29], v11, off
	global_store_b32 v[30:31], v9, off
	;; [unrolled: 1-line block ×3, first 2 shown]
.LBB90_16:                              ;   in Loop: Header=BB90_14 Depth=1
	s_or_b32 exec_lo, exec_lo, s2
	s_delay_alu instid0(VALU_DEP_1) | instskip(SKIP_1) | instid1(VALU_DEP_1)
	v_ashrrev_i32_e32 v9, 31, v27
	s_mov_b32 s1, exec_lo
	v_lshrrev_b32_e32 v11, 29, v9
	s_delay_alu instid0(VALU_DEP_1) | instskip(NEXT) | instid1(VALU_DEP_1)
	v_add_nc_u32_e32 v11, v27, v11
	v_ashrrev_i32_e32 v13, 31, v11
	v_ashrrev_i32_e32 v11, 3, v11
	s_delay_alu instid0(VALU_DEP_2) | instskip(NEXT) | instid1(VALU_DEP_1)
	v_lshrrev_b32_e32 v13, 27, v13
	v_add_nc_u32_e32 v13, v11, v13
	s_delay_alu instid0(VALU_DEP_1) | instskip(NEXT) | instid1(VALU_DEP_1)
	v_and_b32_e32 v13, 0xffffffe0, v13
	v_sub_nc_u32_e32 v13, v11, v13
	s_delay_alu instid0(VALU_DEP_1)
	v_cmpx_eq_u32_e64 v16, v13
	s_cbranch_execz .LBB90_13
; %bb.17:                               ;   in Loop: Header=BB90_14 Depth=1
	v_lshrrev_b32_e32 v9, 24, v9
	v_lshlrev_b32_e32 v11, 3, v11
	s_delay_alu instid0(VALU_DEP_2) | instskip(NEXT) | instid1(VALU_DEP_2)
	v_add_nc_u32_e32 v9, v27, v9
	v_sub_nc_u32_e32 v11, v27, v11
	s_delay_alu instid0(VALU_DEP_2) | instskip(NEXT) | instid1(VALU_DEP_1)
	v_ashrrev_i32_e32 v9, 8, v9
	v_lshl_add_u32 v9, v9, 3, v11
	s_delay_alu instid0(VALU_DEP_1) | instskip(NEXT) | instid1(VALU_DEP_1)
	v_cmp_ne_u32_e64 s0, 7, v9
	v_cndmask_b32_e64 v3, 0xff800000, v3, s0
	v_cmp_ne_u32_e64 s0, 6, v9
	s_delay_alu instid0(VALU_DEP_1) | instskip(SKIP_1) | instid1(VALU_DEP_1)
	v_cndmask_b32_e64 v2, 0xff800000, v2, s0
	v_cmp_ne_u32_e64 s0, 5, v9
	v_cndmask_b32_e64 v1, 0xff800000, v1, s0
	v_cmp_ne_u32_e64 s0, 4, v9
	s_delay_alu instid0(VALU_DEP_1) | instskip(SKIP_1) | instid1(VALU_DEP_1)
	v_cndmask_b32_e64 v0, 0xff800000, v0, s0
	;; [unrolled: 5-line block ×3, first 2 shown]
	v_cmp_ne_u32_e64 s0, 1, v9
	v_cndmask_b32_e64 v5, 0xff800000, v5, s0
	v_cmp_ne_u32_e64 s0, 0, v9
	s_delay_alu instid0(VALU_DEP_1)
	v_cndmask_b32_e64 v4, 0xff800000, v4, s0
	s_branch .LBB90_13
.LBB90_18:
	s_delay_alu instid0(VALU_DEP_1)
	v_sub_f32_e32 v7, v7, v17
	v_sub_f32_e32 v4, v4, v17
	;; [unrolled: 1-line block ×5, first 2 shown]
	v_mul_f32_e32 v11, 0x3fb8aa3b, v7
	v_dual_sub_f32 v5, v5, v17 :: v_dual_mul_f32 v8, 0x3fb8aa3b, v4
	v_cmp_ngt_f32_e32 vcc_lo, 0xc2ce8ed0, v4
	v_sub_f32_e32 v3, v3, v17
	s_delay_alu instid0(VALU_DEP_4) | instskip(NEXT) | instid1(VALU_DEP_4)
	v_rndne_f32_e32 v23, v11
	v_fma_f32 v12, 0x3fb8aa3b, v4, -v8
	v_rndne_f32_e32 v13, v8
	s_delay_alu instid0(VALU_DEP_2) | instskip(NEXT) | instid1(VALU_DEP_2)
	v_fmac_f32_e32 v12, 0x32a5705f, v4
	v_sub_f32_e32 v8, v8, v13
	s_delay_alu instid0(VALU_DEP_1) | instskip(NEXT) | instid1(VALU_DEP_1)
	v_dual_mul_f32 v9, 0x3fb8aa3b, v5 :: v_dual_add_f32 v8, v8, v12
	v_rndne_f32_e32 v19, v9
	v_sub_f32_e32 v6, v6, v17
	v_fma_f32 v18, 0x3fb8aa3b, v5, -v9
	v_cvt_i32_f32_e32 v12, v13
	v_exp_f32_e32 v8, v8
	s_delay_alu instid0(VALU_DEP_3) | instskip(SKIP_3) | instid1(VALU_DEP_4)
	v_dual_sub_f32 v9, v9, v19 :: v_dual_mul_f32 v10, 0x3fb8aa3b, v6
	v_fma_f32 v22, 0x3fb8aa3b, v7, -v11
	v_sub_f32_e32 v11, v11, v23
	v_cvt_i32_f32_e32 v13, v19
	v_fma_f32 v20, 0x3fb8aa3b, v6, -v10
	s_delay_alu instid0(VALU_DEP_4) | instskip(SKIP_1) | instid1(TRANS32_DEP_1)
	v_fmac_f32_e32 v22, 0x32a5705f, v7
	v_fmac_f32_e32 v18, 0x32a5705f, v5
	v_ldexp_f32 v8, v8, v12
	v_rndne_f32_e32 v21, v10
	s_delay_alu instid0(VALU_DEP_4) | instskip(NEXT) | instid1(VALU_DEP_3)
	v_add_f32_e32 v11, v11, v22
	v_dual_add_f32 v9, v9, v18 :: v_dual_cndmask_b32 v8, 0, v8
	v_cmp_ngt_f32_e32 vcc_lo, 0xc2ce8ed0, v5
	s_delay_alu instid0(VALU_DEP_4) | instskip(SKIP_1) | instid1(VALU_DEP_4)
	v_sub_f32_e32 v10, v10, v21
	v_cvt_i32_f32_e32 v12, v21
	v_exp_f32_e32 v9, v9
	v_exp_f32_e32 v11, v11
	s_waitcnt_depctr 0xfff
	v_ldexp_f32 v9, v9, v13
	v_fmac_f32_e32 v20, 0x32a5705f, v6
	v_mul_f32_e32 v13, 0x3fb8aa3b, v3
	s_delay_alu instid0(VALU_DEP_3) | instskip(SKIP_1) | instid1(VALU_DEP_3)
	v_cndmask_b32_e32 v9, 0, v9, vcc_lo
	v_cmp_nlt_f32_e32 vcc_lo, 0x42b17218, v4
	v_rndne_f32_e32 v17, v13
	v_cndmask_b32_e32 v4, 0x7f800000, v8, vcc_lo
	v_cmp_nlt_f32_e32 vcc_lo, 0x42b17218, v5
	v_dual_add_f32 v10, v10, v20 :: v_dual_cndmask_b32 v5, 0x7f800000, v9
	s_delay_alu instid0(VALU_DEP_1) | instskip(SKIP_2) | instid1(VALU_DEP_3)
	v_exp_f32_e32 v10, v10
	v_cmp_ngt_f32_e32 vcc_lo, 0xc2ce8ed0, v6
	v_cvt_i32_f32_e32 v9, v23
	v_add_f32_e32 v4, v4, v5
	s_waitcnt_depctr 0xfff
	v_ldexp_f32 v10, v10, v12
	s_delay_alu instid0(VALU_DEP_1) | instskip(SKIP_2) | instid1(VALU_DEP_3)
	v_cndmask_b32_e32 v8, 0, v10, vcc_lo
	v_cmp_nlt_f32_e32 vcc_lo, 0x42b17218, v6
	v_mul_f32_e32 v10, 0x3fb8aa3b, v2
	v_cndmask_b32_e32 v5, 0x7f800000, v8, vcc_lo
	v_ldexp_f32 v8, v11, v9
	v_cmp_ngt_f32_e32 vcc_lo, 0xc2ce8ed0, v7
	s_delay_alu instid0(VALU_DEP_4)
	v_fma_f32 v11, 0x3fb8aa3b, v2, -v10
	v_rndne_f32_e32 v12, v10
	v_add_f32_e32 v4, v4, v5
	v_cndmask_b32_e32 v8, 0, v8, vcc_lo
	v_cmp_nlt_f32_e32 vcc_lo, 0x42b17218, v7
	v_fmac_f32_e32 v11, 0x32a5705f, v2
	s_delay_alu instid0(VALU_DEP_3) | instskip(SKIP_3) | instid1(VALU_DEP_4)
	v_cndmask_b32_e32 v7, 0x7f800000, v8, vcc_lo
	v_mul_f32_e32 v6, 0x3fb8aa3b, v0
	v_mul_f32_e32 v8, 0x3fb8aa3b, v1
	v_cmp_ngt_f32_e32 vcc_lo, 0xc2ce8ed0, v0
	v_add_f32_e32 v4, v4, v7
	s_delay_alu instid0(VALU_DEP_4) | instskip(SKIP_2) | instid1(VALU_DEP_2)
	v_fma_f32 v5, 0x3fb8aa3b, v0, -v6
	v_rndne_f32_e32 v9, v6
	v_rndne_f32_e32 v7, v8
	v_dual_fmac_f32 v5, 0x32a5705f, v0 :: v_dual_sub_f32 v6, v6, v9
	v_cvt_i32_f32_e32 v9, v9
	s_delay_alu instid0(VALU_DEP_2) | instskip(SKIP_3) | instid1(VALU_DEP_4)
	v_add_f32_e32 v5, v6, v5
	v_fma_f32 v6, 0x3fb8aa3b, v1, -v8
	v_sub_f32_e32 v8, v8, v7
	v_cvt_i32_f32_e32 v7, v7
	v_exp_f32_e32 v5, v5
	s_delay_alu instid0(VALU_DEP_3) | instskip(NEXT) | instid1(VALU_DEP_1)
	v_fmac_f32_e32 v6, 0x32a5705f, v1
	v_add_f32_e32 v6, v8, v6
	v_sub_f32_e32 v8, v10, v12
	v_fma_f32 v10, 0x3fb8aa3b, v3, -v13
	s_waitcnt_depctr 0xfff
	v_ldexp_f32 v5, v5, v9
	v_exp_f32_e32 v6, v6
	v_add_f32_e32 v8, v8, v11
	v_dual_fmac_f32 v10, 0x32a5705f, v3 :: v_dual_sub_f32 v9, v13, v17
	s_delay_alu instid0(VALU_DEP_3) | instskip(SKIP_1) | instid1(VALU_DEP_4)
	v_cndmask_b32_e32 v5, 0, v5, vcc_lo
	v_cmp_nlt_f32_e32 vcc_lo, 0x42b17218, v0
	v_exp_f32_e32 v8, v8
	s_delay_alu instid0(VALU_DEP_3) | instskip(NEXT) | instid1(TRANS32_DEP_2)
	v_add_f32_e32 v9, v9, v10
	v_ldexp_f32 v6, v6, v7
	v_cndmask_b32_e32 v0, 0x7f800000, v5, vcc_lo
	v_cmp_ngt_f32_e32 vcc_lo, 0xc2ce8ed0, v1
	v_cvt_i32_f32_e32 v5, v12
	v_exp_f32_e32 v7, v9
	s_delay_alu instid0(VALU_DEP_3) | instskip(SKIP_4) | instid1(VALU_DEP_4)
	v_add_f32_e32 v0, v4, v0
	v_cndmask_b32_e32 v6, 0, v6, vcc_lo
	v_cmp_nlt_f32_e32 vcc_lo, 0x42b17218, v1
	v_ldexp_f32 v4, v8, v5
	v_cvt_i32_f32_e32 v5, v17
	v_cndmask_b32_e32 v1, 0x7f800000, v6, vcc_lo
	v_cmp_ngt_f32_e32 vcc_lo, 0xc2ce8ed0, v2
	s_delay_alu instid0(TRANS32_DEP_1) | instid1(VALU_DEP_3)
	v_ldexp_f32 v5, v7, v5
	s_delay_alu instid0(VALU_DEP_3) | instskip(SKIP_2) | instid1(VALU_DEP_2)
	v_add_f32_e32 v0, v0, v1
	v_cndmask_b32_e32 v4, 0, v4, vcc_lo
	v_cmp_nlt_f32_e32 vcc_lo, 0x42b17218, v2
	v_cndmask_b32_e32 v1, 0x7f800000, v4, vcc_lo
	v_cmp_ngt_f32_e32 vcc_lo, 0xc2ce8ed0, v3
	s_delay_alu instid0(VALU_DEP_2) | instskip(SKIP_2) | instid1(VALU_DEP_2)
	v_add_f32_e32 v0, v0, v1
	v_cndmask_b32_e32 v2, 0, v5, vcc_lo
	v_cmp_nlt_f32_e32 vcc_lo, 0x42b17218, v3
	v_cndmask_b32_e32 v1, 0x7f800000, v2, vcc_lo
	v_cmp_eq_u32_e32 vcc_lo, 0, v16
	s_delay_alu instid0(VALU_DEP_2) | instskip(NEXT) | instid1(VALU_DEP_1)
	v_add_f32_e32 v0, v0, v1
	v_mov_b32_dpp v1, v0 quad_perm:[1,0,3,2] row_mask:0xf bank_mask:0xf
	s_delay_alu instid0(VALU_DEP_1) | instskip(NEXT) | instid1(VALU_DEP_1)
	v_add_f32_e32 v0, v0, v1
	v_mov_b32_dpp v1, v0 quad_perm:[2,3,0,1] row_mask:0xf bank_mask:0xf
	s_delay_alu instid0(VALU_DEP_1) | instskip(NEXT) | instid1(VALU_DEP_1)
	v_add_f32_e32 v0, v0, v1
	v_mov_b32_dpp v1, v0 row_xmask:7 row_mask:0xf bank_mask:0xf
	s_delay_alu instid0(VALU_DEP_1) | instskip(NEXT) | instid1(VALU_DEP_1)
	v_add_f32_e32 v0, v0, v1
	v_mov_b32_dpp v1, v0 row_xmask:15 row_mask:0xf bank_mask:0xf
	s_and_b32 exec_lo, exec_lo, vcc_lo
	s_cbranch_execz .LBB90_23
; %bb.19:
	s_delay_alu instid0(VALU_DEP_1)
	v_add_f32_e32 v0, v0, v1
	s_mov_b32 s0, 0x76543210
	s_delay_alu instid0(VALU_DEP_1) | instid1(SALU_CYCLE_1)
	v_permlanex16_b32 v1, v0, s0, 0xfedcba98 op_sel:[1,1]
	s_delay_alu instid0(VALU_DEP_1) | instskip(NEXT) | instid1(VALU_DEP_1)
	v_add_f32_e32 v0, v0, v1
	v_add_f32_e32 v0, v14, v0
	s_delay_alu instid0(VALU_DEP_1)
	v_cmp_neq_f32_e32 vcc_lo, 0, v0
	s_and_b32 exec_lo, exec_lo, vcc_lo
	s_cbranch_execz .LBB90_23
; %bb.20:
	s_and_not1_b32 vcc_lo, exec_lo, s3
	s_cbranch_vccnz .LBB90_23
; %bb.21:
	v_div_scale_f32 v2, null, v0, v0, 1.0
	v_div_scale_f32 v4, vcc_lo, 1.0, v0, 1.0
	s_delay_alu instid0(VALU_DEP_2) | instskip(SKIP_2) | instid1(VALU_DEP_1)
	v_rcp_f32_e32 v3, v2
	s_waitcnt_depctr 0xfff
	v_fma_f32 v1, -v2, v3, 1.0
	v_fmac_f32_e32 v3, v1, v3
	v_mul_lo_u32 v1, v15, s7
	s_delay_alu instid0(VALU_DEP_2) | instskip(NEXT) | instid1(VALU_DEP_1)
	v_mul_f32_e32 v5, v4, v3
	v_fma_f32 v6, -v2, v5, v4
	s_delay_alu instid0(VALU_DEP_1) | instskip(NEXT) | instid1(VALU_DEP_1)
	v_fmac_f32_e32 v5, v6, v3
	v_fma_f32 v4, -v2, v5, v4
	v_ashrrev_i32_e32 v2, 31, v1
	s_delay_alu instid0(VALU_DEP_2) | instskip(NEXT) | instid1(VALU_DEP_2)
	v_div_fmas_f32 v5, v4, v3, v5
	v_lshlrev_b64 v[3:4], 2, v[1:2]
	s_delay_alu instid0(VALU_DEP_2) | instskip(NEXT) | instid1(VALU_DEP_2)
	v_div_fixup_f32 v2, v5, v0, 1.0
	v_add_co_u32 v0, vcc_lo, s12, v3
	s_delay_alu instid0(VALU_DEP_3)
	v_add_co_ci_u32_e32 v1, vcc_lo, s13, v4, vcc_lo
.LBB90_22:                              ; =>This Inner Loop Header: Depth=1
	global_load_b32 v3, v[0:1], off
	s_add_i32 s4, s4, -1
	s_delay_alu instid0(SALU_CYCLE_1)
	s_cmp_lg_u32 s4, 0
	s_waitcnt vmcnt(0)
	v_mul_f32_e32 v3, v2, v3
	global_store_b32 v[0:1], v3, off
	v_add_co_u32 v0, vcc_lo, v0, 4
	v_add_co_ci_u32_e32 v1, vcc_lo, 0, v1, vcc_lo
	s_cbranch_scc1 .LBB90_22
.LBB90_23:
	s_nop 0
	s_sendmsg sendmsg(MSG_DEALLOC_VGPRS)
	s_endpgm
	.section	.rodata,"a",@progbits
	.p2align	6, 0x0
	.amdhsa_kernel _ZN4vllm3moe17topkGatingSoftmaxIfLi8ELi256ELi8ELi32ELb0ELi8ELNS0_23SharedExpertScoringFuncE1EEEvPKT_PKbPfiPiS9_iiiiii
		.amdhsa_group_segment_fixed_size 0
		.amdhsa_private_segment_fixed_size 0
		.amdhsa_kernarg_size 72
		.amdhsa_user_sgpr_count 15
		.amdhsa_user_sgpr_dispatch_ptr 0
		.amdhsa_user_sgpr_queue_ptr 0
		.amdhsa_user_sgpr_kernarg_segment_ptr 1
		.amdhsa_user_sgpr_dispatch_id 0
		.amdhsa_user_sgpr_private_segment_size 0
		.amdhsa_wavefront_size32 1
		.amdhsa_uses_dynamic_stack 0
		.amdhsa_enable_private_segment 0
		.amdhsa_system_sgpr_workgroup_id_x 1
		.amdhsa_system_sgpr_workgroup_id_y 0
		.amdhsa_system_sgpr_workgroup_id_z 0
		.amdhsa_system_sgpr_workgroup_info 0
		.amdhsa_system_vgpr_workitem_id 1
		.amdhsa_next_free_vgpr 37
		.amdhsa_next_free_sgpr 19
		.amdhsa_reserve_vcc 1
		.amdhsa_float_round_mode_32 0
		.amdhsa_float_round_mode_16_64 0
		.amdhsa_float_denorm_mode_32 3
		.amdhsa_float_denorm_mode_16_64 3
		.amdhsa_dx10_clamp 1
		.amdhsa_ieee_mode 1
		.amdhsa_fp16_overflow 0
		.amdhsa_workgroup_processor_mode 1
		.amdhsa_memory_ordered 1
		.amdhsa_forward_progress 0
		.amdhsa_shared_vgpr_count 0
		.amdhsa_exception_fp_ieee_invalid_op 0
		.amdhsa_exception_fp_denorm_src 0
		.amdhsa_exception_fp_ieee_div_zero 0
		.amdhsa_exception_fp_ieee_overflow 0
		.amdhsa_exception_fp_ieee_underflow 0
		.amdhsa_exception_fp_ieee_inexact 0
		.amdhsa_exception_int_div_zero 0
	.end_amdhsa_kernel
	.section	.text._ZN4vllm3moe17topkGatingSoftmaxIfLi8ELi256ELi8ELi32ELb0ELi8ELNS0_23SharedExpertScoringFuncE1EEEvPKT_PKbPfiPiS9_iiiiii,"axG",@progbits,_ZN4vllm3moe17topkGatingSoftmaxIfLi8ELi256ELi8ELi32ELb0ELi8ELNS0_23SharedExpertScoringFuncE1EEEvPKT_PKbPfiPiS9_iiiiii,comdat
.Lfunc_end90:
	.size	_ZN4vllm3moe17topkGatingSoftmaxIfLi8ELi256ELi8ELi32ELb0ELi8ELNS0_23SharedExpertScoringFuncE1EEEvPKT_PKbPfiPiS9_iiiiii, .Lfunc_end90-_ZN4vllm3moe17topkGatingSoftmaxIfLi8ELi256ELi8ELi32ELb0ELi8ELNS0_23SharedExpertScoringFuncE1EEEvPKT_PKbPfiPiS9_iiiiii
                                        ; -- End function
	.section	.AMDGPU.csdata,"",@progbits
; Kernel info:
; codeLenInByte = 4212
; NumSgprs: 21
; NumVgprs: 37
; ScratchSize: 0
; MemoryBound: 0
; FloatMode: 240
; IeeeMode: 1
; LDSByteSize: 0 bytes/workgroup (compile time only)
; SGPRBlocks: 2
; VGPRBlocks: 4
; NumSGPRsForWavesPerEU: 21
; NumVGPRsForWavesPerEU: 37
; Occupancy: 16
; WaveLimiterHint : 0
; COMPUTE_PGM_RSRC2:SCRATCH_EN: 0
; COMPUTE_PGM_RSRC2:USER_SGPR: 15
; COMPUTE_PGM_RSRC2:TRAP_HANDLER: 0
; COMPUTE_PGM_RSRC2:TGID_X_EN: 1
; COMPUTE_PGM_RSRC2:TGID_Y_EN: 0
; COMPUTE_PGM_RSRC2:TGID_Z_EN: 0
; COMPUTE_PGM_RSRC2:TIDIG_COMP_CNT: 1
	.section	.text._ZN4vllm3moe17topkGatingSoftmaxIfLi16ELi512ELi2ELi64ELb1ELi0ELNS0_23SharedExpertScoringFuncE0EEEvPKT_PKbPfiPiS9_iiiiii,"axG",@progbits,_ZN4vllm3moe17topkGatingSoftmaxIfLi16ELi512ELi2ELi64ELb1ELi0ELNS0_23SharedExpertScoringFuncE0EEEvPKT_PKbPfiPiS9_iiiiii,comdat
	.protected	_ZN4vllm3moe17topkGatingSoftmaxIfLi16ELi512ELi2ELi64ELb1ELi0ELNS0_23SharedExpertScoringFuncE0EEEvPKT_PKbPfiPiS9_iiiiii ; -- Begin function _ZN4vllm3moe17topkGatingSoftmaxIfLi16ELi512ELi2ELi64ELb1ELi0ELNS0_23SharedExpertScoringFuncE0EEEvPKT_PKbPfiPiS9_iiiiii
	.globl	_ZN4vllm3moe17topkGatingSoftmaxIfLi16ELi512ELi2ELi64ELb1ELi0ELNS0_23SharedExpertScoringFuncE0EEEvPKT_PKbPfiPiS9_iiiiii
	.p2align	8
	.type	_ZN4vllm3moe17topkGatingSoftmaxIfLi16ELi512ELi2ELi64ELb1ELi0ELNS0_23SharedExpertScoringFuncE0EEEvPKT_PKbPfiPiS9_iiiiii,@function
_ZN4vllm3moe17topkGatingSoftmaxIfLi16ELi512ELi2ELi64ELb1ELi0ELNS0_23SharedExpertScoringFuncE0EEEvPKT_PKbPfiPiS9_iiiiii: ; @_ZN4vllm3moe17topkGatingSoftmaxIfLi16ELi512ELi2ELi64ELb1ELi0ELNS0_23SharedExpertScoringFuncE0EEEvPKT_PKbPfiPiS9_iiiiii
; %bb.0:
	s_load_b32 s16, s[0:1], 0x18
	v_and_b32_e32 v1, 0x3ff, v0
	v_bfe_u32 v16, v0, 10, 10
	s_lshl_b32 s18, s15, 1
	s_mov_b32 s2, exec_lo
	s_delay_alu instid0(VALU_DEP_2) | instskip(NEXT) | instid1(VALU_DEP_1)
	v_lshrrev_b32_e32 v42, 5, v1
	v_add3_u32 v23, s18, v16, v42
	s_waitcnt lgkmcnt(0)
	s_delay_alu instid0(VALU_DEP_1)
	v_cmpx_gt_i32_e64 s16, v23
	s_cbranch_execz .LBB91_20
; %bb.1:
	s_clause 0x1
	s_load_b128 s[4:7], s[0:1], 0x0
	s_load_b64 s[12:13], s[0:1], 0x10
	s_waitcnt lgkmcnt(0)
	s_cmp_eq_u64 s[6:7], 0
	s_cbranch_scc1 .LBB91_3
; %bb.2:
	v_ashrrev_i32_e32 v0, 31, v23
	v_add_co_u32 v2, vcc_lo, s6, v23
	s_delay_alu instid0(VALU_DEP_2) | instskip(SKIP_3) | instid1(VALU_DEP_1)
	v_add_co_ci_u32_e32 v3, vcc_lo, s7, v0, vcc_lo
	global_load_u8 v0, v[2:3], off
	s_waitcnt vmcnt(0)
	v_and_b32_e32 v0, 1, v0
	v_cmp_eq_u32_e32 vcc_lo, 1, v0
	s_xor_b32 s2, vcc_lo, -1
	s_delay_alu instid0(SALU_CYCLE_1)
	s_or_not1_b32 s17, s2, exec_lo
	s_branch .LBB91_4
.LBB91_3:
	s_mov_b32 s17, -1
.LBB91_4:
	s_clause 0x1
	s_load_b64 s[14:15], s[0:1], 0x40
	s_load_b128 s[8:11], s[0:1], 0x30
	v_and_b32_e32 v24, 31, v1
	s_delay_alu instid0(VALU_DEP_1) | instskip(NEXT) | instid1(VALU_DEP_1)
	v_dual_mov_b32 v22, 0 :: v_dual_lshlrev_b32 v25, 4, v24
	v_or_b32_e32 v27, 2, v25
	s_waitcnt lgkmcnt(0)
	v_mul_lo_u32 v2, v23, s15
	s_delay_alu instid0(VALU_DEP_1) | instskip(NEXT) | instid1(VALU_DEP_1)
	v_ashrrev_i32_e32 v3, 31, v2
	v_lshlrev_b64 v[0:1], 2, v[2:3]
	v_lshlrev_b32_e32 v2, 6, v24
	s_delay_alu instid0(VALU_DEP_2) | instskip(NEXT) | instid1(VALU_DEP_3)
	v_add_co_u32 v0, vcc_lo, s4, v0
	v_add_co_ci_u32_e32 v1, vcc_lo, s5, v1, vcc_lo
	s_delay_alu instid0(VALU_DEP_2) | instskip(NEXT) | instid1(VALU_DEP_2)
	v_add_co_u32 v12, vcc_lo, v0, v2
	v_add_co_ci_u32_e32 v13, vcc_lo, 0, v1, vcc_lo
	s_clause 0x3
	global_load_b128 v[0:3], v[12:13], off
	global_load_b128 v[4:7], v[12:13], off offset:16
	global_load_b128 v[8:11], v[12:13], off offset:32
	;; [unrolled: 1-line block ×3, first 2 shown]
	s_waitcnt vmcnt(3)
	v_cmp_lt_f32_e32 vcc_lo, v0, v1
	v_cndmask_b32_e32 v18, v0, v1, vcc_lo
	v_or_b32_e32 v26, 1, v25
	v_or_b32_e32 v28, 3, v25
	;; [unrolled: 1-line block ×5, first 2 shown]
	v_cndmask_b32_e32 v17, v25, v26, vcc_lo
	v_cmp_lt_f32_e32 vcc_lo, v18, v2
	v_or_b32_e32 v32, 7, v25
	v_or_b32_e32 v33, 8, v25
	;; [unrolled: 1-line block ×4, first 2 shown]
	v_dual_cndmask_b32 v17, v17, v27 :: v_dual_cndmask_b32 v18, v18, v2
	v_or_b32_e32 v36, 11, v25
	v_or_b32_e32 v37, 12, v25
	;; [unrolled: 1-line block ×4, first 2 shown]
	v_cmp_lt_f32_e32 vcc_lo, v18, v3
	v_or_b32_e32 v40, 15, v25
	v_dual_cndmask_b32 v17, v17, v28 :: v_dual_cndmask_b32 v18, v18, v3
	s_waitcnt vmcnt(2)
	s_delay_alu instid0(VALU_DEP_1) | instskip(NEXT) | instid1(VALU_DEP_2)
	v_cmp_lt_f32_e32 vcc_lo, v18, v4
	v_dual_cndmask_b32 v17, v17, v29 :: v_dual_cndmask_b32 v18, v18, v4
	s_delay_alu instid0(VALU_DEP_1) | instskip(NEXT) | instid1(VALU_DEP_2)
	v_cmp_lt_f32_e32 vcc_lo, v18, v5
	v_dual_cndmask_b32 v17, v17, v30 :: v_dual_cndmask_b32 v18, v18, v5
	s_delay_alu instid0(VALU_DEP_1) | instskip(NEXT) | instid1(VALU_DEP_2)
	v_cmp_lt_f32_e32 vcc_lo, v18, v6
	v_dual_cndmask_b32 v17, v17, v31 :: v_dual_cndmask_b32 v18, v18, v6
	s_delay_alu instid0(VALU_DEP_1) | instskip(NEXT) | instid1(VALU_DEP_2)
	v_cmp_lt_f32_e32 vcc_lo, v18, v7
	v_dual_cndmask_b32 v17, v17, v32 :: v_dual_cndmask_b32 v18, v18, v7
	s_waitcnt vmcnt(1)
	s_delay_alu instid0(VALU_DEP_1) | instskip(NEXT) | instid1(VALU_DEP_2)
	v_cmp_lt_f32_e32 vcc_lo, v18, v8
	v_dual_cndmask_b32 v17, v17, v33 :: v_dual_cndmask_b32 v18, v18, v8
	s_delay_alu instid0(VALU_DEP_1) | instskip(NEXT) | instid1(VALU_DEP_2)
	v_cmp_lt_f32_e32 vcc_lo, v18, v9
	v_dual_cndmask_b32 v17, v17, v34 :: v_dual_cndmask_b32 v18, v18, v9
	s_delay_alu instid0(VALU_DEP_1) | instskip(NEXT) | instid1(VALU_DEP_2)
	v_cmp_lt_f32_e32 vcc_lo, v18, v10
	v_dual_cndmask_b32 v17, v17, v35 :: v_dual_cndmask_b32 v18, v18, v10
	s_delay_alu instid0(VALU_DEP_1) | instskip(NEXT) | instid1(VALU_DEP_2)
	v_cmp_lt_f32_e32 vcc_lo, v18, v11
	;; [unrolled: 13-line block ×3, first 2 shown]
	v_dual_cndmask_b32 v17, v17, v40 :: v_dual_cndmask_b32 v18, v18, v15
	s_delay_alu instid0(VALU_DEP_1) | instskip(NEXT) | instid1(VALU_DEP_2)
	v_mov_b32_dpp v19, v17 quad_perm:[1,0,3,2] row_mask:0xf bank_mask:0xf
	v_mov_b32_dpp v20, v18 quad_perm:[1,0,3,2] row_mask:0xf bank_mask:0xf
	s_delay_alu instid0(VALU_DEP_2) | instskip(NEXT) | instid1(VALU_DEP_2)
	v_cmp_lt_i32_e32 vcc_lo, v19, v17
	v_cmp_eq_f32_e64 s2, v18, v20
	v_cmp_lt_f32_e64 s3, v18, v20
	s_delay_alu instid0(VALU_DEP_2)
	s_and_b32 s2, s2, vcc_lo
	s_delay_alu instid0(VALU_DEP_1) | instid1(SALU_CYCLE_1)
	s_or_b32 vcc_lo, s3, s2
	v_dual_cndmask_b32 v18, v18, v20 :: v_dual_cndmask_b32 v17, v17, v19
	s_delay_alu instid0(VALU_DEP_1) | instskip(NEXT) | instid1(VALU_DEP_2)
	v_mov_b32_dpp v19, v18 quad_perm:[2,3,0,1] row_mask:0xf bank_mask:0xf
	v_mov_b32_dpp v20, v17 quad_perm:[2,3,0,1] row_mask:0xf bank_mask:0xf
	s_delay_alu instid0(VALU_DEP_2) | instskip(NEXT) | instid1(VALU_DEP_2)
	v_cmp_eq_f32_e32 vcc_lo, v18, v19
	v_cmp_lt_i32_e64 s2, v20, v17
	v_cmp_lt_f32_e64 s3, v18, v19
	s_delay_alu instid0(VALU_DEP_2)
	s_and_b32 s2, vcc_lo, s2
	s_delay_alu instid0(VALU_DEP_1) | instid1(SALU_CYCLE_1)
	s_or_b32 vcc_lo, s3, s2
	v_dual_cndmask_b32 v18, v18, v19 :: v_dual_cndmask_b32 v19, v17, v20
	s_delay_alu instid0(VALU_DEP_1) | instskip(NEXT) | instid1(VALU_DEP_2)
	v_mov_b32_dpp v17, v18 row_xmask:7 row_mask:0xf bank_mask:0xf
	v_mov_b32_dpp v20, v19 row_xmask:7 row_mask:0xf bank_mask:0xf
	s_delay_alu instid0(VALU_DEP_2) | instskip(NEXT) | instid1(VALU_DEP_2)
	v_cmp_eq_f32_e32 vcc_lo, v18, v17
	v_cmp_lt_i32_e64 s2, v20, v19
	v_cmp_lt_f32_e64 s3, v18, v17
	s_delay_alu instid0(VALU_DEP_2)
	s_and_b32 s2, vcc_lo, s2
	s_delay_alu instid0(VALU_DEP_1) | instid1(SALU_CYCLE_1)
	s_or_b32 vcc_lo, s3, s2
	s_cmp_gt_i32 s8, 0
	v_dual_cndmask_b32 v17, v18, v17 :: v_dual_cndmask_b32 v18, v19, v20
	v_cmp_eq_u32_e32 vcc_lo, 0, v24
	s_cselect_b32 s15, -1, 0
	s_cmp_lt_i32 s8, 1
	s_delay_alu instid0(VALU_DEP_2) | instskip(SKIP_1) | instid1(VALU_DEP_2)
	v_mov_b32_dpp v20, v17 row_xmask:15 row_mask:0xf bank_mask:0xf
	v_mov_b32_dpp v19, v18 row_xmask:15 row_mask:0xf bank_mask:0xf
	v_cmp_lt_f32_e64 s2, v17, v20
	v_cmp_eq_f32_e64 s3, v17, v20
	s_delay_alu instid0(VALU_DEP_3)
	v_cmp_lt_i32_e64 s4, v19, v18
	s_cbranch_scc1 .LBB91_16
; %bb.5:
	s_delay_alu instid0(VALU_DEP_1)
	s_and_b32 s3, s3, s4
	s_load_b128 s[4:7], s[0:1], 0x20
	s_or_b32 s2, s2, s3
	v_mul_lo_u32 v21, v23, s8
	v_cndmask_b32_e64 v20, v17, v20, s2
	v_cndmask_b32_e64 v18, v18, v19, s2
	s_mov_b32 s2, 0x76543210
	v_mul_lo_u32 v17, v23, s11
	v_mul_lo_u32 v19, v23, s14
	v_permlanex16_b32 v22, v20, s2, 0xfedcba98 op_sel:[1,1]
	v_permlanex16_b32 v41, v18, s2, 0xfedcba98 op_sel:[1,1]
	s_delay_alu instid0(VALU_DEP_2) | instskip(NEXT) | instid1(VALU_DEP_2)
	v_cmp_eq_f32_e64 s0, v20, v22
	v_cmp_lt_i32_e64 s1, v41, v18
	v_cmp_lt_f32_e64 s2, v20, v22
	s_delay_alu instid0(VALU_DEP_2)
	s_and_b32 s0, s0, s1
	s_delay_alu instid0(VALU_DEP_1) | instid1(SALU_CYCLE_1)
	s_or_b32 s0, s2, s0
	s_delay_alu instid0(SALU_CYCLE_1)
	v_cndmask_b32_e64 v43, v18, v41, s0
	v_cndmask_b32_e64 v41, v20, v22, s0
	v_mov_b32_e32 v22, 0
	s_and_saveexec_b32 s2, vcc_lo
	s_cbranch_execz .LBB91_7
; %bb.6:
	s_delay_alu instid0(VALU_DEP_2)
	v_sub_f32_e32 v50, v41, v41
	v_cmp_le_i32_e64 s0, s9, v43
	v_cmp_gt_i32_e64 s1, s10, v43
	v_subrev_nc_u32_e32 v51, s9, v43
	v_ashrrev_i32_e32 v22, 31, v21
	v_mul_f32_e32 v18, 0x3fb8aa3b, v50
	s_delay_alu instid0(VALU_DEP_4) | instskip(NEXT) | instid1(SALU_CYCLE_1)
	s_and_b32 s0, s0, s1
	s_and_b32 s0, s17, s0
	s_delay_alu instid0(VALU_DEP_1) | instskip(SKIP_2) | instid1(VALU_DEP_3)
	v_rndne_f32_e32 v46, v18
	v_fma_f32 v20, 0x3fb8aa3b, v50, -v18
	v_lshlrev_b64 v[48:49], 2, v[21:22]
	v_sub_f32_e32 v18, v18, v46
	s_delay_alu instid0(VALU_DEP_3) | instskip(NEXT) | instid1(VALU_DEP_1)
	v_fmamk_f32 v20, v50, 0x32a5705f, v20
	v_add_f32_e32 v20, v18, v20
	v_ashrrev_i32_e32 v18, 31, v17
	s_delay_alu instid0(VALU_DEP_2) | instskip(NEXT) | instid1(VALU_DEP_1)
	v_exp_f32_e32 v52, v20
	v_lshlrev_b64 v[44:45], 2, v[17:18]
	v_ashrrev_i32_e32 v20, 31, v19
	v_cvt_i32_f32_e32 v18, v46
	s_delay_alu instid0(VALU_DEP_2) | instskip(SKIP_2) | instid1(VALU_DEP_1)
	v_lshlrev_b64 v[46:47], 2, v[19:20]
	v_cndmask_b32_e64 v20, 0x200, v51, s0
	v_add_co_u32 v44, s0, s12, v44
	v_add_co_ci_u32_e64 v45, s0, s13, v45, s0
	s_delay_alu instid0(TRANS32_DEP_1) | instskip(SKIP_1) | instid1(VALU_DEP_1)
	v_ldexp_f32 v18, v52, v18
	v_cmp_ngt_f32_e64 s0, 0xc2ce8ed0, v50
	v_cndmask_b32_e64 v18, 0, v18, s0
	s_waitcnt lgkmcnt(0)
	v_add_co_u32 v46, s0, s4, v46
	s_delay_alu instid0(VALU_DEP_1) | instskip(SKIP_1) | instid1(VALU_DEP_1)
	v_add_co_ci_u32_e64 v47, s0, s5, v47, s0
	v_cmp_nlt_f32_e64 s0, 0x42b17218, v50
	v_cndmask_b32_e64 v22, 0x7f800000, v18, s0
	v_add_co_u32 v48, s0, s6, v48
	s_delay_alu instid0(VALU_DEP_1)
	v_add_co_ci_u32_e64 v49, s0, s7, v49, s0
	global_store_b32 v[46:47], v20, off
	global_store_b32 v[44:45], v22, off
	;; [unrolled: 1-line block ×3, first 2 shown]
.LBB91_7:
	s_or_b32 exec_lo, exec_lo, s2
	v_ashrrev_i32_e32 v20, 31, v43
	s_mov_b32 s1, exec_lo
	s_delay_alu instid0(VALU_DEP_1) | instskip(NEXT) | instid1(VALU_DEP_1)
	v_lshrrev_b32_e32 v18, 28, v20
	v_add_nc_u32_e32 v18, v43, v18
	s_delay_alu instid0(VALU_DEP_1) | instskip(NEXT) | instid1(VALU_DEP_1)
	v_ashrrev_i32_e32 v18, 4, v18
	v_lshrrev_b32_e32 v44, 27, v18
	s_delay_alu instid0(VALU_DEP_1) | instskip(NEXT) | instid1(VALU_DEP_1)
	v_add_nc_u32_e32 v44, v18, v44
	v_and_b32_e32 v44, 0xffffffe0, v44
	s_delay_alu instid0(VALU_DEP_1) | instskip(NEXT) | instid1(VALU_DEP_1)
	v_sub_nc_u32_e32 v44, v18, v44
	v_cmpx_eq_u32_e64 v24, v44
	s_cbranch_execz .LBB91_9
; %bb.8:
	v_lshrrev_b32_e32 v20, 23, v20
	v_lshlrev_b32_e32 v18, 4, v18
	s_delay_alu instid0(VALU_DEP_2) | instskip(NEXT) | instid1(VALU_DEP_2)
	v_add_nc_u32_e32 v20, v43, v20
	v_sub_nc_u32_e32 v18, v43, v18
	s_delay_alu instid0(VALU_DEP_2) | instskip(NEXT) | instid1(VALU_DEP_1)
	v_ashrrev_i32_e32 v20, 9, v20
	v_lshl_add_u32 v18, v20, 4, v18
	s_delay_alu instid0(VALU_DEP_1) | instskip(NEXT) | instid1(VALU_DEP_1)
	v_cmp_ne_u32_e64 s0, 15, v18
	v_cndmask_b32_e64 v15, 0xff800000, v15, s0
	v_cmp_ne_u32_e64 s0, 14, v18
	s_delay_alu instid0(VALU_DEP_1) | instskip(SKIP_1) | instid1(VALU_DEP_1)
	v_cndmask_b32_e64 v14, 0xff800000, v14, s0
	v_cmp_ne_u32_e64 s0, 13, v18
	v_cndmask_b32_e64 v13, 0xff800000, v13, s0
	v_cmp_ne_u32_e64 s0, 12, v18
	s_delay_alu instid0(VALU_DEP_1) | instskip(SKIP_1) | instid1(VALU_DEP_1)
	v_cndmask_b32_e64 v12, 0xff800000, v12, s0
	;; [unrolled: 5-line block ×7, first 2 shown]
	v_cmp_ne_u32_e64 s0, 1, v18
	v_cndmask_b32_e64 v1, 0xff800000, v1, s0
	v_cmp_ne_u32_e64 s0, 0, v18
	s_delay_alu instid0(VALU_DEP_1)
	v_cndmask_b32_e64 v0, 0xff800000, v0, s0
.LBB91_9:
	s_or_b32 exec_lo, exec_lo, s1
	s_cmp_eq_u32 s8, 1
	s_cbranch_scc1 .LBB91_16
; %bb.10:
	v_add_nc_u32_e32 v20, s16, v16
	v_add_nc_u32_e32 v16, 1, v21
	v_add_nc_u32_e32 v18, 1, v19
	s_add_i32 s3, s8, -1
	s_mov_b32 s14, 0x76543210
	v_add3_u32 v42, v20, v42, s18
	v_add_nc_u32_e32 v20, 1, v17
	s_branch .LBB91_12
.LBB91_11:                              ;   in Loop: Header=BB91_12 Depth=1
	s_or_b32 exec_lo, exec_lo, s1
	v_add_nc_u32_e32 v42, s16, v42
	v_add_nc_u32_e32 v16, 1, v16
	;; [unrolled: 1-line block ×4, first 2 shown]
	s_add_i32 s3, s3, -1
	s_delay_alu instid0(SALU_CYCLE_1)
	s_cmp_eq_u32 s3, 0
	s_cbranch_scc1 .LBB91_16
.LBB91_12:                              ; =>This Inner Loop Header: Depth=1
	v_cmp_gt_f32_e64 s0, v1, v0
	s_delay_alu instid0(VALU_DEP_1) | instskip(SKIP_1) | instid1(VALU_DEP_2)
	v_cndmask_b32_e64 v19, v0, v1, s0
	v_cndmask_b32_e64 v17, v25, v26, s0
	v_cmp_gt_f32_e64 s0, v2, v19
	s_delay_alu instid0(VALU_DEP_1) | instskip(NEXT) | instid1(VALU_DEP_3)
	v_cndmask_b32_e64 v19, v19, v2, s0
	v_cndmask_b32_e64 v17, v17, v27, s0
	s_delay_alu instid0(VALU_DEP_2) | instskip(NEXT) | instid1(VALU_DEP_1)
	v_cmp_gt_f32_e64 s0, v3, v19
	v_cndmask_b32_e64 v19, v19, v3, s0
	s_delay_alu instid0(VALU_DEP_3) | instskip(NEXT) | instid1(VALU_DEP_2)
	v_cndmask_b32_e64 v17, v17, v28, s0
	v_cmp_gt_f32_e64 s0, v4, v19
	s_delay_alu instid0(VALU_DEP_1) | instskip(NEXT) | instid1(VALU_DEP_3)
	v_cndmask_b32_e64 v19, v19, v4, s0
	v_cndmask_b32_e64 v17, v17, v29, s0
	s_delay_alu instid0(VALU_DEP_2) | instskip(NEXT) | instid1(VALU_DEP_1)
	v_cmp_gt_f32_e64 s0, v5, v19
	v_cndmask_b32_e64 v19, v19, v5, s0
	s_delay_alu instid0(VALU_DEP_3) | instskip(NEXT) | instid1(VALU_DEP_2)
	;; [unrolled: 9-line block ×6, first 2 shown]
	v_cndmask_b32_e64 v17, v17, v38, s0
	v_cmp_gt_f32_e64 s0, v14, v19
	s_delay_alu instid0(VALU_DEP_1) | instskip(NEXT) | instid1(VALU_DEP_3)
	v_cndmask_b32_e64 v19, v19, v14, s0
	v_cndmask_b32_e64 v17, v17, v39, s0
	s_delay_alu instid0(VALU_DEP_2) | instskip(NEXT) | instid1(VALU_DEP_1)
	v_cmp_gt_f32_e64 s0, v15, v19
	v_cndmask_b32_e64 v17, v17, v40, s0
	v_cndmask_b32_e64 v19, v19, v15, s0
	s_delay_alu instid0(VALU_DEP_2) | instskip(NEXT) | instid1(VALU_DEP_2)
	v_mov_b32_dpp v21, v17 quad_perm:[1,0,3,2] row_mask:0xf bank_mask:0xf
	v_mov_b32_dpp v43, v19 quad_perm:[1,0,3,2] row_mask:0xf bank_mask:0xf
	s_delay_alu instid0(VALU_DEP_2) | instskip(NEXT) | instid1(VALU_DEP_2)
	v_cmp_lt_i32_e64 s0, v21, v17
	v_cmp_eq_f32_e64 s1, v19, v43
	v_cmp_lt_f32_e64 s2, v19, v43
	s_delay_alu instid0(VALU_DEP_2)
	s_and_b32 s0, s1, s0
	s_delay_alu instid0(VALU_DEP_1) | instid1(SALU_CYCLE_1)
	s_or_b32 s0, s2, s0
	s_delay_alu instid0(SALU_CYCLE_1) | instskip(SKIP_1) | instid1(VALU_DEP_2)
	v_cndmask_b32_e64 v19, v19, v43, s0
	v_cndmask_b32_e64 v17, v17, v21, s0
	v_mov_b32_dpp v21, v19 quad_perm:[2,3,0,1] row_mask:0xf bank_mask:0xf
	s_delay_alu instid0(VALU_DEP_2) | instskip(NEXT) | instid1(VALU_DEP_2)
	v_mov_b32_dpp v43, v17 quad_perm:[2,3,0,1] row_mask:0xf bank_mask:0xf
	v_cmp_eq_f32_e64 s0, v19, v21
	s_delay_alu instid0(VALU_DEP_2) | instskip(SKIP_1) | instid1(VALU_DEP_2)
	v_cmp_lt_i32_e64 s1, v43, v17
	v_cmp_lt_f32_e64 s2, v19, v21
	s_and_b32 s0, s0, s1
	s_delay_alu instid0(VALU_DEP_1) | instid1(SALU_CYCLE_1)
	s_or_b32 s0, s2, s0
	s_delay_alu instid0(SALU_CYCLE_1) | instskip(SKIP_1) | instid1(VALU_DEP_2)
	v_cndmask_b32_e64 v19, v19, v21, s0
	v_cndmask_b32_e64 v17, v17, v43, s0
	v_mov_b32_dpp v21, v19 row_xmask:7 row_mask:0xf bank_mask:0xf
	s_delay_alu instid0(VALU_DEP_2) | instskip(NEXT) | instid1(VALU_DEP_2)
	v_mov_b32_dpp v43, v17 row_xmask:7 row_mask:0xf bank_mask:0xf
	v_cmp_eq_f32_e64 s0, v19, v21
	s_delay_alu instid0(VALU_DEP_2) | instskip(SKIP_1) | instid1(VALU_DEP_2)
	v_cmp_lt_i32_e64 s1, v43, v17
	v_cmp_lt_f32_e64 s2, v19, v21
	s_and_b32 s0, s0, s1
	s_delay_alu instid0(VALU_DEP_1) | instid1(SALU_CYCLE_1)
	s_or_b32 s0, s2, s0
	s_delay_alu instid0(SALU_CYCLE_1) | instskip(SKIP_1) | instid1(VALU_DEP_2)
	v_cndmask_b32_e64 v19, v19, v21, s0
	v_cndmask_b32_e64 v21, v17, v43, s0
	v_mov_b32_dpp v17, v19 row_xmask:15 row_mask:0xf bank_mask:0xf
	s_delay_alu instid0(VALU_DEP_2) | instskip(NEXT) | instid1(VALU_DEP_2)
	v_mov_b32_dpp v43, v21 row_xmask:15 row_mask:0xf bank_mask:0xf
	v_cmp_eq_f32_e64 s0, v19, v17
	s_delay_alu instid0(VALU_DEP_2) | instskip(SKIP_1) | instid1(VALU_DEP_2)
	v_cmp_lt_i32_e64 s1, v43, v21
	v_cmp_lt_f32_e64 s2, v19, v17
	s_and_b32 s0, s0, s1
	s_delay_alu instid0(VALU_DEP_1) | instid1(SALU_CYCLE_1)
	s_or_b32 s0, s2, s0
	s_delay_alu instid0(SALU_CYCLE_1) | instskip(SKIP_1) | instid1(VALU_DEP_2)
	v_cndmask_b32_e64 v17, v19, v17, s0
	v_cndmask_b32_e64 v21, v21, v43, s0
	v_permlanex16_b32 v19, v17, s14, 0xfedcba98 op_sel:[1,1]
	s_delay_alu instid0(VALU_DEP_2) | instskip(NEXT) | instid1(VALU_DEP_2)
	v_permlanex16_b32 v43, v21, s14, 0xfedcba98 op_sel:[1,1]
	v_cmp_eq_f32_e64 s0, v17, v19
	s_delay_alu instid0(VALU_DEP_2) | instskip(SKIP_1) | instid1(VALU_DEP_2)
	v_cmp_lt_i32_e64 s1, v43, v21
	v_cmp_lt_f32_e64 s2, v17, v19
	s_and_b32 s0, s0, s1
	s_delay_alu instid0(VALU_DEP_1) | instid1(SALU_CYCLE_1)
	s_or_b32 s0, s2, s0
	s_delay_alu instid0(SALU_CYCLE_1)
	v_cndmask_b32_e64 v43, v21, v43, s0
	s_and_saveexec_b32 s2, vcc_lo
	s_cbranch_execz .LBB91_14
; %bb.13:                               ;   in Loop: Header=BB91_12 Depth=1
	v_cndmask_b32_e64 v17, v17, v19, s0
	s_delay_alu instid0(VALU_DEP_2) | instskip(SKIP_4) | instid1(VALU_DEP_4)
	v_cmp_le_i32_e64 s0, s9, v43
	v_cmp_gt_i32_e64 s1, s10, v43
	v_ashrrev_i32_e32 v21, 31, v20
	v_subrev_nc_u32_e32 v51, s9, v43
	v_sub_f32_e32 v50, v17, v41
	s_and_b32 s0, s0, s1
	s_delay_alu instid0(SALU_CYCLE_1) | instskip(NEXT) | instid1(VALU_DEP_1)
	s_and_b32 s0, s17, s0
	v_mul_f32_e32 v17, 0x3fb8aa3b, v50
	s_delay_alu instid0(VALU_DEP_1) | instskip(SKIP_1) | instid1(VALU_DEP_2)
	v_fma_f32 v19, 0x3fb8aa3b, v50, -v17
	v_rndne_f32_e32 v44, v17
	v_fmac_f32_e32 v19, 0x32a5705f, v50
	s_delay_alu instid0(VALU_DEP_2) | instskip(SKIP_2) | instid1(VALU_DEP_3)
	v_sub_f32_e32 v17, v17, v44
	v_cvt_i32_f32_e32 v49, v44
	v_lshlrev_b64 v[44:45], 2, v[20:21]
	v_add_f32_e32 v17, v17, v19
	v_ashrrev_i32_e32 v19, 31, v18
	s_delay_alu instid0(VALU_DEP_2) | instskip(SKIP_1) | instid1(VALU_DEP_2)
	v_exp_f32_e32 v48, v17
	v_ashrrev_i32_e32 v17, 31, v16
	v_lshlrev_b64 v[46:47], 2, v[18:19]
	s_waitcnt_depctr 0xfff
	v_ldexp_f32 v19, v48, v49
	v_lshlrev_b64 v[48:49], 2, v[16:17]
	v_cndmask_b32_e64 v17, 0x200, v51, s0
	v_cmp_ngt_f32_e64 s0, 0xc2ce8ed0, v50
	s_delay_alu instid0(VALU_DEP_1) | instskip(SKIP_1) | instid1(VALU_DEP_1)
	v_cndmask_b32_e64 v19, 0, v19, s0
	v_add_co_u32 v44, s0, s12, v44
	v_add_co_ci_u32_e64 v45, s0, s13, v45, s0
	v_cmp_nlt_f32_e64 s0, 0x42b17218, v50
	s_delay_alu instid0(VALU_DEP_1) | instskip(SKIP_2) | instid1(VALU_DEP_1)
	v_cndmask_b32_e64 v19, 0x7f800000, v19, s0
	s_waitcnt lgkmcnt(0)
	v_add_co_u32 v46, s0, s4, v46
	v_add_co_ci_u32_e64 v47, s0, s5, v47, s0
	s_delay_alu instid0(VALU_DEP_3) | instskip(SKIP_1) | instid1(VALU_DEP_1)
	v_add_f32_e32 v22, v22, v19
	v_add_co_u32 v48, s0, s6, v48
	v_add_co_ci_u32_e64 v49, s0, s7, v49, s0
	global_store_b32 v[44:45], v19, off
	global_store_b32 v[46:47], v17, off
	;; [unrolled: 1-line block ×3, first 2 shown]
.LBB91_14:                              ;   in Loop: Header=BB91_12 Depth=1
	s_or_b32 exec_lo, exec_lo, s2
	s_delay_alu instid0(VALU_DEP_1) | instskip(SKIP_1) | instid1(VALU_DEP_1)
	v_ashrrev_i32_e32 v19, 31, v43
	s_mov_b32 s1, exec_lo
	v_lshrrev_b32_e32 v17, 28, v19
	s_delay_alu instid0(VALU_DEP_1) | instskip(NEXT) | instid1(VALU_DEP_1)
	v_add_nc_u32_e32 v17, v43, v17
	v_ashrrev_i32_e32 v17, 4, v17
	s_delay_alu instid0(VALU_DEP_1) | instskip(NEXT) | instid1(VALU_DEP_1)
	v_lshrrev_b32_e32 v21, 27, v17
	v_add_nc_u32_e32 v21, v17, v21
	s_delay_alu instid0(VALU_DEP_1) | instskip(NEXT) | instid1(VALU_DEP_1)
	v_and_b32_e32 v21, 0xffffffe0, v21
	v_sub_nc_u32_e32 v21, v17, v21
	s_delay_alu instid0(VALU_DEP_1)
	v_cmpx_eq_u32_e64 v24, v21
	s_cbranch_execz .LBB91_11
; %bb.15:                               ;   in Loop: Header=BB91_12 Depth=1
	v_lshrrev_b32_e32 v19, 23, v19
	v_lshlrev_b32_e32 v17, 4, v17
	s_delay_alu instid0(VALU_DEP_2) | instskip(NEXT) | instid1(VALU_DEP_2)
	v_add_nc_u32_e32 v19, v43, v19
	v_sub_nc_u32_e32 v17, v43, v17
	s_delay_alu instid0(VALU_DEP_2) | instskip(NEXT) | instid1(VALU_DEP_1)
	v_ashrrev_i32_e32 v19, 9, v19
	v_lshl_add_u32 v17, v19, 4, v17
	s_delay_alu instid0(VALU_DEP_1) | instskip(NEXT) | instid1(VALU_DEP_1)
	v_cmp_ne_u32_e64 s0, 15, v17
	v_cndmask_b32_e64 v15, 0xff800000, v15, s0
	v_cmp_ne_u32_e64 s0, 14, v17
	s_delay_alu instid0(VALU_DEP_1) | instskip(SKIP_1) | instid1(VALU_DEP_1)
	v_cndmask_b32_e64 v14, 0xff800000, v14, s0
	v_cmp_ne_u32_e64 s0, 13, v17
	v_cndmask_b32_e64 v13, 0xff800000, v13, s0
	v_cmp_ne_u32_e64 s0, 12, v17
	s_delay_alu instid0(VALU_DEP_1) | instskip(SKIP_1) | instid1(VALU_DEP_1)
	v_cndmask_b32_e64 v12, 0xff800000, v12, s0
	v_cmp_ne_u32_e64 s0, 11, v17
	v_cndmask_b32_e64 v11, 0xff800000, v11, s0
	v_cmp_ne_u32_e64 s0, 10, v17
	s_delay_alu instid0(VALU_DEP_1) | instskip(SKIP_1) | instid1(VALU_DEP_1)
	v_cndmask_b32_e64 v10, 0xff800000, v10, s0
	v_cmp_ne_u32_e64 s0, 9, v17
	v_cndmask_b32_e64 v9, 0xff800000, v9, s0
	v_cmp_ne_u32_e64 s0, 8, v17
	s_delay_alu instid0(VALU_DEP_1) | instskip(SKIP_1) | instid1(VALU_DEP_1)
	v_cndmask_b32_e64 v8, 0xff800000, v8, s0
	v_cmp_ne_u32_e64 s0, 7, v17
	v_cndmask_b32_e64 v7, 0xff800000, v7, s0
	v_cmp_ne_u32_e64 s0, 6, v17
	s_delay_alu instid0(VALU_DEP_1) | instskip(SKIP_1) | instid1(VALU_DEP_1)
	v_cndmask_b32_e64 v6, 0xff800000, v6, s0
	v_cmp_ne_u32_e64 s0, 5, v17
	v_cndmask_b32_e64 v5, 0xff800000, v5, s0
	v_cmp_ne_u32_e64 s0, 4, v17
	s_delay_alu instid0(VALU_DEP_1) | instskip(SKIP_1) | instid1(VALU_DEP_1)
	v_cndmask_b32_e64 v4, 0xff800000, v4, s0
	v_cmp_ne_u32_e64 s0, 3, v17
	v_cndmask_b32_e64 v3, 0xff800000, v3, s0
	v_cmp_ne_u32_e64 s0, 2, v17
	s_delay_alu instid0(VALU_DEP_1) | instskip(SKIP_1) | instid1(VALU_DEP_1)
	v_cndmask_b32_e64 v2, 0xff800000, v2, s0
	v_cmp_ne_u32_e64 s0, 1, v17
	v_cndmask_b32_e64 v1, 0xff800000, v1, s0
	v_cmp_ne_u32_e64 s0, 0, v17
	s_delay_alu instid0(VALU_DEP_1)
	v_cndmask_b32_e64 v0, 0xff800000, v0, s0
	s_branch .LBB91_11
.LBB91_16:
	v_cmp_eq_u32_e32 vcc_lo, 0, v24
	v_cmp_neq_f32_e64 s0, 0, v22
	s_delay_alu instid0(VALU_DEP_1) | instskip(NEXT) | instid1(SALU_CYCLE_1)
	s_and_b32 s0, vcc_lo, s0
	s_and_b32 exec_lo, exec_lo, s0
	s_cbranch_execz .LBB91_20
; %bb.17:
	s_and_not1_b32 vcc_lo, exec_lo, s15
	s_cbranch_vccnz .LBB91_20
; %bb.18:
	v_div_scale_f32 v1, null, v22, v22, 1.0
	v_div_scale_f32 v3, vcc_lo, 1.0, v22, 1.0
	s_delay_alu instid0(VALU_DEP_2) | instskip(SKIP_2) | instid1(VALU_DEP_1)
	v_rcp_f32_e32 v2, v1
	s_waitcnt_depctr 0xfff
	v_fma_f32 v0, -v1, v2, 1.0
	v_fmac_f32_e32 v2, v0, v2
	v_mul_lo_u32 v0, v23, s11
	s_delay_alu instid0(VALU_DEP_2) | instskip(NEXT) | instid1(VALU_DEP_1)
	v_mul_f32_e32 v4, v3, v2
	v_fma_f32 v5, -v1, v4, v3
	s_delay_alu instid0(VALU_DEP_1) | instskip(NEXT) | instid1(VALU_DEP_1)
	v_fmac_f32_e32 v4, v5, v2
	v_fma_f32 v3, -v1, v4, v3
	v_ashrrev_i32_e32 v1, 31, v0
	s_delay_alu instid0(VALU_DEP_2) | instskip(NEXT) | instid1(VALU_DEP_2)
	v_div_fmas_f32 v2, v3, v2, v4
	v_lshlrev_b64 v[0:1], 2, v[0:1]
	s_delay_alu instid0(VALU_DEP_2) | instskip(NEXT) | instid1(VALU_DEP_2)
	v_div_fixup_f32 v2, v2, v22, 1.0
	v_add_co_u32 v0, vcc_lo, s12, v0
	s_delay_alu instid0(VALU_DEP_3)
	v_add_co_ci_u32_e32 v1, vcc_lo, s13, v1, vcc_lo
.LBB91_19:                              ; =>This Inner Loop Header: Depth=1
	global_load_b32 v3, v[0:1], off
	s_add_i32 s8, s8, -1
	s_delay_alu instid0(SALU_CYCLE_1)
	s_cmp_lg_u32 s8, 0
	s_waitcnt vmcnt(0)
	v_mul_f32_e32 v3, v2, v3
	global_store_b32 v[0:1], v3, off
	v_add_co_u32 v0, vcc_lo, v0, 4
	v_add_co_ci_u32_e32 v1, vcc_lo, 0, v1, vcc_lo
	s_cbranch_scc1 .LBB91_19
.LBB91_20:
	s_nop 0
	s_sendmsg sendmsg(MSG_DEALLOC_VGPRS)
	s_endpgm
	.section	.rodata,"a",@progbits
	.p2align	6, 0x0
	.amdhsa_kernel _ZN4vllm3moe17topkGatingSoftmaxIfLi16ELi512ELi2ELi64ELb1ELi0ELNS0_23SharedExpertScoringFuncE0EEEvPKT_PKbPfiPiS9_iiiiii
		.amdhsa_group_segment_fixed_size 0
		.amdhsa_private_segment_fixed_size 0
		.amdhsa_kernarg_size 72
		.amdhsa_user_sgpr_count 15
		.amdhsa_user_sgpr_dispatch_ptr 0
		.amdhsa_user_sgpr_queue_ptr 0
		.amdhsa_user_sgpr_kernarg_segment_ptr 1
		.amdhsa_user_sgpr_dispatch_id 0
		.amdhsa_user_sgpr_private_segment_size 0
		.amdhsa_wavefront_size32 1
		.amdhsa_uses_dynamic_stack 0
		.amdhsa_enable_private_segment 0
		.amdhsa_system_sgpr_workgroup_id_x 1
		.amdhsa_system_sgpr_workgroup_id_y 0
		.amdhsa_system_sgpr_workgroup_id_z 0
		.amdhsa_system_sgpr_workgroup_info 0
		.amdhsa_system_vgpr_workitem_id 1
		.amdhsa_next_free_vgpr 53
		.amdhsa_next_free_sgpr 19
		.amdhsa_reserve_vcc 1
		.amdhsa_float_round_mode_32 0
		.amdhsa_float_round_mode_16_64 0
		.amdhsa_float_denorm_mode_32 3
		.amdhsa_float_denorm_mode_16_64 3
		.amdhsa_dx10_clamp 1
		.amdhsa_ieee_mode 1
		.amdhsa_fp16_overflow 0
		.amdhsa_workgroup_processor_mode 1
		.amdhsa_memory_ordered 1
		.amdhsa_forward_progress 0
		.amdhsa_shared_vgpr_count 0
		.amdhsa_exception_fp_ieee_invalid_op 0
		.amdhsa_exception_fp_denorm_src 0
		.amdhsa_exception_fp_ieee_div_zero 0
		.amdhsa_exception_fp_ieee_overflow 0
		.amdhsa_exception_fp_ieee_underflow 0
		.amdhsa_exception_fp_ieee_inexact 0
		.amdhsa_exception_int_div_zero 0
	.end_amdhsa_kernel
	.section	.text._ZN4vllm3moe17topkGatingSoftmaxIfLi16ELi512ELi2ELi64ELb1ELi0ELNS0_23SharedExpertScoringFuncE0EEEvPKT_PKbPfiPiS9_iiiiii,"axG",@progbits,_ZN4vllm3moe17topkGatingSoftmaxIfLi16ELi512ELi2ELi64ELb1ELi0ELNS0_23SharedExpertScoringFuncE0EEEvPKT_PKbPfiPiS9_iiiiii,comdat
.Lfunc_end91:
	.size	_ZN4vllm3moe17topkGatingSoftmaxIfLi16ELi512ELi2ELi64ELb1ELi0ELNS0_23SharedExpertScoringFuncE0EEEvPKT_PKbPfiPiS9_iiiiii, .Lfunc_end91-_ZN4vllm3moe17topkGatingSoftmaxIfLi16ELi512ELi2ELi64ELb1ELi0ELNS0_23SharedExpertScoringFuncE0EEEvPKT_PKbPfiPiS9_iiiiii
                                        ; -- End function
	.section	.AMDGPU.csdata,"",@progbits
; Kernel info:
; codeLenInByte = 3748
; NumSgprs: 21
; NumVgprs: 53
; ScratchSize: 0
; MemoryBound: 0
; FloatMode: 240
; IeeeMode: 1
; LDSByteSize: 0 bytes/workgroup (compile time only)
; SGPRBlocks: 2
; VGPRBlocks: 6
; NumSGPRsForWavesPerEU: 21
; NumVGPRsForWavesPerEU: 53
; Occupancy: 16
; WaveLimiterHint : 0
; COMPUTE_PGM_RSRC2:SCRATCH_EN: 0
; COMPUTE_PGM_RSRC2:USER_SGPR: 15
; COMPUTE_PGM_RSRC2:TRAP_HANDLER: 0
; COMPUTE_PGM_RSRC2:TGID_X_EN: 1
; COMPUTE_PGM_RSRC2:TGID_Y_EN: 0
; COMPUTE_PGM_RSRC2:TGID_Z_EN: 0
; COMPUTE_PGM_RSRC2:TIDIG_COMP_CNT: 1
	.section	.text._ZN4vllm3moe17topkGatingSoftmaxIfLi16ELi512ELi2ELi64ELb0ELi0ELNS0_23SharedExpertScoringFuncE0EEEvPKT_PKbPfiPiS9_iiiiii,"axG",@progbits,_ZN4vllm3moe17topkGatingSoftmaxIfLi16ELi512ELi2ELi64ELb0ELi0ELNS0_23SharedExpertScoringFuncE0EEEvPKT_PKbPfiPiS9_iiiiii,comdat
	.protected	_ZN4vllm3moe17topkGatingSoftmaxIfLi16ELi512ELi2ELi64ELb0ELi0ELNS0_23SharedExpertScoringFuncE0EEEvPKT_PKbPfiPiS9_iiiiii ; -- Begin function _ZN4vllm3moe17topkGatingSoftmaxIfLi16ELi512ELi2ELi64ELb0ELi0ELNS0_23SharedExpertScoringFuncE0EEEvPKT_PKbPfiPiS9_iiiiii
	.globl	_ZN4vllm3moe17topkGatingSoftmaxIfLi16ELi512ELi2ELi64ELb0ELi0ELNS0_23SharedExpertScoringFuncE0EEEvPKT_PKbPfiPiS9_iiiiii
	.p2align	8
	.type	_ZN4vllm3moe17topkGatingSoftmaxIfLi16ELi512ELi2ELi64ELb0ELi0ELNS0_23SharedExpertScoringFuncE0EEEvPKT_PKbPfiPiS9_iiiiii,@function
_ZN4vllm3moe17topkGatingSoftmaxIfLi16ELi512ELi2ELi64ELb0ELi0ELNS0_23SharedExpertScoringFuncE0EEEvPKT_PKbPfiPiS9_iiiiii: ; @_ZN4vllm3moe17topkGatingSoftmaxIfLi16ELi512ELi2ELi64ELb0ELi0ELNS0_23SharedExpertScoringFuncE0EEEvPKT_PKbPfiPiS9_iiiiii
; %bb.0:
	s_load_b32 s16, s[0:1], 0x18
	v_and_b32_e32 v1, 0x3ff, v0
	v_bfe_u32 v16, v0, 10, 10
	s_lshl_b32 s18, s15, 1
	s_mov_b32 s2, exec_lo
	s_delay_alu instid0(VALU_DEP_2) | instskip(NEXT) | instid1(VALU_DEP_1)
	v_lshrrev_b32_e32 v42, 5, v1
	v_add3_u32 v23, s18, v16, v42
	s_waitcnt lgkmcnt(0)
	s_delay_alu instid0(VALU_DEP_1)
	v_cmpx_gt_i32_e64 s16, v23
	s_cbranch_execz .LBB92_21
; %bb.1:
	s_clause 0x1
	s_load_b128 s[4:7], s[0:1], 0x0
	s_load_b64 s[12:13], s[0:1], 0x10
	s_waitcnt lgkmcnt(0)
	s_cmp_eq_u64 s[6:7], 0
	s_cbranch_scc1 .LBB92_3
; %bb.2:
	v_ashrrev_i32_e32 v0, 31, v23
	v_add_co_u32 v2, vcc_lo, s6, v23
	s_delay_alu instid0(VALU_DEP_2) | instskip(SKIP_3) | instid1(VALU_DEP_1)
	v_add_co_ci_u32_e32 v3, vcc_lo, s7, v0, vcc_lo
	global_load_u8 v0, v[2:3], off
	s_waitcnt vmcnt(0)
	v_and_b32_e32 v0, 1, v0
	v_cmp_eq_u32_e32 vcc_lo, 1, v0
	s_xor_b32 s2, vcc_lo, -1
	s_delay_alu instid0(SALU_CYCLE_1)
	s_or_not1_b32 s17, s2, exec_lo
	s_branch .LBB92_4
.LBB92_3:
	s_mov_b32 s17, -1
.LBB92_4:
	s_load_b64 s[14:15], s[0:1], 0x40
	v_and_b32_e32 v24, 31, v1
	v_mov_b32_e32 v22, 0
	s_delay_alu instid0(VALU_DEP_2) | instskip(NEXT) | instid1(VALU_DEP_1)
	v_lshlrev_b32_e32 v26, 4, v24
	v_or_b32_e32 v29, 3, v26
	v_or_b32_e32 v27, 1, v26
	;; [unrolled: 1-line block ×4, first 2 shown]
	s_waitcnt lgkmcnt(0)
	v_mul_lo_u32 v2, v23, s15
	s_delay_alu instid0(VALU_DEP_1) | instskip(NEXT) | instid1(VALU_DEP_1)
	v_ashrrev_i32_e32 v3, 31, v2
	v_lshlrev_b64 v[0:1], 2, v[2:3]
	v_lshlrev_b32_e32 v2, 6, v24
	s_delay_alu instid0(VALU_DEP_2) | instskip(NEXT) | instid1(VALU_DEP_3)
	v_add_co_u32 v0, vcc_lo, s4, v0
	v_add_co_ci_u32_e32 v1, vcc_lo, s5, v1, vcc_lo
	s_load_b128 s[4:7], s[0:1], 0x30
	s_delay_alu instid0(VALU_DEP_2) | instskip(NEXT) | instid1(VALU_DEP_2)
	v_add_co_u32 v0, vcc_lo, v0, v2
	v_add_co_ci_u32_e32 v1, vcc_lo, 0, v1, vcc_lo
	s_clause 0x3
	global_load_b128 v[12:15], v[0:1], off
	global_load_b128 v[8:11], v[0:1], off offset:16
	global_load_b128 v[4:7], v[0:1], off offset:32
	;; [unrolled: 1-line block ×3, first 2 shown]
	s_waitcnt vmcnt(3)
	v_cmp_lt_f32_e32 vcc_lo, v12, v13
	v_dual_cndmask_b32 v17, v26, v27 :: v_dual_cndmask_b32 v18, v12, v13
	s_delay_alu instid0(VALU_DEP_1) | instskip(NEXT) | instid1(VALU_DEP_2)
	v_cmp_lt_f32_e32 vcc_lo, v18, v14
	v_dual_cndmask_b32 v17, v17, v28 :: v_dual_cndmask_b32 v18, v18, v14
	s_delay_alu instid0(VALU_DEP_1) | instskip(NEXT) | instid1(VALU_DEP_2)
	v_cmp_lt_f32_e32 vcc_lo, v18, v15
	v_dual_cndmask_b32 v18, v18, v15 :: v_dual_cndmask_b32 v17, v17, v29
	s_waitcnt vmcnt(2)
	s_delay_alu instid0(VALU_DEP_1) | instskip(NEXT) | instid1(VALU_DEP_2)
	v_cmp_lt_f32_e32 vcc_lo, v18, v8
	v_cndmask_b32_e32 v17, v17, v30, vcc_lo
	v_or_b32_e32 v33, 7, v26
	v_cndmask_b32_e32 v18, v18, v8, vcc_lo
	v_or_b32_e32 v31, 5, v26
	v_or_b32_e32 v34, 8, v26
	;; [unrolled: 1-line block ×4, first 2 shown]
	v_cmp_lt_f32_e32 vcc_lo, v18, v9
	v_or_b32_e32 v36, 10, v26
	v_or_b32_e32 v37, 11, v26
	;; [unrolled: 1-line block ×4, first 2 shown]
	v_dual_cndmask_b32 v18, v18, v9 :: v_dual_cndmask_b32 v17, v17, v31
	v_or_b32_e32 v40, 14, v26
	v_or_b32_e32 v41, 15, v26
	s_delay_alu instid0(VALU_DEP_3) | instskip(NEXT) | instid1(VALU_DEP_4)
	v_cmp_lt_f32_e32 vcc_lo, v18, v10
	v_dual_cndmask_b32 v18, v18, v10 :: v_dual_cndmask_b32 v17, v17, v32
	s_delay_alu instid0(VALU_DEP_1) | instskip(NEXT) | instid1(VALU_DEP_2)
	v_cmp_lt_f32_e32 vcc_lo, v18, v11
	v_dual_cndmask_b32 v18, v18, v11 :: v_dual_cndmask_b32 v17, v17, v33
	s_waitcnt vmcnt(1)
	s_delay_alu instid0(VALU_DEP_1) | instskip(NEXT) | instid1(VALU_DEP_2)
	v_cmp_lt_f32_e32 vcc_lo, v18, v4
	v_dual_cndmask_b32 v18, v18, v4 :: v_dual_cndmask_b32 v17, v17, v34
	s_delay_alu instid0(VALU_DEP_1) | instskip(NEXT) | instid1(VALU_DEP_2)
	v_cmp_lt_f32_e32 vcc_lo, v18, v5
	v_dual_cndmask_b32 v18, v18, v5 :: v_dual_cndmask_b32 v17, v17, v35
	;; [unrolled: 3-line block ×4, first 2 shown]
	s_waitcnt vmcnt(0)
	s_delay_alu instid0(VALU_DEP_1) | instskip(NEXT) | instid1(VALU_DEP_2)
	v_cmp_lt_f32_e32 vcc_lo, v18, v0
	v_dual_cndmask_b32 v18, v18, v0 :: v_dual_cndmask_b32 v17, v17, v38
	s_delay_alu instid0(VALU_DEP_1) | instskip(NEXT) | instid1(VALU_DEP_2)
	v_cmp_lt_f32_e32 vcc_lo, v18, v1
	v_dual_cndmask_b32 v18, v18, v1 :: v_dual_cndmask_b32 v17, v17, v39
	;; [unrolled: 3-line block ×4, first 2 shown]
	s_delay_alu instid0(VALU_DEP_1) | instskip(NEXT) | instid1(VALU_DEP_2)
	v_mov_b32_dpp v19, v17 quad_perm:[1,0,3,2] row_mask:0xf bank_mask:0xf
	v_mov_b32_dpp v20, v18 quad_perm:[1,0,3,2] row_mask:0xf bank_mask:0xf
	s_delay_alu instid0(VALU_DEP_2) | instskip(NEXT) | instid1(VALU_DEP_2)
	v_cmp_lt_i32_e32 vcc_lo, v19, v17
	v_cmp_eq_f32_e64 s2, v18, v20
	v_cmp_lt_f32_e64 s3, v18, v20
	s_delay_alu instid0(VALU_DEP_2)
	s_and_b32 s2, s2, vcc_lo
	s_delay_alu instid0(VALU_DEP_1) | instid1(SALU_CYCLE_1)
	s_or_b32 vcc_lo, s3, s2
	v_dual_cndmask_b32 v18, v18, v20 :: v_dual_cndmask_b32 v17, v17, v19
	s_delay_alu instid0(VALU_DEP_1) | instskip(NEXT) | instid1(VALU_DEP_2)
	v_mov_b32_dpp v19, v18 quad_perm:[2,3,0,1] row_mask:0xf bank_mask:0xf
	v_mov_b32_dpp v20, v17 quad_perm:[2,3,0,1] row_mask:0xf bank_mask:0xf
	s_delay_alu instid0(VALU_DEP_2) | instskip(NEXT) | instid1(VALU_DEP_2)
	v_cmp_eq_f32_e32 vcc_lo, v18, v19
	v_cmp_lt_i32_e64 s2, v20, v17
	v_cmp_lt_f32_e64 s3, v18, v19
	s_delay_alu instid0(VALU_DEP_2)
	s_and_b32 s2, vcc_lo, s2
	s_delay_alu instid0(VALU_DEP_1) | instid1(SALU_CYCLE_1)
	s_or_b32 vcc_lo, s3, s2
	v_dual_cndmask_b32 v18, v18, v19 :: v_dual_cndmask_b32 v17, v17, v20
	s_delay_alu instid0(VALU_DEP_1) | instskip(NEXT) | instid1(VALU_DEP_2)
	v_mov_b32_dpp v19, v18 row_xmask:7 row_mask:0xf bank_mask:0xf
	v_mov_b32_dpp v20, v17 row_xmask:7 row_mask:0xf bank_mask:0xf
	s_delay_alu instid0(VALU_DEP_2) | instskip(NEXT) | instid1(VALU_DEP_2)
	v_cmp_eq_f32_e32 vcc_lo, v18, v19
	v_cmp_lt_i32_e64 s2, v20, v17
	v_cmp_lt_f32_e64 s3, v18, v19
	s_delay_alu instid0(VALU_DEP_2)
	s_and_b32 s2, vcc_lo, s2
	s_delay_alu instid0(VALU_DEP_1) | instid1(SALU_CYCLE_1)
	s_or_b32 vcc_lo, s3, s2
	v_dual_cndmask_b32 v17, v17, v20 :: v_dual_cndmask_b32 v18, v18, v19
	s_delay_alu instid0(VALU_DEP_1) | instskip(NEXT) | instid1(VALU_DEP_2)
	v_mov_b32_dpp v20, v17 row_xmask:15 row_mask:0xf bank_mask:0xf
	v_mov_b32_dpp v19, v18 row_xmask:15 row_mask:0xf bank_mask:0xf
	s_delay_alu instid0(VALU_DEP_2) | instskip(NEXT) | instid1(VALU_DEP_2)
	v_cmp_lt_i32_e64 s2, v20, v17
	v_cmp_eq_f32_e32 vcc_lo, v18, v19
	v_cmp_lt_f32_e64 s3, v18, v19
	s_delay_alu instid0(VALU_DEP_3)
	s_and_b32 s2, vcc_lo, s2
	s_delay_alu instid0(VALU_DEP_1) | instid1(SALU_CYCLE_1)
	s_or_b32 vcc_lo, s3, s2
	s_mov_b32 s2, 0x76543210
	v_dual_cndmask_b32 v19, v18, v19 :: v_dual_cndmask_b32 v18, v17, v20
	s_delay_alu instid0(VALU_DEP_1) | instskip(NEXT) | instid1(VALU_DEP_2)
	v_permlanex16_b32 v17, v19, s2, 0xfedcba98 op_sel:[1,1]
	v_permlanex16_b32 v20, v18, s2, 0xfedcba98 op_sel:[1,1]
	s_delay_alu instid0(VALU_DEP_2) | instskip(NEXT) | instid1(VALU_DEP_2)
	v_cmp_eq_f32_e32 vcc_lo, v19, v17
	v_cmp_lt_i32_e64 s2, v20, v18
	v_cmp_lt_f32_e64 s3, v19, v17
	s_delay_alu instid0(VALU_DEP_2) | instskip(SKIP_1) | instid1(VALU_DEP_2)
	s_and_b32 s2, vcc_lo, s2
	v_cmp_eq_u32_e32 vcc_lo, 0, v24
	s_or_b32 s2, s3, s2
	s_waitcnt lgkmcnt(0)
	s_cmp_gt_i32 s4, 0
	v_cndmask_b32_e64 v25, v19, v17, s2
	s_cselect_b32 s3, -1, 0
	s_cmp_lt_i32 s4, 1
	s_cbranch_scc1 .LBB92_16
; %bb.5:
	s_load_b128 s[8:11], s[0:1], 0x20
	v_mul_lo_u32 v17, v23, s7
	v_mul_lo_u32 v19, v23, s14
	;; [unrolled: 1-line block ×3, first 2 shown]
	v_cndmask_b32_e64 v43, v18, v20, s2
	v_mov_b32_e32 v22, 0
	s_and_saveexec_b32 s2, vcc_lo
	s_cbranch_execz .LBB92_7
; %bb.6:
	v_sub_f32_e32 v50, v25, v25
	v_cmp_le_i32_e64 s0, s5, v43
	v_cmp_gt_i32_e64 s1, s6, v43
	v_subrev_nc_u32_e32 v51, s5, v43
	v_ashrrev_i32_e32 v22, 31, v21
	v_mul_f32_e32 v18, 0x3fb8aa3b, v50
	s_delay_alu instid0(VALU_DEP_4) | instskip(NEXT) | instid1(SALU_CYCLE_1)
	s_and_b32 s0, s0, s1
	s_and_b32 s0, s17, s0
	s_delay_alu instid0(VALU_DEP_1) | instskip(SKIP_2) | instid1(VALU_DEP_3)
	v_rndne_f32_e32 v46, v18
	v_fma_f32 v20, 0x3fb8aa3b, v50, -v18
	v_lshlrev_b64 v[48:49], 2, v[21:22]
	v_sub_f32_e32 v18, v18, v46
	s_delay_alu instid0(VALU_DEP_3) | instskip(NEXT) | instid1(VALU_DEP_1)
	v_fmamk_f32 v20, v50, 0x32a5705f, v20
	v_add_f32_e32 v20, v18, v20
	v_ashrrev_i32_e32 v18, 31, v17
	s_delay_alu instid0(VALU_DEP_2) | instskip(NEXT) | instid1(VALU_DEP_1)
	v_exp_f32_e32 v52, v20
	v_lshlrev_b64 v[44:45], 2, v[17:18]
	v_ashrrev_i32_e32 v20, 31, v19
	v_cvt_i32_f32_e32 v18, v46
	s_delay_alu instid0(VALU_DEP_2) | instskip(SKIP_2) | instid1(VALU_DEP_1)
	v_lshlrev_b64 v[46:47], 2, v[19:20]
	v_cndmask_b32_e64 v20, 0x200, v51, s0
	v_add_co_u32 v44, s0, s12, v44
	v_add_co_ci_u32_e64 v45, s0, s13, v45, s0
	s_delay_alu instid0(TRANS32_DEP_1) | instskip(SKIP_1) | instid1(VALU_DEP_1)
	v_ldexp_f32 v18, v52, v18
	v_cmp_ngt_f32_e64 s0, 0xc2ce8ed0, v50
	v_cndmask_b32_e64 v18, 0, v18, s0
	s_waitcnt lgkmcnt(0)
	v_add_co_u32 v46, s0, s8, v46
	s_delay_alu instid0(VALU_DEP_1) | instskip(SKIP_1) | instid1(VALU_DEP_1)
	v_add_co_ci_u32_e64 v47, s0, s9, v47, s0
	v_cmp_nlt_f32_e64 s0, 0x42b17218, v50
	v_cndmask_b32_e64 v22, 0x7f800000, v18, s0
	v_add_co_u32 v48, s0, s10, v48
	s_delay_alu instid0(VALU_DEP_1)
	v_add_co_ci_u32_e64 v49, s0, s11, v49, s0
	global_store_b32 v[46:47], v20, off
	global_store_b32 v[44:45], v22, off
	;; [unrolled: 1-line block ×3, first 2 shown]
.LBB92_7:
	s_or_b32 exec_lo, exec_lo, s2
	v_ashrrev_i32_e32 v20, 31, v43
	s_mov_b32 s1, exec_lo
	s_delay_alu instid0(VALU_DEP_1) | instskip(NEXT) | instid1(VALU_DEP_1)
	v_lshrrev_b32_e32 v18, 28, v20
	v_add_nc_u32_e32 v18, v43, v18
	s_delay_alu instid0(VALU_DEP_1) | instskip(NEXT) | instid1(VALU_DEP_1)
	v_ashrrev_i32_e32 v18, 4, v18
	v_lshrrev_b32_e32 v44, 27, v18
	s_delay_alu instid0(VALU_DEP_1) | instskip(NEXT) | instid1(VALU_DEP_1)
	v_add_nc_u32_e32 v44, v18, v44
	v_and_b32_e32 v44, 0xffffffe0, v44
	s_delay_alu instid0(VALU_DEP_1) | instskip(NEXT) | instid1(VALU_DEP_1)
	v_sub_nc_u32_e32 v44, v18, v44
	v_cmpx_eq_u32_e64 v24, v44
	s_cbranch_execz .LBB92_9
; %bb.8:
	v_lshrrev_b32_e32 v20, 23, v20
	v_lshlrev_b32_e32 v18, 4, v18
	s_delay_alu instid0(VALU_DEP_2) | instskip(NEXT) | instid1(VALU_DEP_2)
	v_add_nc_u32_e32 v20, v43, v20
	v_sub_nc_u32_e32 v18, v43, v18
	s_delay_alu instid0(VALU_DEP_2) | instskip(NEXT) | instid1(VALU_DEP_1)
	v_ashrrev_i32_e32 v20, 9, v20
	v_lshl_add_u32 v18, v20, 4, v18
	s_delay_alu instid0(VALU_DEP_1) | instskip(NEXT) | instid1(VALU_DEP_1)
	v_cmp_ne_u32_e64 s0, 15, v18
	v_cndmask_b32_e64 v3, 0xff800000, v3, s0
	v_cmp_ne_u32_e64 s0, 14, v18
	s_delay_alu instid0(VALU_DEP_1) | instskip(SKIP_1) | instid1(VALU_DEP_1)
	v_cndmask_b32_e64 v2, 0xff800000, v2, s0
	v_cmp_ne_u32_e64 s0, 13, v18
	v_cndmask_b32_e64 v1, 0xff800000, v1, s0
	v_cmp_ne_u32_e64 s0, 12, v18
	s_delay_alu instid0(VALU_DEP_1) | instskip(SKIP_1) | instid1(VALU_DEP_1)
	v_cndmask_b32_e64 v0, 0xff800000, v0, s0
	;; [unrolled: 5-line block ×7, first 2 shown]
	v_cmp_ne_u32_e64 s0, 1, v18
	v_cndmask_b32_e64 v13, 0xff800000, v13, s0
	v_cmp_ne_u32_e64 s0, 0, v18
	s_delay_alu instid0(VALU_DEP_1)
	v_cndmask_b32_e64 v12, 0xff800000, v12, s0
.LBB92_9:
	s_or_b32 exec_lo, exec_lo, s1
	s_cmp_eq_u32 s4, 1
	s_cbranch_scc1 .LBB92_16
; %bb.10:
	v_add_nc_u32_e32 v20, s16, v16
	v_add_nc_u32_e32 v16, 1, v21
	v_add_nc_u32_e32 v18, 1, v19
	s_add_i32 s14, s4, -1
	s_mov_b32 s15, 0x76543210
	v_add3_u32 v42, v20, v42, s18
	v_add_nc_u32_e32 v20, 1, v17
	s_branch .LBB92_12
.LBB92_11:                              ;   in Loop: Header=BB92_12 Depth=1
	s_or_b32 exec_lo, exec_lo, s1
	v_add_nc_u32_e32 v42, s16, v42
	v_add_nc_u32_e32 v16, 1, v16
	;; [unrolled: 1-line block ×4, first 2 shown]
	s_add_i32 s14, s14, -1
	s_delay_alu instid0(SALU_CYCLE_1)
	s_cmp_eq_u32 s14, 0
	s_cbranch_scc1 .LBB92_16
.LBB92_12:                              ; =>This Inner Loop Header: Depth=1
	v_cmp_gt_f32_e64 s0, v13, v12
	s_delay_alu instid0(VALU_DEP_1) | instskip(SKIP_1) | instid1(VALU_DEP_2)
	v_cndmask_b32_e64 v19, v12, v13, s0
	v_cndmask_b32_e64 v17, v26, v27, s0
	v_cmp_gt_f32_e64 s0, v14, v19
	s_delay_alu instid0(VALU_DEP_1) | instskip(NEXT) | instid1(VALU_DEP_3)
	v_cndmask_b32_e64 v19, v19, v14, s0
	v_cndmask_b32_e64 v17, v17, v28, s0
	s_delay_alu instid0(VALU_DEP_2) | instskip(NEXT) | instid1(VALU_DEP_1)
	v_cmp_gt_f32_e64 s0, v15, v19
	v_cndmask_b32_e64 v19, v19, v15, s0
	s_delay_alu instid0(VALU_DEP_3) | instskip(NEXT) | instid1(VALU_DEP_2)
	v_cndmask_b32_e64 v17, v17, v29, s0
	v_cmp_gt_f32_e64 s0, v8, v19
	s_delay_alu instid0(VALU_DEP_1) | instskip(NEXT) | instid1(VALU_DEP_3)
	v_cndmask_b32_e64 v19, v19, v8, s0
	v_cndmask_b32_e64 v17, v17, v30, s0
	s_delay_alu instid0(VALU_DEP_2) | instskip(NEXT) | instid1(VALU_DEP_1)
	v_cmp_gt_f32_e64 s0, v9, v19
	v_cndmask_b32_e64 v19, v19, v9, s0
	s_delay_alu instid0(VALU_DEP_3) | instskip(NEXT) | instid1(VALU_DEP_2)
	;; [unrolled: 9-line block ×6, first 2 shown]
	v_cndmask_b32_e64 v17, v17, v39, s0
	v_cmp_gt_f32_e64 s0, v2, v19
	s_delay_alu instid0(VALU_DEP_1) | instskip(NEXT) | instid1(VALU_DEP_3)
	v_cndmask_b32_e64 v19, v19, v2, s0
	v_cndmask_b32_e64 v17, v17, v40, s0
	s_delay_alu instid0(VALU_DEP_2) | instskip(NEXT) | instid1(VALU_DEP_1)
	v_cmp_gt_f32_e64 s0, v3, v19
	v_cndmask_b32_e64 v17, v17, v41, s0
	v_cndmask_b32_e64 v19, v19, v3, s0
	s_delay_alu instid0(VALU_DEP_2) | instskip(NEXT) | instid1(VALU_DEP_2)
	v_mov_b32_dpp v21, v17 quad_perm:[1,0,3,2] row_mask:0xf bank_mask:0xf
	v_mov_b32_dpp v43, v19 quad_perm:[1,0,3,2] row_mask:0xf bank_mask:0xf
	s_delay_alu instid0(VALU_DEP_2) | instskip(NEXT) | instid1(VALU_DEP_2)
	v_cmp_lt_i32_e64 s0, v21, v17
	v_cmp_eq_f32_e64 s1, v19, v43
	v_cmp_lt_f32_e64 s2, v19, v43
	s_delay_alu instid0(VALU_DEP_2)
	s_and_b32 s0, s1, s0
	s_delay_alu instid0(VALU_DEP_1) | instid1(SALU_CYCLE_1)
	s_or_b32 s0, s2, s0
	s_delay_alu instid0(SALU_CYCLE_1) | instskip(SKIP_1) | instid1(VALU_DEP_2)
	v_cndmask_b32_e64 v19, v19, v43, s0
	v_cndmask_b32_e64 v17, v17, v21, s0
	v_mov_b32_dpp v21, v19 quad_perm:[2,3,0,1] row_mask:0xf bank_mask:0xf
	s_delay_alu instid0(VALU_DEP_2) | instskip(NEXT) | instid1(VALU_DEP_2)
	v_mov_b32_dpp v43, v17 quad_perm:[2,3,0,1] row_mask:0xf bank_mask:0xf
	v_cmp_eq_f32_e64 s0, v19, v21
	s_delay_alu instid0(VALU_DEP_2) | instskip(SKIP_1) | instid1(VALU_DEP_2)
	v_cmp_lt_i32_e64 s1, v43, v17
	v_cmp_lt_f32_e64 s2, v19, v21
	s_and_b32 s0, s0, s1
	s_delay_alu instid0(VALU_DEP_1) | instid1(SALU_CYCLE_1)
	s_or_b32 s0, s2, s0
	s_delay_alu instid0(SALU_CYCLE_1) | instskip(SKIP_1) | instid1(VALU_DEP_2)
	v_cndmask_b32_e64 v19, v19, v21, s0
	v_cndmask_b32_e64 v17, v17, v43, s0
	v_mov_b32_dpp v21, v19 row_xmask:7 row_mask:0xf bank_mask:0xf
	s_delay_alu instid0(VALU_DEP_2) | instskip(NEXT) | instid1(VALU_DEP_2)
	v_mov_b32_dpp v43, v17 row_xmask:7 row_mask:0xf bank_mask:0xf
	v_cmp_eq_f32_e64 s0, v19, v21
	s_delay_alu instid0(VALU_DEP_2) | instskip(SKIP_1) | instid1(VALU_DEP_2)
	v_cmp_lt_i32_e64 s1, v43, v17
	v_cmp_lt_f32_e64 s2, v19, v21
	s_and_b32 s0, s0, s1
	s_delay_alu instid0(VALU_DEP_1) | instid1(SALU_CYCLE_1)
	s_or_b32 s0, s2, s0
	s_delay_alu instid0(SALU_CYCLE_1) | instskip(SKIP_1) | instid1(VALU_DEP_2)
	v_cndmask_b32_e64 v19, v19, v21, s0
	v_cndmask_b32_e64 v21, v17, v43, s0
	v_mov_b32_dpp v17, v19 row_xmask:15 row_mask:0xf bank_mask:0xf
	s_delay_alu instid0(VALU_DEP_2) | instskip(NEXT) | instid1(VALU_DEP_2)
	v_mov_b32_dpp v43, v21 row_xmask:15 row_mask:0xf bank_mask:0xf
	v_cmp_eq_f32_e64 s0, v19, v17
	s_delay_alu instid0(VALU_DEP_2) | instskip(SKIP_1) | instid1(VALU_DEP_2)
	v_cmp_lt_i32_e64 s1, v43, v21
	v_cmp_lt_f32_e64 s2, v19, v17
	s_and_b32 s0, s0, s1
	s_delay_alu instid0(VALU_DEP_1) | instid1(SALU_CYCLE_1)
	s_or_b32 s0, s2, s0
	s_delay_alu instid0(SALU_CYCLE_1) | instskip(SKIP_1) | instid1(VALU_DEP_2)
	v_cndmask_b32_e64 v17, v19, v17, s0
	v_cndmask_b32_e64 v21, v21, v43, s0
	v_permlanex16_b32 v19, v17, s15, 0xfedcba98 op_sel:[1,1]
	s_delay_alu instid0(VALU_DEP_2) | instskip(NEXT) | instid1(VALU_DEP_2)
	v_permlanex16_b32 v43, v21, s15, 0xfedcba98 op_sel:[1,1]
	v_cmp_eq_f32_e64 s0, v17, v19
	s_delay_alu instid0(VALU_DEP_2) | instskip(SKIP_1) | instid1(VALU_DEP_2)
	v_cmp_lt_i32_e64 s1, v43, v21
	v_cmp_lt_f32_e64 s2, v17, v19
	s_and_b32 s0, s0, s1
	s_delay_alu instid0(VALU_DEP_1) | instid1(SALU_CYCLE_1)
	s_or_b32 s0, s2, s0
	s_delay_alu instid0(SALU_CYCLE_1)
	v_cndmask_b32_e64 v43, v21, v43, s0
	s_and_saveexec_b32 s2, vcc_lo
	s_cbranch_execz .LBB92_14
; %bb.13:                               ;   in Loop: Header=BB92_12 Depth=1
	v_cndmask_b32_e64 v17, v17, v19, s0
	s_delay_alu instid0(VALU_DEP_2) | instskip(SKIP_4) | instid1(VALU_DEP_4)
	v_cmp_le_i32_e64 s0, s5, v43
	v_cmp_gt_i32_e64 s1, s6, v43
	v_ashrrev_i32_e32 v21, 31, v20
	v_subrev_nc_u32_e32 v51, s5, v43
	v_sub_f32_e32 v50, v17, v25
	s_and_b32 s0, s0, s1
	s_delay_alu instid0(SALU_CYCLE_1) | instskip(NEXT) | instid1(VALU_DEP_1)
	s_and_b32 s0, s17, s0
	v_mul_f32_e32 v17, 0x3fb8aa3b, v50
	s_delay_alu instid0(VALU_DEP_1) | instskip(SKIP_1) | instid1(VALU_DEP_2)
	v_fma_f32 v19, 0x3fb8aa3b, v50, -v17
	v_rndne_f32_e32 v44, v17
	v_fmac_f32_e32 v19, 0x32a5705f, v50
	s_delay_alu instid0(VALU_DEP_2) | instskip(SKIP_2) | instid1(VALU_DEP_3)
	v_sub_f32_e32 v17, v17, v44
	v_cvt_i32_f32_e32 v49, v44
	v_lshlrev_b64 v[44:45], 2, v[20:21]
	v_add_f32_e32 v17, v17, v19
	v_ashrrev_i32_e32 v19, 31, v18
	s_delay_alu instid0(VALU_DEP_2) | instskip(SKIP_1) | instid1(VALU_DEP_2)
	v_exp_f32_e32 v48, v17
	v_ashrrev_i32_e32 v17, 31, v16
	v_lshlrev_b64 v[46:47], 2, v[18:19]
	s_waitcnt_depctr 0xfff
	v_ldexp_f32 v19, v48, v49
	v_lshlrev_b64 v[48:49], 2, v[16:17]
	v_cndmask_b32_e64 v17, 0x200, v51, s0
	v_cmp_ngt_f32_e64 s0, 0xc2ce8ed0, v50
	s_delay_alu instid0(VALU_DEP_1) | instskip(SKIP_1) | instid1(VALU_DEP_1)
	v_cndmask_b32_e64 v19, 0, v19, s0
	v_add_co_u32 v44, s0, s12, v44
	v_add_co_ci_u32_e64 v45, s0, s13, v45, s0
	v_cmp_nlt_f32_e64 s0, 0x42b17218, v50
	s_delay_alu instid0(VALU_DEP_1) | instskip(SKIP_2) | instid1(VALU_DEP_1)
	v_cndmask_b32_e64 v19, 0x7f800000, v19, s0
	s_waitcnt lgkmcnt(0)
	v_add_co_u32 v46, s0, s8, v46
	v_add_co_ci_u32_e64 v47, s0, s9, v47, s0
	s_delay_alu instid0(VALU_DEP_3) | instskip(SKIP_1) | instid1(VALU_DEP_1)
	v_add_f32_e32 v22, v22, v19
	v_add_co_u32 v48, s0, s10, v48
	v_add_co_ci_u32_e64 v49, s0, s11, v49, s0
	global_store_b32 v[44:45], v19, off
	global_store_b32 v[46:47], v17, off
	;; [unrolled: 1-line block ×3, first 2 shown]
.LBB92_14:                              ;   in Loop: Header=BB92_12 Depth=1
	s_or_b32 exec_lo, exec_lo, s2
	s_delay_alu instid0(VALU_DEP_1) | instskip(SKIP_1) | instid1(VALU_DEP_1)
	v_ashrrev_i32_e32 v19, 31, v43
	s_mov_b32 s1, exec_lo
	v_lshrrev_b32_e32 v17, 28, v19
	s_delay_alu instid0(VALU_DEP_1) | instskip(NEXT) | instid1(VALU_DEP_1)
	v_add_nc_u32_e32 v17, v43, v17
	v_ashrrev_i32_e32 v17, 4, v17
	s_delay_alu instid0(VALU_DEP_1) | instskip(NEXT) | instid1(VALU_DEP_1)
	v_lshrrev_b32_e32 v21, 27, v17
	v_add_nc_u32_e32 v21, v17, v21
	s_delay_alu instid0(VALU_DEP_1) | instskip(NEXT) | instid1(VALU_DEP_1)
	v_and_b32_e32 v21, 0xffffffe0, v21
	v_sub_nc_u32_e32 v21, v17, v21
	s_delay_alu instid0(VALU_DEP_1)
	v_cmpx_eq_u32_e64 v24, v21
	s_cbranch_execz .LBB92_11
; %bb.15:                               ;   in Loop: Header=BB92_12 Depth=1
	v_lshrrev_b32_e32 v19, 23, v19
	v_lshlrev_b32_e32 v17, 4, v17
	s_delay_alu instid0(VALU_DEP_2) | instskip(NEXT) | instid1(VALU_DEP_2)
	v_add_nc_u32_e32 v19, v43, v19
	v_sub_nc_u32_e32 v17, v43, v17
	s_delay_alu instid0(VALU_DEP_2) | instskip(NEXT) | instid1(VALU_DEP_1)
	v_ashrrev_i32_e32 v19, 9, v19
	v_lshl_add_u32 v17, v19, 4, v17
	s_delay_alu instid0(VALU_DEP_1) | instskip(NEXT) | instid1(VALU_DEP_1)
	v_cmp_ne_u32_e64 s0, 15, v17
	v_cndmask_b32_e64 v3, 0xff800000, v3, s0
	v_cmp_ne_u32_e64 s0, 14, v17
	s_delay_alu instid0(VALU_DEP_1) | instskip(SKIP_1) | instid1(VALU_DEP_1)
	v_cndmask_b32_e64 v2, 0xff800000, v2, s0
	v_cmp_ne_u32_e64 s0, 13, v17
	v_cndmask_b32_e64 v1, 0xff800000, v1, s0
	v_cmp_ne_u32_e64 s0, 12, v17
	s_delay_alu instid0(VALU_DEP_1) | instskip(SKIP_1) | instid1(VALU_DEP_1)
	v_cndmask_b32_e64 v0, 0xff800000, v0, s0
	;; [unrolled: 5-line block ×7, first 2 shown]
	v_cmp_ne_u32_e64 s0, 1, v17
	v_cndmask_b32_e64 v13, 0xff800000, v13, s0
	v_cmp_ne_u32_e64 s0, 0, v17
	s_delay_alu instid0(VALU_DEP_1)
	v_cndmask_b32_e64 v12, 0xff800000, v12, s0
	s_branch .LBB92_11
.LBB92_16:
	s_delay_alu instid0(VALU_DEP_1) | instskip(SKIP_3) | instid1(VALU_DEP_4)
	v_sub_f32_e32 v15, v15, v25
	v_sub_f32_e32 v12, v12, v25
	;; [unrolled: 1-line block ×4, first 2 shown]
	v_dual_sub_f32 v2, v2, v25 :: v_dual_mul_f32 v27, 0x3fb8aa3b, v15
	s_delay_alu instid0(VALU_DEP_4) | instskip(SKIP_2) | instid1(VALU_DEP_4)
	v_dual_sub_f32 v13, v13, v25 :: v_dual_mul_f32 v16, 0x3fb8aa3b, v12
	v_cmp_ngt_f32_e32 vcc_lo, 0xc2ce8ed0, v12
	v_sub_f32_e32 v9, v9, v25
	v_rndne_f32_e32 v30, v27
	s_delay_alu instid0(VALU_DEP_4)
	v_mul_f32_e32 v17, 0x3fb8aa3b, v13
	v_fma_f32 v18, 0x3fb8aa3b, v12, -v16
	v_rndne_f32_e32 v19, v16
	v_sub_f32_e32 v11, v11, v25
	v_sub_f32_e32 v5, v5, v25
	v_rndne_f32_e32 v21, v17
	v_fmac_f32_e32 v18, 0x32a5705f, v12
	v_sub_f32_e32 v16, v16, v19
	v_fma_f32 v29, 0x3fb8aa3b, v15, -v27
	v_sub_f32_e32 v8, v8, v25
	v_fma_f32 v20, 0x3fb8aa3b, v13, -v17
	v_sub_f32_e32 v17, v17, v21
	v_cvt_i32_f32_e32 v19, v19
	v_dual_fmac_f32 v29, 0x32a5705f, v15 :: v_dual_add_f32 v16, v16, v18
	s_delay_alu instid0(VALU_DEP_4)
	v_fmac_f32_e32 v20, 0x32a5705f, v13
	v_cvt_i32_f32_e32 v21, v21
	v_sub_f32_e32 v4, v4, v25
	v_sub_f32_e32 v7, v7, v25
	v_exp_f32_e32 v16, v16
	v_sub_f32_e32 v1, v1, v25
	s_waitcnt_depctr 0xfff
	v_ldexp_f32 v16, v16, v19
	v_dual_sub_f32 v19, v27, v30 :: v_dual_sub_f32 v14, v14, v25
	v_add_f32_e32 v17, v17, v20
	s_delay_alu instid0(VALU_DEP_3) | instskip(SKIP_1) | instid1(VALU_DEP_4)
	v_cndmask_b32_e32 v16, 0, v16, vcc_lo
	v_cmp_ngt_f32_e32 vcc_lo, 0xc2ce8ed0, v13
	v_mul_f32_e32 v26, 0x3fb8aa3b, v14
	s_delay_alu instid0(VALU_DEP_4) | instskip(SKIP_1) | instid1(VALU_DEP_2)
	v_exp_f32_e32 v17, v17
	v_add_f32_e32 v19, v19, v29
	v_fma_f32 v18, 0x3fb8aa3b, v14, -v26
	v_rndne_f32_e32 v20, v26
	s_delay_alu instid0(VALU_DEP_3) | instskip(SKIP_2) | instid1(VALU_DEP_1)
	v_exp_f32_e32 v19, v19
	s_waitcnt_depctr 0xfff
	v_ldexp_f32 v17, v17, v21
	v_dual_mul_f32 v28, 0x3fb8aa3b, v8 :: v_dual_cndmask_b32 v17, 0, v17
	v_cmp_nlt_f32_e32 vcc_lo, 0x42b17218, v12
	v_cndmask_b32_e32 v12, 0x7f800000, v16, vcc_lo
	v_cmp_nlt_f32_e32 vcc_lo, 0x42b17218, v13
	v_sub_f32_e32 v26, v26, v20
	v_cvt_i32_f32_e32 v20, v20
	v_fma_f32 v16, 0x3fb8aa3b, v8, -v28
	v_cndmask_b32_e32 v13, 0x7f800000, v17, vcc_lo
	v_cmp_ngt_f32_e32 vcc_lo, 0xc2ce8ed0, v14
	v_fmac_f32_e32 v18, 0x32a5705f, v14
	s_delay_alu instid0(VALU_DEP_3) | instskip(NEXT) | instid1(VALU_DEP_2)
	v_add_f32_e32 v12, v12, v13
	v_add_f32_e32 v18, v26, v18
	s_delay_alu instid0(VALU_DEP_1) | instskip(SKIP_3) | instid1(VALU_DEP_2)
	v_exp_f32_e32 v18, v18
	s_waitcnt_depctr 0xfff
	v_ldexp_f32 v17, v18, v20
	v_rndne_f32_e32 v18, v28
	v_cndmask_b32_e32 v13, 0, v17, vcc_lo
	v_cvt_i32_f32_e32 v17, v30
	v_cmp_nlt_f32_e32 vcc_lo, 0x42b17218, v14
	s_delay_alu instid0(VALU_DEP_4) | instskip(NEXT) | instid1(VALU_DEP_3)
	v_sub_f32_e32 v20, v28, v18
	v_ldexp_f32 v14, v19, v17
	v_cndmask_b32_e32 v13, 0x7f800000, v13, vcc_lo
	v_cmp_ngt_f32_e32 vcc_lo, 0xc2ce8ed0, v15
	v_mul_f32_e32 v17, 0x3fb8aa3b, v9
	s_delay_alu instid0(VALU_DEP_3) | instskip(SKIP_1) | instid1(VALU_DEP_3)
	v_dual_add_f32 v12, v12, v13 :: v_dual_cndmask_b32 v13, 0, v14
	v_cmp_nlt_f32_e32 vcc_lo, 0x42b17218, v15
	v_rndne_f32_e32 v19, v17
	v_cvt_i32_f32_e32 v15, v18
	v_mul_f32_e32 v18, 0x3fb8aa3b, v10
	v_cndmask_b32_e32 v13, 0x7f800000, v13, vcc_lo
	v_cmp_ngt_f32_e32 vcc_lo, 0xc2ce8ed0, v8
	v_fmac_f32_e32 v16, 0x32a5705f, v8
	s_delay_alu instid0(VALU_DEP_3) | instskip(NEXT) | instid1(VALU_DEP_2)
	v_add_f32_e32 v12, v12, v13
	v_add_f32_e32 v16, v20, v16
	s_delay_alu instid0(VALU_DEP_1) | instskip(SKIP_1) | instid1(VALU_DEP_1)
	v_exp_f32_e32 v14, v16
	v_fma_f32 v16, 0x3fb8aa3b, v9, -v17
	v_dual_sub_f32 v17, v17, v19 :: v_dual_fmac_f32 v16, 0x32a5705f, v9
	s_waitcnt_depctr 0xfff
	v_ldexp_f32 v13, v14, v15
	v_add_f32_e32 v14, v17, v16
	v_fma_f32 v15, 0x3fb8aa3b, v10, -v18
	v_rndne_f32_e32 v16, v18
	s_delay_alu instid0(VALU_DEP_4) | instskip(NEXT) | instid1(VALU_DEP_4)
	v_cndmask_b32_e32 v13, 0, v13, vcc_lo
	v_exp_f32_e32 v14, v14
	s_delay_alu instid0(VALU_DEP_3) | instskip(NEXT) | instid1(VALU_DEP_3)
	v_fmac_f32_e32 v15, 0x32a5705f, v10
	v_sub_f32_e32 v17, v18, v16
	v_cmp_nlt_f32_e32 vcc_lo, 0x42b17218, v8
	v_cvt_i32_f32_e32 v16, v16
	s_delay_alu instid0(VALU_DEP_3) | instskip(SKIP_3) | instid1(VALU_DEP_4)
	v_dual_add_f32 v15, v17, v15 :: v_dual_cndmask_b32 v8, 0x7f800000, v13
	v_cvt_i32_f32_e32 v13, v19
	v_mul_f32_e32 v17, 0x3fb8aa3b, v11
	v_cmp_ngt_f32_e32 vcc_lo, 0xc2ce8ed0, v9
	v_add_f32_e32 v8, v12, v8
	s_delay_alu instid0(VALU_DEP_4) | instskip(SKIP_3) | instid1(VALU_DEP_3)
	v_ldexp_f32 v12, v14, v13
	v_exp_f32_e32 v13, v15
	v_fma_f32 v14, 0x3fb8aa3b, v11, -v17
	v_rndne_f32_e32 v15, v17
	v_cndmask_b32_e32 v12, 0, v12, vcc_lo
	v_cmp_nlt_f32_e32 vcc_lo, 0x42b17218, v9
	s_delay_alu instid0(VALU_DEP_3) | instskip(NEXT) | instid1(VALU_DEP_3)
	v_sub_f32_e32 v17, v17, v15
	v_cndmask_b32_e32 v9, 0x7f800000, v12, vcc_lo
	s_delay_alu instid0(TRANS32_DEP_1) | instskip(SKIP_3) | instid1(VALU_DEP_4)
	v_ldexp_f32 v12, v13, v16
	v_cmp_ngt_f32_e32 vcc_lo, 0xc2ce8ed0, v10
	v_fmac_f32_e32 v14, 0x32a5705f, v11
	v_mul_f32_e32 v16, 0x3fb8aa3b, v5
	v_dual_add_f32 v8, v8, v9 :: v_dual_cndmask_b32 v9, 0, v12
	s_delay_alu instid0(VALU_DEP_3) | instskip(SKIP_3) | instid1(VALU_DEP_4)
	v_add_f32_e32 v13, v17, v14
	v_cmp_nlt_f32_e32 vcc_lo, 0x42b17218, v10
	v_cvt_i32_f32_e32 v10, v15
	v_mul_f32_e32 v17, 0x3fb8aa3b, v7
	v_exp_f32_e32 v12, v13
	v_mul_f32_e32 v13, 0x3fb8aa3b, v4
	s_delay_alu instid0(VALU_DEP_1) | instskip(SKIP_3) | instid1(VALU_DEP_4)
	v_fma_f32 v14, 0x3fb8aa3b, v4, -v13
	v_rndne_f32_e32 v15, v13
	v_cndmask_b32_e32 v9, 0x7f800000, v9, vcc_lo
	v_cmp_ngt_f32_e32 vcc_lo, 0xc2ce8ed0, v11
	v_fmac_f32_e32 v14, 0x32a5705f, v4
	s_delay_alu instid0(VALU_DEP_3) | instskip(NEXT) | instid1(TRANS32_DEP_1)
	v_add_f32_e32 v8, v8, v9
	v_ldexp_f32 v9, v12, v10
	v_sub_f32_e32 v10, v13, v15
	v_fma_f32 v12, 0x3fb8aa3b, v5, -v16
	v_rndne_f32_e32 v13, v16
	v_cvt_i32_f32_e32 v15, v15
	v_cndmask_b32_e32 v9, 0, v9, vcc_lo
	v_cmp_nlt_f32_e32 vcc_lo, 0x42b17218, v11
	v_add_f32_e32 v10, v10, v14
	v_fmac_f32_e32 v12, 0x32a5705f, v5
	v_sub_f32_e32 v14, v16, v13
	v_cndmask_b32_e32 v9, 0x7f800000, v9, vcc_lo
	s_delay_alu instid0(VALU_DEP_4) | instskip(SKIP_1) | instid1(VALU_DEP_2)
	v_exp_f32_e32 v10, v10
	v_cmp_ngt_f32_e32 vcc_lo, 0xc2ce8ed0, v4
	v_dual_add_f32 v11, v14, v12 :: v_dual_add_f32 v8, v8, v9
	s_delay_alu instid0(VALU_DEP_1)
	v_exp_f32_e32 v11, v11
	s_waitcnt_depctr 0xfff
	v_ldexp_f32 v9, v10, v15
	v_cvt_i32_f32_e32 v10, v13
	v_fma_f32 v13, 0x3fb8aa3b, v7, -v17
	v_sub_f32_e32 v6, v6, v25
	v_rndne_f32_e32 v15, v17
	v_cndmask_b32_e32 v9, 0, v9, vcc_lo
	v_cmp_nlt_f32_e32 vcc_lo, 0x42b17218, v4
	v_fmac_f32_e32 v13, 0x32a5705f, v7
	v_mul_f32_e32 v16, 0x3fb8aa3b, v6
	v_ldexp_f32 v10, v11, v10
	v_cndmask_b32_e32 v4, 0x7f800000, v9, vcc_lo
	v_cmp_ngt_f32_e32 vcc_lo, 0xc2ce8ed0, v5
	s_delay_alu instid0(VALU_DEP_4) | instskip(SKIP_2) | instid1(VALU_DEP_3)
	v_fma_f32 v12, 0x3fb8aa3b, v6, -v16
	v_rndne_f32_e32 v14, v16
	v_cndmask_b32_e32 v10, 0, v10, vcc_lo
	v_fmac_f32_e32 v12, 0x32a5705f, v6
	s_delay_alu instid0(VALU_DEP_3) | instskip(SKIP_2) | instid1(VALU_DEP_3)
	v_sub_f32_e32 v16, v16, v14
	v_cmp_nlt_f32_e32 vcc_lo, 0x42b17218, v5
	v_cvt_i32_f32_e32 v9, v14
	v_dual_add_f32 v12, v16, v12 :: v_dual_cndmask_b32 v5, 0x7f800000, v10
	v_mul_f32_e32 v10, 0x3fb8aa3b, v2
	v_cmp_ngt_f32_e32 vcc_lo, 0xc2ce8ed0, v6
	s_delay_alu instid0(VALU_DEP_3) | instskip(SKIP_1) | instid1(VALU_DEP_1)
	v_exp_f32_e32 v11, v12
	v_sub_f32_e32 v12, v17, v15
	v_dual_add_f32 v12, v12, v13 :: v_dual_mul_f32 v13, 0x3fb8aa3b, v3
	v_add_f32_e32 v4, v8, v4
	s_waitcnt_depctr 0xfff
	v_ldexp_f32 v8, v11, v9
	v_fma_f32 v11, 0x3fb8aa3b, v2, -v10
	v_rndne_f32_e32 v14, v13
	v_sub_f32_e32 v0, v0, v25
	v_add_f32_e32 v4, v4, v5
	v_cvt_i32_f32_e32 v5, v15
	v_fmac_f32_e32 v11, 0x32a5705f, v2
	v_exp_f32_e32 v9, v12
	v_cndmask_b32_e32 v8, 0, v8, vcc_lo
	v_cmp_nlt_f32_e32 vcc_lo, 0x42b17218, v6
	v_rndne_f32_e32 v12, v10
	s_delay_alu instid0(VALU_DEP_3) | instskip(SKIP_2) | instid1(TRANS32_DEP_1)
	v_cndmask_b32_e32 v6, 0x7f800000, v8, vcc_lo
	v_mul_f32_e32 v8, 0x3fb8aa3b, v0
	v_cmp_ngt_f32_e32 vcc_lo, 0xc2ce8ed0, v7
	v_ldexp_f32 v5, v9, v5
	s_delay_alu instid0(VALU_DEP_4) | instskip(NEXT) | instid1(VALU_DEP_4)
	v_add_f32_e32 v4, v4, v6
	v_fma_f32 v6, 0x3fb8aa3b, v0, -v8
	v_rndne_f32_e32 v9, v8
	s_delay_alu instid0(VALU_DEP_4)
	v_cndmask_b32_e32 v5, 0, v5, vcc_lo
	v_cmp_nlt_f32_e32 vcc_lo, 0x42b17218, v7
	v_mul_f32_e32 v7, 0x3fb8aa3b, v1
	v_fmac_f32_e32 v6, 0x32a5705f, v0
	v_sub_f32_e32 v8, v8, v9
	v_cvt_i32_f32_e32 v9, v9
	s_delay_alu instid0(VALU_DEP_2) | instskip(SKIP_1) | instid1(VALU_DEP_2)
	v_dual_cndmask_b32 v5, 0x7f800000, v5 :: v_dual_add_f32 v6, v8, v6
	v_rndne_f32_e32 v8, v7
	v_add_f32_e32 v4, v4, v5
	v_fma_f32 v5, 0x3fb8aa3b, v1, -v7
	s_delay_alu instid0(VALU_DEP_4) | instskip(NEXT) | instid1(VALU_DEP_3)
	v_exp_f32_e32 v6, v6
	v_sub_f32_e32 v7, v7, v8
	v_cvt_i32_f32_e32 v8, v8
	s_delay_alu instid0(VALU_DEP_3) | instskip(NEXT) | instid1(VALU_DEP_1)
	v_fmac_f32_e32 v5, 0x32a5705f, v1
	v_add_f32_e32 v5, v7, v5
	v_sub_f32_e32 v7, v10, v12
	s_waitcnt_depctr 0xfff
	v_ldexp_f32 v6, v6, v9
	v_sub_f32_e32 v9, v13, v14
	v_cmp_ngt_f32_e32 vcc_lo, 0xc2ce8ed0, v0
	v_exp_f32_e32 v5, v5
	s_delay_alu instid0(VALU_DEP_3) | instskip(SKIP_2) | instid1(VALU_DEP_3)
	v_dual_add_f32 v7, v7, v11 :: v_dual_cndmask_b32 v6, 0, v6
	v_fma_f32 v10, 0x3fb8aa3b, v3, -v13
	v_cmp_nlt_f32_e32 vcc_lo, 0x42b17218, v0
	v_exp_f32_e32 v7, v7
	s_delay_alu instid0(VALU_DEP_2)
	v_fmac_f32_e32 v10, 0x32a5705f, v3
	s_waitcnt_depctr 0xfff
	v_ldexp_f32 v5, v5, v8
	v_cndmask_b32_e32 v0, 0x7f800000, v6, vcc_lo
	v_cmp_ngt_f32_e32 vcc_lo, 0xc2ce8ed0, v1
	v_cvt_i32_f32_e32 v6, v12
	s_delay_alu instid0(VALU_DEP_3) | instskip(SKIP_2) | instid1(VALU_DEP_3)
	v_dual_add_f32 v9, v9, v10 :: v_dual_add_f32 v0, v4, v0
	v_cndmask_b32_e32 v5, 0, v5, vcc_lo
	v_cmp_nlt_f32_e32 vcc_lo, 0x42b17218, v1
	v_exp_f32_e32 v8, v9
	v_ldexp_f32 v4, v7, v6
	v_cvt_i32_f32_e32 v6, v14
	v_cndmask_b32_e32 v1, 0x7f800000, v5, vcc_lo
	v_cmp_ngt_f32_e32 vcc_lo, 0xc2ce8ed0, v2
	s_delay_alu instid0(VALU_DEP_2) | instskip(SKIP_2) | instid1(TRANS32_DEP_1)
	v_add_f32_e32 v0, v0, v1
	v_cndmask_b32_e32 v4, 0, v4, vcc_lo
	v_cmp_nlt_f32_e32 vcc_lo, 0x42b17218, v2
	v_ldexp_f32 v5, v8, v6
	s_delay_alu instid0(VALU_DEP_3) | instskip(SKIP_1) | instid1(VALU_DEP_2)
	v_cndmask_b32_e32 v1, 0x7f800000, v4, vcc_lo
	v_cmp_ngt_f32_e32 vcc_lo, 0xc2ce8ed0, v3
	v_add_f32_e32 v0, v0, v1
	s_delay_alu instid0(VALU_DEP_4) | instskip(SKIP_1) | instid1(VALU_DEP_2)
	v_cndmask_b32_e32 v2, 0, v5, vcc_lo
	v_cmp_nlt_f32_e32 vcc_lo, 0x42b17218, v3
	v_cndmask_b32_e32 v1, 0x7f800000, v2, vcc_lo
	v_cmp_eq_u32_e32 vcc_lo, 0, v24
	s_delay_alu instid0(VALU_DEP_2) | instskip(NEXT) | instid1(VALU_DEP_1)
	v_add_f32_e32 v0, v0, v1
	v_mov_b32_dpp v1, v0 quad_perm:[1,0,3,2] row_mask:0xf bank_mask:0xf
	s_delay_alu instid0(VALU_DEP_1) | instskip(NEXT) | instid1(VALU_DEP_1)
	v_add_f32_e32 v0, v0, v1
	v_mov_b32_dpp v1, v0 quad_perm:[2,3,0,1] row_mask:0xf bank_mask:0xf
	s_delay_alu instid0(VALU_DEP_1) | instskip(NEXT) | instid1(VALU_DEP_1)
	v_add_f32_e32 v0, v0, v1
	v_mov_b32_dpp v1, v0 row_xmask:7 row_mask:0xf bank_mask:0xf
	s_delay_alu instid0(VALU_DEP_1) | instskip(NEXT) | instid1(VALU_DEP_1)
	v_add_f32_e32 v0, v0, v1
	v_mov_b32_dpp v1, v0 row_xmask:15 row_mask:0xf bank_mask:0xf
	s_and_b32 exec_lo, exec_lo, vcc_lo
	s_cbranch_execz .LBB92_21
; %bb.17:
	s_delay_alu instid0(VALU_DEP_1)
	v_add_f32_e32 v0, v0, v1
	s_mov_b32 s0, 0x76543210
	s_delay_alu instid0(VALU_DEP_1) | instid1(SALU_CYCLE_1)
	v_permlanex16_b32 v1, v0, s0, 0xfedcba98 op_sel:[1,1]
	s_delay_alu instid0(VALU_DEP_1) | instskip(NEXT) | instid1(VALU_DEP_1)
	v_add_f32_e32 v0, v0, v1
	v_add_f32_e32 v0, v22, v0
	s_delay_alu instid0(VALU_DEP_1)
	v_cmp_neq_f32_e32 vcc_lo, 0, v0
	s_and_b32 exec_lo, exec_lo, vcc_lo
	s_cbranch_execz .LBB92_21
; %bb.18:
	s_and_not1_b32 vcc_lo, exec_lo, s3
	s_cbranch_vccnz .LBB92_21
; %bb.19:
	v_div_scale_f32 v2, null, v0, v0, 1.0
	v_div_scale_f32 v4, vcc_lo, 1.0, v0, 1.0
	s_delay_alu instid0(VALU_DEP_2) | instskip(SKIP_2) | instid1(VALU_DEP_1)
	v_rcp_f32_e32 v3, v2
	s_waitcnt_depctr 0xfff
	v_fma_f32 v1, -v2, v3, 1.0
	v_fmac_f32_e32 v3, v1, v3
	v_mul_lo_u32 v1, v23, s7
	s_delay_alu instid0(VALU_DEP_2) | instskip(NEXT) | instid1(VALU_DEP_1)
	v_mul_f32_e32 v5, v4, v3
	v_fma_f32 v6, -v2, v5, v4
	s_delay_alu instid0(VALU_DEP_1) | instskip(NEXT) | instid1(VALU_DEP_1)
	v_fmac_f32_e32 v5, v6, v3
	v_fma_f32 v4, -v2, v5, v4
	v_ashrrev_i32_e32 v2, 31, v1
	s_delay_alu instid0(VALU_DEP_2) | instskip(NEXT) | instid1(VALU_DEP_2)
	v_div_fmas_f32 v5, v4, v3, v5
	v_lshlrev_b64 v[3:4], 2, v[1:2]
	s_delay_alu instid0(VALU_DEP_2) | instskip(NEXT) | instid1(VALU_DEP_2)
	v_div_fixup_f32 v2, v5, v0, 1.0
	v_add_co_u32 v0, vcc_lo, s12, v3
	s_delay_alu instid0(VALU_DEP_3)
	v_add_co_ci_u32_e32 v1, vcc_lo, s13, v4, vcc_lo
.LBB92_20:                              ; =>This Inner Loop Header: Depth=1
	global_load_b32 v3, v[0:1], off
	s_add_i32 s4, s4, -1
	s_delay_alu instid0(SALU_CYCLE_1)
	s_cmp_lg_u32 s4, 0
	s_waitcnt vmcnt(0)
	v_mul_f32_e32 v3, v2, v3
	global_store_b32 v[0:1], v3, off
	v_add_co_u32 v0, vcc_lo, v0, 4
	v_add_co_ci_u32_e32 v1, vcc_lo, 0, v1, vcc_lo
	s_cbranch_scc1 .LBB92_20
.LBB92_21:
	s_nop 0
	s_sendmsg sendmsg(MSG_DEALLOC_VGPRS)
	s_endpgm
	.section	.rodata,"a",@progbits
	.p2align	6, 0x0
	.amdhsa_kernel _ZN4vllm3moe17topkGatingSoftmaxIfLi16ELi512ELi2ELi64ELb0ELi0ELNS0_23SharedExpertScoringFuncE0EEEvPKT_PKbPfiPiS9_iiiiii
		.amdhsa_group_segment_fixed_size 0
		.amdhsa_private_segment_fixed_size 0
		.amdhsa_kernarg_size 72
		.amdhsa_user_sgpr_count 15
		.amdhsa_user_sgpr_dispatch_ptr 0
		.amdhsa_user_sgpr_queue_ptr 0
		.amdhsa_user_sgpr_kernarg_segment_ptr 1
		.amdhsa_user_sgpr_dispatch_id 0
		.amdhsa_user_sgpr_private_segment_size 0
		.amdhsa_wavefront_size32 1
		.amdhsa_uses_dynamic_stack 0
		.amdhsa_enable_private_segment 0
		.amdhsa_system_sgpr_workgroup_id_x 1
		.amdhsa_system_sgpr_workgroup_id_y 0
		.amdhsa_system_sgpr_workgroup_id_z 0
		.amdhsa_system_sgpr_workgroup_info 0
		.amdhsa_system_vgpr_workitem_id 1
		.amdhsa_next_free_vgpr 53
		.amdhsa_next_free_sgpr 19
		.amdhsa_reserve_vcc 1
		.amdhsa_float_round_mode_32 0
		.amdhsa_float_round_mode_16_64 0
		.amdhsa_float_denorm_mode_32 3
		.amdhsa_float_denorm_mode_16_64 3
		.amdhsa_dx10_clamp 1
		.amdhsa_ieee_mode 1
		.amdhsa_fp16_overflow 0
		.amdhsa_workgroup_processor_mode 1
		.amdhsa_memory_ordered 1
		.amdhsa_forward_progress 0
		.amdhsa_shared_vgpr_count 0
		.amdhsa_exception_fp_ieee_invalid_op 0
		.amdhsa_exception_fp_denorm_src 0
		.amdhsa_exception_fp_ieee_div_zero 0
		.amdhsa_exception_fp_ieee_overflow 0
		.amdhsa_exception_fp_ieee_underflow 0
		.amdhsa_exception_fp_ieee_inexact 0
		.amdhsa_exception_int_div_zero 0
	.end_amdhsa_kernel
	.section	.text._ZN4vllm3moe17topkGatingSoftmaxIfLi16ELi512ELi2ELi64ELb0ELi0ELNS0_23SharedExpertScoringFuncE0EEEvPKT_PKbPfiPiS9_iiiiii,"axG",@progbits,_ZN4vllm3moe17topkGatingSoftmaxIfLi16ELi512ELi2ELi64ELb0ELi0ELNS0_23SharedExpertScoringFuncE0EEEvPKT_PKbPfiPiS9_iiiiii,comdat
.Lfunc_end92:
	.size	_ZN4vllm3moe17topkGatingSoftmaxIfLi16ELi512ELi2ELi64ELb0ELi0ELNS0_23SharedExpertScoringFuncE0EEEvPKT_PKbPfiPiS9_iiiiii, .Lfunc_end92-_ZN4vllm3moe17topkGatingSoftmaxIfLi16ELi512ELi2ELi64ELb0ELi0ELNS0_23SharedExpertScoringFuncE0EEEvPKT_PKbPfiPiS9_iiiiii
                                        ; -- End function
	.section	.AMDGPU.csdata,"",@progbits
; Kernel info:
; codeLenInByte = 5492
; NumSgprs: 21
; NumVgprs: 53
; ScratchSize: 0
; MemoryBound: 0
; FloatMode: 240
; IeeeMode: 1
; LDSByteSize: 0 bytes/workgroup (compile time only)
; SGPRBlocks: 2
; VGPRBlocks: 6
; NumSGPRsForWavesPerEU: 21
; NumVGPRsForWavesPerEU: 53
; Occupancy: 16
; WaveLimiterHint : 0
; COMPUTE_PGM_RSRC2:SCRATCH_EN: 0
; COMPUTE_PGM_RSRC2:USER_SGPR: 15
; COMPUTE_PGM_RSRC2:TRAP_HANDLER: 0
; COMPUTE_PGM_RSRC2:TGID_X_EN: 1
; COMPUTE_PGM_RSRC2:TGID_Y_EN: 0
; COMPUTE_PGM_RSRC2:TGID_Z_EN: 0
; COMPUTE_PGM_RSRC2:TIDIG_COMP_CNT: 1
	.section	.text._ZN4vllm3moe17topkGatingSoftmaxIfLi16ELi512ELi2ELi64ELb1ELi1ELNS0_23SharedExpertScoringFuncE1EEEvPKT_PKbPfiPiS9_iiiiii,"axG",@progbits,_ZN4vllm3moe17topkGatingSoftmaxIfLi16ELi512ELi2ELi64ELb1ELi1ELNS0_23SharedExpertScoringFuncE1EEEvPKT_PKbPfiPiS9_iiiiii,comdat
	.protected	_ZN4vllm3moe17topkGatingSoftmaxIfLi16ELi512ELi2ELi64ELb1ELi1ELNS0_23SharedExpertScoringFuncE1EEEvPKT_PKbPfiPiS9_iiiiii ; -- Begin function _ZN4vllm3moe17topkGatingSoftmaxIfLi16ELi512ELi2ELi64ELb1ELi1ELNS0_23SharedExpertScoringFuncE1EEEvPKT_PKbPfiPiS9_iiiiii
	.globl	_ZN4vllm3moe17topkGatingSoftmaxIfLi16ELi512ELi2ELi64ELb1ELi1ELNS0_23SharedExpertScoringFuncE1EEEvPKT_PKbPfiPiS9_iiiiii
	.p2align	8
	.type	_ZN4vllm3moe17topkGatingSoftmaxIfLi16ELi512ELi2ELi64ELb1ELi1ELNS0_23SharedExpertScoringFuncE1EEEvPKT_PKbPfiPiS9_iiiiii,@function
_ZN4vllm3moe17topkGatingSoftmaxIfLi16ELi512ELi2ELi64ELb1ELi1ELNS0_23SharedExpertScoringFuncE1EEEvPKT_PKbPfiPiS9_iiiiii: ; @_ZN4vllm3moe17topkGatingSoftmaxIfLi16ELi512ELi2ELi64ELb1ELi1ELNS0_23SharedExpertScoringFuncE1EEEvPKT_PKbPfiPiS9_iiiiii
; %bb.0:
	s_load_b32 s16, s[0:1], 0x18
	v_and_b32_e32 v1, 0x3ff, v0
	v_bfe_u32 v42, v0, 10, 10
	s_lshl_b32 s18, s15, 1
	s_mov_b32 s2, exec_lo
	s_delay_alu instid0(VALU_DEP_2) | instskip(NEXT) | instid1(VALU_DEP_1)
	v_lshrrev_b32_e32 v41, 5, v1
	v_add3_u32 v23, s18, v42, v41
	s_waitcnt lgkmcnt(0)
	s_delay_alu instid0(VALU_DEP_1)
	v_cmpx_gt_i32_e64 s16, v23
	s_cbranch_execz .LBB93_22
; %bb.1:
	s_clause 0x1
	s_load_b128 s[4:7], s[0:1], 0x0
	s_load_b64 s[12:13], s[0:1], 0x10
	s_waitcnt lgkmcnt(0)
	s_cmp_eq_u64 s[6:7], 0
	s_cbranch_scc1 .LBB93_3
; %bb.2:
	v_ashrrev_i32_e32 v0, 31, v23
	v_add_co_u32 v2, vcc_lo, s6, v23
	s_delay_alu instid0(VALU_DEP_2) | instskip(SKIP_3) | instid1(VALU_DEP_1)
	v_add_co_ci_u32_e32 v3, vcc_lo, s7, v0, vcc_lo
	global_load_u8 v0, v[2:3], off
	s_waitcnt vmcnt(0)
	v_and_b32_e32 v0, 1, v0
	v_cmp_eq_u32_e32 vcc_lo, 1, v0
	s_xor_b32 s2, vcc_lo, -1
	s_delay_alu instid0(SALU_CYCLE_1)
	s_or_not1_b32 s17, s2, exec_lo
	s_branch .LBB93_4
.LBB93_3:
	s_mov_b32 s17, -1
.LBB93_4:
	s_clause 0x1
	s_load_b64 s[14:15], s[0:1], 0x40
	s_load_b128 s[8:11], s[0:1], 0x30
	v_and_b32_e32 v24, 31, v1
	s_delay_alu instid0(VALU_DEP_1) | instskip(SKIP_3) | instid1(VALU_DEP_1)
	v_dual_mov_b32 v22, 0 :: v_dual_lshlrev_b32 v25, 4, v24
	v_cmp_eq_u32_e64 s2, 0, v24
	s_waitcnt lgkmcnt(0)
	v_mul_lo_u32 v2, v23, s15
	v_ashrrev_i32_e32 v3, 31, v2
	s_delay_alu instid0(VALU_DEP_1) | instskip(SKIP_1) | instid1(VALU_DEP_2)
	v_lshlrev_b64 v[0:1], 2, v[2:3]
	v_lshlrev_b32_e32 v2, 6, v24
	v_add_co_u32 v16, vcc_lo, s4, v0
	s_delay_alu instid0(VALU_DEP_3) | instskip(NEXT) | instid1(VALU_DEP_2)
	v_add_co_ci_u32_e32 v17, vcc_lo, s5, v1, vcc_lo
	v_add_co_u32 v12, vcc_lo, v16, v2
	s_delay_alu instid0(VALU_DEP_2)
	v_add_co_ci_u32_e32 v13, vcc_lo, 0, v17, vcc_lo
	s_clause 0x3
	global_load_b128 v[0:3], v[12:13], off offset:48
	global_load_b128 v[4:7], v[12:13], off offset:32
	;; [unrolled: 1-line block ×3, first 2 shown]
	global_load_b128 v[12:15], v[12:13], off
	s_and_saveexec_b32 s3, s2
	s_cbranch_execz .LBB93_6
; %bb.5:
	global_load_b32 v16, v[16:17], off offset:2048
	s_waitcnt vmcnt(0)
	v_mul_f32_e32 v17, 0xbfb8aa3b, v16
	v_cmp_nlt_f32_e32 vcc_lo, 0x42ce8ed0, v16
	s_delay_alu instid0(VALU_DEP_2) | instskip(SKIP_1) | instid1(VALU_DEP_2)
	v_rndne_f32_e32 v18, v17
	v_fma_f32 v19, 0xbfb8aa3b, v16, -v17
	v_sub_f32_e32 v17, v17, v18
	s_delay_alu instid0(VALU_DEP_2) | instskip(SKIP_1) | instid1(VALU_DEP_2)
	v_fmamk_f32 v19, v16, 0xb2a5705f, v19
	v_cvt_i32_f32_e32 v18, v18
	v_add_f32_e32 v17, v17, v19
	s_delay_alu instid0(VALU_DEP_1) | instskip(SKIP_2) | instid1(VALU_DEP_1)
	v_exp_f32_e32 v17, v17
	s_waitcnt_depctr 0xfff
	v_ldexp_f32 v17, v17, v18
	v_cndmask_b32_e32 v17, 0, v17, vcc_lo
	v_cmp_ngt_f32_e32 vcc_lo, 0xc2b17218, v16
	s_delay_alu instid0(VALU_DEP_2) | instskip(NEXT) | instid1(VALU_DEP_1)
	v_cndmask_b32_e32 v16, 0x7f800000, v17, vcc_lo
	v_add_f32_e32 v18, 1.0, v16
	s_delay_alu instid0(VALU_DEP_1) | instskip(SKIP_1) | instid1(VALU_DEP_2)
	v_div_scale_f32 v19, null, v18, v18, 1.0
	v_div_scale_f32 v21, vcc_lo, 1.0, v18, 1.0
	v_rcp_f32_e32 v20, v19
	s_waitcnt_depctr 0xfff
	v_fma_f32 v16, -v19, v20, 1.0
	s_delay_alu instid0(VALU_DEP_1) | instskip(SKIP_1) | instid1(VALU_DEP_2)
	v_fmac_f32_e32 v20, v16, v20
	v_mad_u64_u32 v[16:17], null, v23, s11, s[8:9]
	v_mul_f32_e32 v26, v21, v20
	s_delay_alu instid0(VALU_DEP_2) | instskip(NEXT) | instid1(VALU_DEP_2)
	v_ashrrev_i32_e32 v17, 31, v16
	v_fma_f32 v27, -v19, v26, v21
	s_delay_alu instid0(VALU_DEP_2) | instskip(NEXT) | instid1(VALU_DEP_2)
	v_lshlrev_b64 v[16:17], 2, v[16:17]
	v_fmac_f32_e32 v26, v27, v20
	s_delay_alu instid0(VALU_DEP_1) | instskip(NEXT) | instid1(VALU_DEP_1)
	v_fma_f32 v19, -v19, v26, v21
	v_div_fmas_f32 v19, v19, v20, v26
	s_delay_alu instid0(VALU_DEP_4) | instskip(SKIP_1) | instid1(VALU_DEP_3)
	v_add_co_u32 v16, vcc_lo, s12, v16
	v_add_co_ci_u32_e32 v17, vcc_lo, s13, v17, vcc_lo
	v_div_fixup_f32 v18, v19, v18, 1.0
	global_store_b32 v[16:17], v18, off
.LBB93_6:
	s_or_b32 exec_lo, exec_lo, s3
	v_or_b32_e32 v26, 1, v25
	s_waitcnt vmcnt(0)
	v_cmp_lt_f32_e32 vcc_lo, v12, v13
	v_or_b32_e32 v27, 2, v25
	v_or_b32_e32 v28, 3, v25
	;; [unrolled: 1-line block ×4, first 2 shown]
	v_dual_cndmask_b32 v16, v25, v26 :: v_dual_cndmask_b32 v17, v12, v13
	v_or_b32_e32 v31, 6, v25
	v_or_b32_e32 v32, 7, v25
	v_or_b32_e32 v33, 8, v25
	v_or_b32_e32 v34, 9, v25
	v_cmp_lt_f32_e32 vcc_lo, v17, v14
	v_or_b32_e32 v35, 10, v25
	v_or_b32_e32 v36, 11, v25
	;; [unrolled: 1-line block ×4, first 2 shown]
	v_dual_cndmask_b32 v16, v16, v27 :: v_dual_cndmask_b32 v17, v17, v14
	v_or_b32_e32 v39, 14, v25
	v_or_b32_e32 v40, 15, v25
	s_delay_alu instid0(VALU_DEP_3) | instskip(NEXT) | instid1(VALU_DEP_4)
	v_cmp_lt_f32_e32 vcc_lo, v17, v15
	v_dual_cndmask_b32 v16, v16, v28 :: v_dual_cndmask_b32 v17, v17, v15
	s_delay_alu instid0(VALU_DEP_1) | instskip(NEXT) | instid1(VALU_DEP_2)
	v_cmp_lt_f32_e32 vcc_lo, v17, v8
	v_dual_cndmask_b32 v16, v16, v29 :: v_dual_cndmask_b32 v17, v17, v8
	s_delay_alu instid0(VALU_DEP_1) | instskip(NEXT) | instid1(VALU_DEP_2)
	;; [unrolled: 3-line block ×13, first 2 shown]
	v_mov_b32_dpp v18, v16 quad_perm:[1,0,3,2] row_mask:0xf bank_mask:0xf
	v_mov_b32_dpp v19, v17 quad_perm:[1,0,3,2] row_mask:0xf bank_mask:0xf
	s_delay_alu instid0(VALU_DEP_2) | instskip(NEXT) | instid1(VALU_DEP_2)
	v_cmp_lt_i32_e32 vcc_lo, v18, v16
	v_cmp_eq_f32_e64 s3, v17, v19
	v_cmp_lt_f32_e64 s4, v17, v19
	s_delay_alu instid0(VALU_DEP_2)
	s_and_b32 s3, s3, vcc_lo
	s_delay_alu instid0(VALU_DEP_1) | instid1(SALU_CYCLE_1)
	s_or_b32 vcc_lo, s4, s3
	v_dual_cndmask_b32 v17, v17, v19 :: v_dual_cndmask_b32 v16, v16, v18
	s_delay_alu instid0(VALU_DEP_1) | instskip(NEXT) | instid1(VALU_DEP_2)
	v_mov_b32_dpp v18, v17 quad_perm:[2,3,0,1] row_mask:0xf bank_mask:0xf
	v_mov_b32_dpp v19, v16 quad_perm:[2,3,0,1] row_mask:0xf bank_mask:0xf
	s_delay_alu instid0(VALU_DEP_2) | instskip(NEXT) | instid1(VALU_DEP_2)
	v_cmp_eq_f32_e32 vcc_lo, v17, v18
	v_cmp_lt_i32_e64 s3, v19, v16
	v_cmp_lt_f32_e64 s4, v17, v18
	s_delay_alu instid0(VALU_DEP_2)
	s_and_b32 s3, vcc_lo, s3
	s_delay_alu instid0(VALU_DEP_1) | instid1(SALU_CYCLE_1)
	s_or_b32 vcc_lo, s4, s3
	v_dual_cndmask_b32 v17, v17, v18 :: v_dual_cndmask_b32 v18, v16, v19
	s_delay_alu instid0(VALU_DEP_1) | instskip(NEXT) | instid1(VALU_DEP_2)
	v_mov_b32_dpp v16, v17 row_xmask:7 row_mask:0xf bank_mask:0xf
	v_mov_b32_dpp v19, v18 row_xmask:7 row_mask:0xf bank_mask:0xf
	s_delay_alu instid0(VALU_DEP_2) | instskip(NEXT) | instid1(VALU_DEP_2)
	v_cmp_eq_f32_e32 vcc_lo, v17, v16
	v_cmp_lt_i32_e64 s3, v19, v18
	v_cmp_lt_f32_e64 s4, v17, v16
	s_delay_alu instid0(VALU_DEP_2)
	s_and_b32 s3, vcc_lo, s3
	s_delay_alu instid0(VALU_DEP_1) | instid1(SALU_CYCLE_1)
	s_or_b32 vcc_lo, s4, s3
	s_cmp_gt_i32 s8, 0
	v_dual_cndmask_b32 v16, v17, v16 :: v_dual_cndmask_b32 v17, v18, v19
	s_cselect_b32 s15, -1, 0
	s_delay_alu instid0(SALU_CYCLE_1) | instskip(NEXT) | instid1(VALU_DEP_1)
	s_and_b32 vcc_lo, exec_lo, s15
	v_mov_b32_dpp v18, v16 row_xmask:15 row_mask:0xf bank_mask:0xf
	s_delay_alu instid0(VALU_DEP_2) | instskip(NEXT) | instid1(VALU_DEP_2)
	v_mov_b32_dpp v19, v17 row_xmask:15 row_mask:0xf bank_mask:0xf
	v_cmp_lt_f32_e64 s3, v16, v18
	v_cmp_eq_f32_e64 s4, v16, v18
	s_delay_alu instid0(VALU_DEP_3)
	v_cmp_lt_i32_e64 s5, v19, v17
	s_cbranch_vccz .LBB93_18
; %bb.7:
	s_delay_alu instid0(VALU_DEP_1)
	s_and_b32 s4, s4, s5
	v_mul_lo_u32 v21, v23, s8
	s_or_b32 vcc_lo, s3, s4
	s_mov_b32 s3, 0x76543210
	v_cndmask_b32_e32 v18, v16, v18, vcc_lo
	s_load_b128 s[4:7], s[0:1], 0x20
	s_delay_alu instid0(VALU_DEP_1) | instskip(SKIP_3) | instid1(VALU_DEP_4)
	v_permlanex16_b32 v20, v18, s3, 0xfedcba98 op_sel:[1,1]
	v_cndmask_b32_e32 v16, v17, v19, vcc_lo
	v_mul_lo_u32 v17, v23, s11
	v_mul_lo_u32 v19, v23, s14
	v_cmp_eq_f32_e32 vcc_lo, v18, v20
	s_delay_alu instid0(VALU_DEP_4) | instskip(SKIP_1) | instid1(VALU_DEP_2)
	v_permlanex16_b32 v22, v16, s3, 0xfedcba98 op_sel:[1,1]
	v_cmp_lt_f32_e64 s1, v18, v20
	v_cmp_lt_i32_e64 s0, v22, v16
	s_delay_alu instid0(VALU_DEP_1)
	s_and_b32 s0, vcc_lo, s0
	s_delay_alu instid0(VALU_DEP_2) | instid1(SALU_CYCLE_1)
	s_or_b32 vcc_lo, s1, s0
	v_dual_cndmask_b32 v43, v18, v20 :: v_dual_cndmask_b32 v16, v16, v22
	v_mov_b32_e32 v22, 0
	s_and_saveexec_b32 s1, s2
	s_cbranch_execz .LBB93_9
; %bb.8:
	s_delay_alu instid0(VALU_DEP_2)
	v_sub_f32_e32 v50, v43, v43
	v_cmp_le_i32_e32 vcc_lo, s9, v16
	v_cmp_gt_i32_e64 s0, s10, v16
	v_subrev_nc_u32_e32 v51, s9, v16
	v_ashrrev_i32_e32 v22, 31, v21
	v_mul_f32_e32 v18, 0x3fb8aa3b, v50
	s_delay_alu instid0(VALU_DEP_4) | instskip(NEXT) | instid1(SALU_CYCLE_1)
	s_and_b32 s0, vcc_lo, s0
	s_and_b32 vcc_lo, s17, s0
	s_delay_alu instid0(VALU_DEP_1) | instskip(SKIP_2) | instid1(VALU_DEP_3)
	v_rndne_f32_e32 v46, v18
	v_fma_f32 v20, 0x3fb8aa3b, v50, -v18
	v_lshlrev_b64 v[48:49], 2, v[21:22]
	v_sub_f32_e32 v18, v18, v46
	s_delay_alu instid0(VALU_DEP_3) | instskip(NEXT) | instid1(VALU_DEP_1)
	v_fmamk_f32 v20, v50, 0x32a5705f, v20
	v_add_f32_e32 v20, v18, v20
	v_ashrrev_i32_e32 v18, 31, v17
	s_delay_alu instid0(VALU_DEP_2) | instskip(NEXT) | instid1(VALU_DEP_1)
	v_exp_f32_e32 v52, v20
	v_lshlrev_b64 v[44:45], 2, v[17:18]
	v_ashrrev_i32_e32 v20, 31, v19
	v_cvt_i32_f32_e32 v18, v46
	s_delay_alu instid0(VALU_DEP_2) | instskip(SKIP_3) | instid1(TRANS32_DEP_1)
	v_lshlrev_b64 v[46:47], 2, v[19:20]
	v_cndmask_b32_e32 v20, 0x200, v51, vcc_lo
	v_add_co_u32 v44, vcc_lo, s12, v44
	v_add_co_ci_u32_e32 v45, vcc_lo, s13, v45, vcc_lo
	v_ldexp_f32 v18, v52, v18
	v_cmp_ngt_f32_e32 vcc_lo, 0xc2ce8ed0, v50
	s_delay_alu instid0(VALU_DEP_2)
	v_cndmask_b32_e32 v18, 0, v18, vcc_lo
	s_waitcnt lgkmcnt(0)
	v_add_co_u32 v46, vcc_lo, s4, v46
	v_add_co_ci_u32_e32 v47, vcc_lo, s5, v47, vcc_lo
	v_cmp_nlt_f32_e32 vcc_lo, 0x42b17218, v50
	v_cndmask_b32_e32 v22, 0x7f800000, v18, vcc_lo
	v_add_co_u32 v48, vcc_lo, s6, v48
	v_add_co_ci_u32_e32 v49, vcc_lo, s7, v49, vcc_lo
	global_store_b32 v[46:47], v20, off
	global_store_b32 v[44:45], v22, off
	;; [unrolled: 1-line block ×3, first 2 shown]
.LBB93_9:
	s_or_b32 exec_lo, exec_lo, s1
	v_ashrrev_i32_e32 v20, 31, v16
	s_mov_b32 s0, exec_lo
	s_delay_alu instid0(VALU_DEP_1) | instskip(NEXT) | instid1(VALU_DEP_1)
	v_lshrrev_b32_e32 v18, 28, v20
	v_add_nc_u32_e32 v18, v16, v18
	s_delay_alu instid0(VALU_DEP_1) | instskip(NEXT) | instid1(VALU_DEP_1)
	v_ashrrev_i32_e32 v18, 4, v18
	v_lshrrev_b32_e32 v44, 27, v18
	s_delay_alu instid0(VALU_DEP_1) | instskip(NEXT) | instid1(VALU_DEP_1)
	v_add_nc_u32_e32 v44, v18, v44
	v_and_b32_e32 v44, 0xffffffe0, v44
	s_delay_alu instid0(VALU_DEP_1) | instskip(NEXT) | instid1(VALU_DEP_1)
	v_sub_nc_u32_e32 v44, v18, v44
	v_cmpx_eq_u32_e64 v24, v44
	s_cbranch_execz .LBB93_11
; %bb.10:
	v_lshrrev_b32_e32 v20, 23, v20
	v_lshlrev_b32_e32 v18, 4, v18
	s_delay_alu instid0(VALU_DEP_2) | instskip(NEXT) | instid1(VALU_DEP_2)
	v_add_nc_u32_e32 v20, v16, v20
	v_sub_nc_u32_e32 v16, v16, v18
	s_delay_alu instid0(VALU_DEP_2) | instskip(NEXT) | instid1(VALU_DEP_1)
	v_ashrrev_i32_e32 v18, 9, v20
	v_lshl_add_u32 v16, v18, 4, v16
	s_delay_alu instid0(VALU_DEP_1)
	v_cmp_ne_u32_e32 vcc_lo, 15, v16
	v_cndmask_b32_e32 v3, 0xff800000, v3, vcc_lo
	v_cmp_ne_u32_e32 vcc_lo, 14, v16
	v_cndmask_b32_e32 v2, 0xff800000, v2, vcc_lo
	;; [unrolled: 2-line block ×16, first 2 shown]
.LBB93_11:
	s_or_b32 exec_lo, exec_lo, s0
	s_cmp_eq_u32 s8, 1
	s_cbranch_scc1 .LBB93_18
; %bb.12:
	v_add_nc_u32_e32 v20, s16, v42
	v_add_nc_u32_e32 v16, 1, v21
	;; [unrolled: 1-line block ×3, first 2 shown]
	s_add_i32 s3, s8, -1
	s_mov_b32 s14, 0x76543210
	v_add3_u32 v41, v20, v41, s18
	v_add_nc_u32_e32 v20, 1, v17
	s_branch .LBB93_14
.LBB93_13:                              ;   in Loop: Header=BB93_14 Depth=1
	s_or_b32 exec_lo, exec_lo, s0
	v_add_nc_u32_e32 v41, s16, v41
	v_add_nc_u32_e32 v16, 1, v16
	v_add_nc_u32_e32 v18, 1, v18
	v_add_nc_u32_e32 v20, 1, v20
	s_add_i32 s3, s3, -1
	s_delay_alu instid0(SALU_CYCLE_1)
	s_cmp_eq_u32 s3, 0
	s_cbranch_scc1 .LBB93_18
.LBB93_14:                              ; =>This Inner Loop Header: Depth=1
	v_cmp_gt_f32_e32 vcc_lo, v13, v12
	v_cndmask_b32_e32 v19, v12, v13, vcc_lo
	v_cndmask_b32_e32 v17, v25, v26, vcc_lo
	s_delay_alu instid0(VALU_DEP_2) | instskip(SKIP_1) | instid1(VALU_DEP_3)
	v_cmp_gt_f32_e32 vcc_lo, v14, v19
	v_cndmask_b32_e32 v19, v19, v14, vcc_lo
	v_cndmask_b32_e32 v17, v17, v27, vcc_lo
	s_delay_alu instid0(VALU_DEP_2) | instskip(SKIP_1) | instid1(VALU_DEP_3)
	;; [unrolled: 4-line block ×13, first 2 shown]
	v_cmp_gt_f32_e32 vcc_lo, v2, v19
	v_cndmask_b32_e32 v19, v19, v2, vcc_lo
	v_cndmask_b32_e32 v17, v17, v39, vcc_lo
	s_delay_alu instid0(VALU_DEP_2) | instskip(NEXT) | instid1(VALU_DEP_2)
	v_cmp_gt_f32_e32 vcc_lo, v3, v19
	v_cndmask_b32_e32 v17, v17, v40, vcc_lo
	v_cndmask_b32_e32 v19, v19, v3, vcc_lo
	s_delay_alu instid0(VALU_DEP_2) | instskip(NEXT) | instid1(VALU_DEP_2)
	v_mov_b32_dpp v21, v17 quad_perm:[1,0,3,2] row_mask:0xf bank_mask:0xf
	v_mov_b32_dpp v42, v19 quad_perm:[1,0,3,2] row_mask:0xf bank_mask:0xf
	s_delay_alu instid0(VALU_DEP_2) | instskip(NEXT) | instid1(VALU_DEP_2)
	v_cmp_lt_i32_e32 vcc_lo, v21, v17
	v_cmp_eq_f32_e64 s0, v19, v42
	v_cmp_lt_f32_e64 s1, v19, v42
	s_delay_alu instid0(VALU_DEP_2)
	s_and_b32 s0, s0, vcc_lo
	s_delay_alu instid0(VALU_DEP_1) | instid1(SALU_CYCLE_1)
	s_or_b32 vcc_lo, s1, s0
	v_cndmask_b32_e32 v19, v19, v42, vcc_lo
	v_cndmask_b32_e32 v17, v17, v21, vcc_lo
	s_delay_alu instid0(VALU_DEP_2) | instskip(NEXT) | instid1(VALU_DEP_2)
	v_mov_b32_dpp v21, v19 quad_perm:[2,3,0,1] row_mask:0xf bank_mask:0xf
	v_mov_b32_dpp v42, v17 quad_perm:[2,3,0,1] row_mask:0xf bank_mask:0xf
	s_delay_alu instid0(VALU_DEP_2) | instskip(NEXT) | instid1(VALU_DEP_2)
	v_cmp_eq_f32_e32 vcc_lo, v19, v21
	v_cmp_lt_i32_e64 s0, v42, v17
	v_cmp_lt_f32_e64 s1, v19, v21
	s_delay_alu instid0(VALU_DEP_2)
	s_and_b32 s0, vcc_lo, s0
	s_delay_alu instid0(VALU_DEP_1) | instid1(SALU_CYCLE_1)
	s_or_b32 vcc_lo, s1, s0
	v_cndmask_b32_e32 v19, v19, v21, vcc_lo
	v_cndmask_b32_e32 v17, v17, v42, vcc_lo
	s_delay_alu instid0(VALU_DEP_2) | instskip(NEXT) | instid1(VALU_DEP_2)
	v_mov_b32_dpp v21, v19 row_xmask:7 row_mask:0xf bank_mask:0xf
	v_mov_b32_dpp v42, v17 row_xmask:7 row_mask:0xf bank_mask:0xf
	s_delay_alu instid0(VALU_DEP_2) | instskip(NEXT) | instid1(VALU_DEP_2)
	v_cmp_eq_f32_e32 vcc_lo, v19, v21
	v_cmp_lt_i32_e64 s0, v42, v17
	v_cmp_lt_f32_e64 s1, v19, v21
	s_delay_alu instid0(VALU_DEP_2)
	s_and_b32 s0, vcc_lo, s0
	s_delay_alu instid0(VALU_DEP_1) | instid1(SALU_CYCLE_1)
	s_or_b32 vcc_lo, s1, s0
	v_cndmask_b32_e32 v19, v19, v21, vcc_lo
	v_cndmask_b32_e32 v21, v17, v42, vcc_lo
	s_delay_alu instid0(VALU_DEP_2) | instskip(NEXT) | instid1(VALU_DEP_2)
	v_mov_b32_dpp v17, v19 row_xmask:15 row_mask:0xf bank_mask:0xf
	v_mov_b32_dpp v42, v21 row_xmask:15 row_mask:0xf bank_mask:0xf
	s_delay_alu instid0(VALU_DEP_2) | instskip(NEXT) | instid1(VALU_DEP_2)
	v_cmp_eq_f32_e32 vcc_lo, v19, v17
	v_cmp_lt_i32_e64 s0, v42, v21
	v_cmp_lt_f32_e64 s1, v19, v17
	s_delay_alu instid0(VALU_DEP_2)
	s_and_b32 s0, vcc_lo, s0
	s_delay_alu instid0(VALU_DEP_1) | instid1(SALU_CYCLE_1)
	s_or_b32 vcc_lo, s1, s0
	v_cndmask_b32_e32 v17, v19, v17, vcc_lo
	v_cndmask_b32_e32 v21, v21, v42, vcc_lo
	s_delay_alu instid0(VALU_DEP_2) | instskip(NEXT) | instid1(VALU_DEP_2)
	v_permlanex16_b32 v19, v17, s14, 0xfedcba98 op_sel:[1,1]
	v_permlanex16_b32 v42, v21, s14, 0xfedcba98 op_sel:[1,1]
	s_delay_alu instid0(VALU_DEP_2) | instskip(NEXT) | instid1(VALU_DEP_2)
	v_cmp_eq_f32_e32 vcc_lo, v17, v19
	v_cmp_lt_i32_e64 s0, v42, v21
	v_cmp_lt_f32_e64 s1, v17, v19
	s_delay_alu instid0(VALU_DEP_2)
	s_and_b32 s0, vcc_lo, s0
	s_delay_alu instid0(VALU_DEP_1) | instid1(SALU_CYCLE_1)
	s_or_b32 vcc_lo, s1, s0
	v_cndmask_b32_e32 v42, v21, v42, vcc_lo
	s_and_saveexec_b32 s1, s2
	s_cbranch_execz .LBB93_16
; %bb.15:                               ;   in Loop: Header=BB93_14 Depth=1
	v_cndmask_b32_e32 v17, v17, v19, vcc_lo
	s_delay_alu instid0(VALU_DEP_2) | instskip(SKIP_4) | instid1(VALU_DEP_4)
	v_cmp_le_i32_e32 vcc_lo, s9, v42
	v_cmp_gt_i32_e64 s0, s10, v42
	v_ashrrev_i32_e32 v21, 31, v20
	v_subrev_nc_u32_e32 v51, s9, v42
	v_sub_f32_e32 v50, v17, v43
	s_and_b32 s0, vcc_lo, s0
	s_delay_alu instid0(SALU_CYCLE_1) | instskip(NEXT) | instid1(VALU_DEP_1)
	s_and_b32 vcc_lo, s17, s0
	v_mul_f32_e32 v17, 0x3fb8aa3b, v50
	s_delay_alu instid0(VALU_DEP_1) | instskip(SKIP_1) | instid1(VALU_DEP_2)
	v_fma_f32 v19, 0x3fb8aa3b, v50, -v17
	v_rndne_f32_e32 v44, v17
	v_fmac_f32_e32 v19, 0x32a5705f, v50
	s_delay_alu instid0(VALU_DEP_2) | instskip(SKIP_2) | instid1(VALU_DEP_3)
	v_sub_f32_e32 v17, v17, v44
	v_cvt_i32_f32_e32 v49, v44
	v_lshlrev_b64 v[44:45], 2, v[20:21]
	v_add_f32_e32 v17, v17, v19
	v_ashrrev_i32_e32 v19, 31, v18
	s_delay_alu instid0(VALU_DEP_2) | instskip(SKIP_1) | instid1(VALU_DEP_2)
	v_exp_f32_e32 v48, v17
	v_ashrrev_i32_e32 v17, 31, v16
	v_lshlrev_b64 v[46:47], 2, v[18:19]
	s_waitcnt_depctr 0xfff
	v_ldexp_f32 v19, v48, v49
	v_lshlrev_b64 v[48:49], 2, v[16:17]
	v_cndmask_b32_e32 v17, 0x200, v51, vcc_lo
	v_cmp_ngt_f32_e32 vcc_lo, 0xc2ce8ed0, v50
	s_delay_alu instid0(VALU_DEP_4) | instskip(SKIP_3) | instid1(VALU_DEP_4)
	v_cndmask_b32_e32 v19, 0, v19, vcc_lo
	v_add_co_u32 v44, vcc_lo, s12, v44
	v_add_co_ci_u32_e32 v45, vcc_lo, s13, v45, vcc_lo
	v_cmp_nlt_f32_e32 vcc_lo, 0x42b17218, v50
	v_cndmask_b32_e32 v19, 0x7f800000, v19, vcc_lo
	s_waitcnt lgkmcnt(0)
	v_add_co_u32 v46, vcc_lo, s4, v46
	v_add_co_ci_u32_e32 v47, vcc_lo, s5, v47, vcc_lo
	s_delay_alu instid0(VALU_DEP_3)
	v_add_f32_e32 v22, v22, v19
	v_add_co_u32 v48, vcc_lo, s6, v48
	v_add_co_ci_u32_e32 v49, vcc_lo, s7, v49, vcc_lo
	global_store_b32 v[44:45], v19, off
	global_store_b32 v[46:47], v17, off
	;; [unrolled: 1-line block ×3, first 2 shown]
.LBB93_16:                              ;   in Loop: Header=BB93_14 Depth=1
	s_or_b32 exec_lo, exec_lo, s1
	s_delay_alu instid0(VALU_DEP_1) | instskip(SKIP_1) | instid1(VALU_DEP_1)
	v_ashrrev_i32_e32 v19, 31, v42
	s_mov_b32 s0, exec_lo
	v_lshrrev_b32_e32 v17, 28, v19
	s_delay_alu instid0(VALU_DEP_1) | instskip(NEXT) | instid1(VALU_DEP_1)
	v_add_nc_u32_e32 v17, v42, v17
	v_ashrrev_i32_e32 v17, 4, v17
	s_delay_alu instid0(VALU_DEP_1) | instskip(NEXT) | instid1(VALU_DEP_1)
	v_lshrrev_b32_e32 v21, 27, v17
	v_add_nc_u32_e32 v21, v17, v21
	s_delay_alu instid0(VALU_DEP_1) | instskip(NEXT) | instid1(VALU_DEP_1)
	v_and_b32_e32 v21, 0xffffffe0, v21
	v_sub_nc_u32_e32 v21, v17, v21
	s_delay_alu instid0(VALU_DEP_1)
	v_cmpx_eq_u32_e64 v24, v21
	s_cbranch_execz .LBB93_13
; %bb.17:                               ;   in Loop: Header=BB93_14 Depth=1
	v_lshrrev_b32_e32 v19, 23, v19
	v_lshlrev_b32_e32 v17, 4, v17
	s_delay_alu instid0(VALU_DEP_2) | instskip(NEXT) | instid1(VALU_DEP_2)
	v_add_nc_u32_e32 v19, v42, v19
	v_sub_nc_u32_e32 v17, v42, v17
	s_delay_alu instid0(VALU_DEP_2) | instskip(NEXT) | instid1(VALU_DEP_1)
	v_ashrrev_i32_e32 v19, 9, v19
	v_lshl_add_u32 v17, v19, 4, v17
	s_delay_alu instid0(VALU_DEP_1)
	v_cmp_ne_u32_e32 vcc_lo, 15, v17
	v_cndmask_b32_e32 v3, 0xff800000, v3, vcc_lo
	v_cmp_ne_u32_e32 vcc_lo, 14, v17
	v_cndmask_b32_e32 v2, 0xff800000, v2, vcc_lo
	v_cmp_ne_u32_e32 vcc_lo, 13, v17
	v_cndmask_b32_e32 v1, 0xff800000, v1, vcc_lo
	v_cmp_ne_u32_e32 vcc_lo, 12, v17
	v_cndmask_b32_e32 v0, 0xff800000, v0, vcc_lo
	v_cmp_ne_u32_e32 vcc_lo, 11, v17
	v_cndmask_b32_e32 v7, 0xff800000, v7, vcc_lo
	v_cmp_ne_u32_e32 vcc_lo, 10, v17
	v_cndmask_b32_e32 v6, 0xff800000, v6, vcc_lo
	v_cmp_ne_u32_e32 vcc_lo, 9, v17
	v_cndmask_b32_e32 v5, 0xff800000, v5, vcc_lo
	v_cmp_ne_u32_e32 vcc_lo, 8, v17
	v_cndmask_b32_e32 v4, 0xff800000, v4, vcc_lo
	v_cmp_ne_u32_e32 vcc_lo, 7, v17
	v_cndmask_b32_e32 v11, 0xff800000, v11, vcc_lo
	v_cmp_ne_u32_e32 vcc_lo, 6, v17
	v_cndmask_b32_e32 v10, 0xff800000, v10, vcc_lo
	v_cmp_ne_u32_e32 vcc_lo, 5, v17
	v_cndmask_b32_e32 v9, 0xff800000, v9, vcc_lo
	v_cmp_ne_u32_e32 vcc_lo, 4, v17
	v_cndmask_b32_e32 v8, 0xff800000, v8, vcc_lo
	v_cmp_ne_u32_e32 vcc_lo, 3, v17
	v_cndmask_b32_e32 v15, 0xff800000, v15, vcc_lo
	v_cmp_ne_u32_e32 vcc_lo, 2, v17
	v_cndmask_b32_e32 v14, 0xff800000, v14, vcc_lo
	v_cmp_ne_u32_e32 vcc_lo, 1, v17
	v_cndmask_b32_e32 v13, 0xff800000, v13, vcc_lo
	v_cmp_ne_u32_e32 vcc_lo, 0, v17
	v_cndmask_b32_e32 v12, 0xff800000, v12, vcc_lo
	s_branch .LBB93_13
.LBB93_18:
	v_cmp_neq_f32_e32 vcc_lo, 0, v22
	s_and_b32 s0, s2, vcc_lo
	s_delay_alu instid0(SALU_CYCLE_1)
	s_and_b32 exec_lo, exec_lo, s0
	s_cbranch_execz .LBB93_22
; %bb.19:
	s_and_not1_b32 vcc_lo, exec_lo, s15
	s_cbranch_vccnz .LBB93_22
; %bb.20:
	v_div_scale_f32 v1, null, v22, v22, 1.0
	v_div_scale_f32 v3, vcc_lo, 1.0, v22, 1.0
	s_delay_alu instid0(VALU_DEP_2) | instskip(SKIP_2) | instid1(VALU_DEP_1)
	v_rcp_f32_e32 v2, v1
	s_waitcnt_depctr 0xfff
	v_fma_f32 v0, -v1, v2, 1.0
	v_fmac_f32_e32 v2, v0, v2
	v_mul_lo_u32 v0, v23, s11
	s_delay_alu instid0(VALU_DEP_2) | instskip(NEXT) | instid1(VALU_DEP_1)
	v_mul_f32_e32 v4, v3, v2
	v_fma_f32 v5, -v1, v4, v3
	s_delay_alu instid0(VALU_DEP_1) | instskip(NEXT) | instid1(VALU_DEP_1)
	v_fmac_f32_e32 v4, v5, v2
	v_fma_f32 v3, -v1, v4, v3
	v_ashrrev_i32_e32 v1, 31, v0
	s_delay_alu instid0(VALU_DEP_2) | instskip(NEXT) | instid1(VALU_DEP_2)
	v_div_fmas_f32 v2, v3, v2, v4
	v_lshlrev_b64 v[0:1], 2, v[0:1]
	s_delay_alu instid0(VALU_DEP_2) | instskip(NEXT) | instid1(VALU_DEP_2)
	v_div_fixup_f32 v2, v2, v22, 1.0
	v_add_co_u32 v0, vcc_lo, s12, v0
	s_delay_alu instid0(VALU_DEP_3)
	v_add_co_ci_u32_e32 v1, vcc_lo, s13, v1, vcc_lo
.LBB93_21:                              ; =>This Inner Loop Header: Depth=1
	global_load_b32 v3, v[0:1], off
	s_add_i32 s8, s8, -1
	s_delay_alu instid0(SALU_CYCLE_1)
	s_cmp_lg_u32 s8, 0
	s_waitcnt vmcnt(0)
	v_mul_f32_e32 v3, v2, v3
	global_store_b32 v[0:1], v3, off
	v_add_co_u32 v0, vcc_lo, v0, 4
	v_add_co_ci_u32_e32 v1, vcc_lo, 0, v1, vcc_lo
	s_cbranch_scc1 .LBB93_21
.LBB93_22:
	s_nop 0
	s_sendmsg sendmsg(MSG_DEALLOC_VGPRS)
	s_endpgm
	.section	.rodata,"a",@progbits
	.p2align	6, 0x0
	.amdhsa_kernel _ZN4vllm3moe17topkGatingSoftmaxIfLi16ELi512ELi2ELi64ELb1ELi1ELNS0_23SharedExpertScoringFuncE1EEEvPKT_PKbPfiPiS9_iiiiii
		.amdhsa_group_segment_fixed_size 0
		.amdhsa_private_segment_fixed_size 0
		.amdhsa_kernarg_size 72
		.amdhsa_user_sgpr_count 15
		.amdhsa_user_sgpr_dispatch_ptr 0
		.amdhsa_user_sgpr_queue_ptr 0
		.amdhsa_user_sgpr_kernarg_segment_ptr 1
		.amdhsa_user_sgpr_dispatch_id 0
		.amdhsa_user_sgpr_private_segment_size 0
		.amdhsa_wavefront_size32 1
		.amdhsa_uses_dynamic_stack 0
		.amdhsa_enable_private_segment 0
		.amdhsa_system_sgpr_workgroup_id_x 1
		.amdhsa_system_sgpr_workgroup_id_y 0
		.amdhsa_system_sgpr_workgroup_id_z 0
		.amdhsa_system_sgpr_workgroup_info 0
		.amdhsa_system_vgpr_workitem_id 1
		.amdhsa_next_free_vgpr 53
		.amdhsa_next_free_sgpr 19
		.amdhsa_reserve_vcc 1
		.amdhsa_float_round_mode_32 0
		.amdhsa_float_round_mode_16_64 0
		.amdhsa_float_denorm_mode_32 3
		.amdhsa_float_denorm_mode_16_64 3
		.amdhsa_dx10_clamp 1
		.amdhsa_ieee_mode 1
		.amdhsa_fp16_overflow 0
		.amdhsa_workgroup_processor_mode 1
		.amdhsa_memory_ordered 1
		.amdhsa_forward_progress 0
		.amdhsa_shared_vgpr_count 0
		.amdhsa_exception_fp_ieee_invalid_op 0
		.amdhsa_exception_fp_denorm_src 0
		.amdhsa_exception_fp_ieee_div_zero 0
		.amdhsa_exception_fp_ieee_overflow 0
		.amdhsa_exception_fp_ieee_underflow 0
		.amdhsa_exception_fp_ieee_inexact 0
		.amdhsa_exception_int_div_zero 0
	.end_amdhsa_kernel
	.section	.text._ZN4vllm3moe17topkGatingSoftmaxIfLi16ELi512ELi2ELi64ELb1ELi1ELNS0_23SharedExpertScoringFuncE1EEEvPKT_PKbPfiPiS9_iiiiii,"axG",@progbits,_ZN4vllm3moe17topkGatingSoftmaxIfLi16ELi512ELi2ELi64ELb1ELi1ELNS0_23SharedExpertScoringFuncE1EEEvPKT_PKbPfiPiS9_iiiiii,comdat
.Lfunc_end93:
	.size	_ZN4vllm3moe17topkGatingSoftmaxIfLi16ELi512ELi2ELi64ELb1ELi1ELNS0_23SharedExpertScoringFuncE1EEEvPKT_PKbPfiPiS9_iiiiii, .Lfunc_end93-_ZN4vllm3moe17topkGatingSoftmaxIfLi16ELi512ELi2ELi64ELb1ELi1ELNS0_23SharedExpertScoringFuncE1EEEvPKT_PKbPfiPiS9_iiiiii
                                        ; -- End function
	.section	.AMDGPU.csdata,"",@progbits
; Kernel info:
; codeLenInByte = 3316
; NumSgprs: 21
; NumVgprs: 53
; ScratchSize: 0
; MemoryBound: 0
; FloatMode: 240
; IeeeMode: 1
; LDSByteSize: 0 bytes/workgroup (compile time only)
; SGPRBlocks: 2
; VGPRBlocks: 6
; NumSGPRsForWavesPerEU: 21
; NumVGPRsForWavesPerEU: 53
; Occupancy: 16
; WaveLimiterHint : 0
; COMPUTE_PGM_RSRC2:SCRATCH_EN: 0
; COMPUTE_PGM_RSRC2:USER_SGPR: 15
; COMPUTE_PGM_RSRC2:TRAP_HANDLER: 0
; COMPUTE_PGM_RSRC2:TGID_X_EN: 1
; COMPUTE_PGM_RSRC2:TGID_Y_EN: 0
; COMPUTE_PGM_RSRC2:TGID_Z_EN: 0
; COMPUTE_PGM_RSRC2:TIDIG_COMP_CNT: 1
	.section	.text._ZN4vllm3moe17topkGatingSoftmaxIfLi16ELi512ELi2ELi64ELb0ELi1ELNS0_23SharedExpertScoringFuncE1EEEvPKT_PKbPfiPiS9_iiiiii,"axG",@progbits,_ZN4vllm3moe17topkGatingSoftmaxIfLi16ELi512ELi2ELi64ELb0ELi1ELNS0_23SharedExpertScoringFuncE1EEEvPKT_PKbPfiPiS9_iiiiii,comdat
	.protected	_ZN4vllm3moe17topkGatingSoftmaxIfLi16ELi512ELi2ELi64ELb0ELi1ELNS0_23SharedExpertScoringFuncE1EEEvPKT_PKbPfiPiS9_iiiiii ; -- Begin function _ZN4vllm3moe17topkGatingSoftmaxIfLi16ELi512ELi2ELi64ELb0ELi1ELNS0_23SharedExpertScoringFuncE1EEEvPKT_PKbPfiPiS9_iiiiii
	.globl	_ZN4vllm3moe17topkGatingSoftmaxIfLi16ELi512ELi2ELi64ELb0ELi1ELNS0_23SharedExpertScoringFuncE1EEEvPKT_PKbPfiPiS9_iiiiii
	.p2align	8
	.type	_ZN4vllm3moe17topkGatingSoftmaxIfLi16ELi512ELi2ELi64ELb0ELi1ELNS0_23SharedExpertScoringFuncE1EEEvPKT_PKbPfiPiS9_iiiiii,@function
_ZN4vllm3moe17topkGatingSoftmaxIfLi16ELi512ELi2ELi64ELb0ELi1ELNS0_23SharedExpertScoringFuncE1EEEvPKT_PKbPfiPiS9_iiiiii: ; @_ZN4vllm3moe17topkGatingSoftmaxIfLi16ELi512ELi2ELi64ELb0ELi1ELNS0_23SharedExpertScoringFuncE1EEEvPKT_PKbPfiPiS9_iiiiii
; %bb.0:
	s_load_b32 s16, s[0:1], 0x18
	v_and_b32_e32 v1, 0x3ff, v0
	v_bfe_u32 v43, v0, 10, 10
	s_lshl_b32 s18, s15, 1
	s_mov_b32 s2, exec_lo
	s_delay_alu instid0(VALU_DEP_2) | instskip(NEXT) | instid1(VALU_DEP_1)
	v_lshrrev_b32_e32 v42, 5, v1
	v_add3_u32 v23, s18, v43, v42
	s_waitcnt lgkmcnt(0)
	s_delay_alu instid0(VALU_DEP_1)
	v_cmpx_gt_i32_e64 s16, v23
	s_cbranch_execz .LBB94_23
; %bb.1:
	s_clause 0x1
	s_load_b128 s[4:7], s[0:1], 0x0
	s_load_b64 s[12:13], s[0:1], 0x10
	s_waitcnt lgkmcnt(0)
	s_cmp_eq_u64 s[6:7], 0
	s_cbranch_scc1 .LBB94_3
; %bb.2:
	v_ashrrev_i32_e32 v0, 31, v23
	v_add_co_u32 v2, vcc_lo, s6, v23
	s_delay_alu instid0(VALU_DEP_2) | instskip(SKIP_3) | instid1(VALU_DEP_1)
	v_add_co_ci_u32_e32 v3, vcc_lo, s7, v0, vcc_lo
	global_load_u8 v0, v[2:3], off
	s_waitcnt vmcnt(0)
	v_and_b32_e32 v0, 1, v0
	v_cmp_eq_u32_e32 vcc_lo, 1, v0
	s_xor_b32 s2, vcc_lo, -1
	s_delay_alu instid0(SALU_CYCLE_1)
	s_or_not1_b32 s17, s2, exec_lo
	s_branch .LBB94_4
.LBB94_3:
	s_mov_b32 s17, -1
.LBB94_4:
	s_clause 0x1
	s_load_b64 s[14:15], s[0:1], 0x40
	s_load_b128 s[8:11], s[0:1], 0x30
	v_dual_mov_b32 v22, 0 :: v_dual_and_b32 v25, 31, v1
	s_delay_alu instid0(VALU_DEP_1) | instskip(SKIP_3) | instid1(VALU_DEP_1)
	v_lshlrev_b32_e32 v26, 4, v25
	v_cmp_eq_u32_e64 s2, 0, v25
	s_waitcnt lgkmcnt(0)
	v_mul_lo_u32 v2, v23, s15
	v_ashrrev_i32_e32 v3, 31, v2
	s_delay_alu instid0(VALU_DEP_1) | instskip(SKIP_1) | instid1(VALU_DEP_2)
	v_lshlrev_b64 v[0:1], 2, v[2:3]
	v_lshlrev_b32_e32 v2, 6, v25
	v_add_co_u32 v16, vcc_lo, s4, v0
	s_delay_alu instid0(VALU_DEP_3) | instskip(NEXT) | instid1(VALU_DEP_2)
	v_add_co_ci_u32_e32 v17, vcc_lo, s5, v1, vcc_lo
	v_add_co_u32 v12, vcc_lo, v16, v2
	s_delay_alu instid0(VALU_DEP_2)
	v_add_co_ci_u32_e32 v13, vcc_lo, 0, v17, vcc_lo
	s_clause 0x3
	global_load_b128 v[0:3], v[12:13], off offset:48
	global_load_b128 v[4:7], v[12:13], off offset:32
	;; [unrolled: 1-line block ×3, first 2 shown]
	global_load_b128 v[12:15], v[12:13], off
	s_and_saveexec_b32 s3, s2
	s_cbranch_execz .LBB94_6
; %bb.5:
	global_load_b32 v16, v[16:17], off offset:2048
	s_waitcnt vmcnt(0)
	v_mul_f32_e32 v17, 0xbfb8aa3b, v16
	v_cmp_nlt_f32_e32 vcc_lo, 0x42ce8ed0, v16
	s_delay_alu instid0(VALU_DEP_2) | instskip(SKIP_1) | instid1(VALU_DEP_2)
	v_rndne_f32_e32 v18, v17
	v_fma_f32 v19, 0xbfb8aa3b, v16, -v17
	v_sub_f32_e32 v17, v17, v18
	s_delay_alu instid0(VALU_DEP_2) | instskip(SKIP_1) | instid1(VALU_DEP_2)
	v_fmamk_f32 v19, v16, 0xb2a5705f, v19
	v_cvt_i32_f32_e32 v18, v18
	v_add_f32_e32 v17, v17, v19
	s_delay_alu instid0(VALU_DEP_1) | instskip(SKIP_2) | instid1(VALU_DEP_1)
	v_exp_f32_e32 v17, v17
	s_waitcnt_depctr 0xfff
	v_ldexp_f32 v17, v17, v18
	v_cndmask_b32_e32 v17, 0, v17, vcc_lo
	v_cmp_ngt_f32_e32 vcc_lo, 0xc2b17218, v16
	s_delay_alu instid0(VALU_DEP_2) | instskip(NEXT) | instid1(VALU_DEP_1)
	v_cndmask_b32_e32 v16, 0x7f800000, v17, vcc_lo
	v_add_f32_e32 v18, 1.0, v16
	s_delay_alu instid0(VALU_DEP_1) | instskip(SKIP_1) | instid1(VALU_DEP_2)
	v_div_scale_f32 v19, null, v18, v18, 1.0
	v_div_scale_f32 v21, vcc_lo, 1.0, v18, 1.0
	v_rcp_f32_e32 v20, v19
	s_waitcnt_depctr 0xfff
	v_fma_f32 v16, -v19, v20, 1.0
	s_delay_alu instid0(VALU_DEP_1) | instskip(SKIP_1) | instid1(VALU_DEP_2)
	v_fmac_f32_e32 v20, v16, v20
	v_mad_u64_u32 v[16:17], null, v23, s11, s[8:9]
	v_mul_f32_e32 v24, v21, v20
	s_delay_alu instid0(VALU_DEP_2) | instskip(NEXT) | instid1(VALU_DEP_2)
	v_ashrrev_i32_e32 v17, 31, v16
	v_fma_f32 v27, -v19, v24, v21
	s_delay_alu instid0(VALU_DEP_2) | instskip(NEXT) | instid1(VALU_DEP_2)
	v_lshlrev_b64 v[16:17], 2, v[16:17]
	v_fmac_f32_e32 v24, v27, v20
	s_delay_alu instid0(VALU_DEP_1) | instskip(NEXT) | instid1(VALU_DEP_1)
	v_fma_f32 v19, -v19, v24, v21
	v_div_fmas_f32 v19, v19, v20, v24
	s_delay_alu instid0(VALU_DEP_4) | instskip(SKIP_1) | instid1(VALU_DEP_3)
	v_add_co_u32 v16, vcc_lo, s12, v16
	v_add_co_ci_u32_e32 v17, vcc_lo, s13, v17, vcc_lo
	v_div_fixup_f32 v18, v19, v18, 1.0
	global_store_b32 v[16:17], v18, off
.LBB94_6:
	s_or_b32 exec_lo, exec_lo, s3
	v_or_b32_e32 v27, 1, v26
	s_waitcnt vmcnt(0)
	v_cmp_lt_f32_e32 vcc_lo, v12, v13
	v_or_b32_e32 v28, 2, v26
	v_or_b32_e32 v29, 3, v26
	v_or_b32_e32 v30, 4, v26
	v_or_b32_e32 v31, 5, v26
	v_dual_cndmask_b32 v16, v26, v27 :: v_dual_cndmask_b32 v17, v12, v13
	v_or_b32_e32 v32, 6, v26
	v_or_b32_e32 v33, 7, v26
	;; [unrolled: 1-line block ×4, first 2 shown]
	v_cmp_lt_f32_e32 vcc_lo, v17, v14
	v_or_b32_e32 v36, 10, v26
	v_or_b32_e32 v37, 11, v26
	v_or_b32_e32 v38, 12, v26
	v_or_b32_e32 v39, 13, v26
	v_dual_cndmask_b32 v16, v16, v28 :: v_dual_cndmask_b32 v17, v17, v14
	v_or_b32_e32 v40, 14, v26
	v_or_b32_e32 v41, 15, v26
	s_delay_alu instid0(VALU_DEP_3) | instskip(NEXT) | instid1(VALU_DEP_4)
	v_cmp_lt_f32_e32 vcc_lo, v17, v15
	v_dual_cndmask_b32 v16, v16, v29 :: v_dual_cndmask_b32 v17, v17, v15
	s_delay_alu instid0(VALU_DEP_1) | instskip(NEXT) | instid1(VALU_DEP_2)
	v_cmp_lt_f32_e32 vcc_lo, v17, v8
	v_dual_cndmask_b32 v16, v16, v30 :: v_dual_cndmask_b32 v17, v17, v8
	s_delay_alu instid0(VALU_DEP_1) | instskip(NEXT) | instid1(VALU_DEP_2)
	;; [unrolled: 3-line block ×13, first 2 shown]
	v_mov_b32_dpp v19, v16 quad_perm:[1,0,3,2] row_mask:0xf bank_mask:0xf
	v_mov_b32_dpp v18, v17 quad_perm:[1,0,3,2] row_mask:0xf bank_mask:0xf
	s_delay_alu instid0(VALU_DEP_2) | instskip(NEXT) | instid1(VALU_DEP_2)
	v_cmp_lt_i32_e64 s3, v19, v16
	v_cmp_eq_f32_e32 vcc_lo, v17, v18
	v_cmp_lt_f32_e64 s4, v17, v18
	s_delay_alu instid0(VALU_DEP_3)
	s_and_b32 s3, vcc_lo, s3
	s_delay_alu instid0(VALU_DEP_1) | instid1(SALU_CYCLE_1)
	s_or_b32 vcc_lo, s4, s3
	v_dual_cndmask_b32 v17, v17, v18 :: v_dual_cndmask_b32 v16, v16, v19
	s_delay_alu instid0(VALU_DEP_1) | instskip(NEXT) | instid1(VALU_DEP_2)
	v_mov_b32_dpp v18, v17 quad_perm:[2,3,0,1] row_mask:0xf bank_mask:0xf
	v_mov_b32_dpp v19, v16 quad_perm:[2,3,0,1] row_mask:0xf bank_mask:0xf
	s_delay_alu instid0(VALU_DEP_2) | instskip(NEXT) | instid1(VALU_DEP_2)
	v_cmp_eq_f32_e32 vcc_lo, v17, v18
	v_cmp_lt_i32_e64 s3, v19, v16
	v_cmp_lt_f32_e64 s4, v17, v18
	s_delay_alu instid0(VALU_DEP_2)
	s_and_b32 s3, vcc_lo, s3
	s_delay_alu instid0(VALU_DEP_1) | instid1(SALU_CYCLE_1)
	s_or_b32 vcc_lo, s4, s3
	v_dual_cndmask_b32 v17, v17, v18 :: v_dual_cndmask_b32 v16, v16, v19
	s_delay_alu instid0(VALU_DEP_1) | instskip(NEXT) | instid1(VALU_DEP_2)
	v_mov_b32_dpp v18, v17 row_xmask:7 row_mask:0xf bank_mask:0xf
	v_mov_b32_dpp v19, v16 row_xmask:7 row_mask:0xf bank_mask:0xf
	s_delay_alu instid0(VALU_DEP_2) | instskip(NEXT) | instid1(VALU_DEP_2)
	v_cmp_eq_f32_e32 vcc_lo, v17, v18
	v_cmp_lt_i32_e64 s3, v19, v16
	v_cmp_lt_f32_e64 s4, v17, v18
	s_delay_alu instid0(VALU_DEP_2)
	s_and_b32 s3, vcc_lo, s3
	s_delay_alu instid0(VALU_DEP_1) | instid1(SALU_CYCLE_1)
	s_or_b32 vcc_lo, s4, s3
	v_dual_cndmask_b32 v17, v17, v18 :: v_dual_cndmask_b32 v16, v16, v19
	s_delay_alu instid0(VALU_DEP_1) | instskip(NEXT) | instid1(VALU_DEP_2)
	v_mov_b32_dpp v18, v17 row_xmask:15 row_mask:0xf bank_mask:0xf
	v_mov_b32_dpp v19, v16 row_xmask:15 row_mask:0xf bank_mask:0xf
	s_delay_alu instid0(VALU_DEP_2) | instskip(NEXT) | instid1(VALU_DEP_2)
	v_cmp_eq_f32_e32 vcc_lo, v17, v18
	v_cmp_lt_i32_e64 s3, v19, v16
	v_cmp_lt_f32_e64 s4, v17, v18
	s_delay_alu instid0(VALU_DEP_2)
	s_and_b32 s3, vcc_lo, s3
	s_delay_alu instid0(VALU_DEP_1) | instid1(SALU_CYCLE_1)
	s_or_b32 vcc_lo, s4, s3
	s_mov_b32 s3, 0x76543210
	v_dual_cndmask_b32 v17, v17, v18 :: v_dual_cndmask_b32 v16, v16, v19
	s_delay_alu instid0(VALU_DEP_1) | instskip(NEXT) | instid1(VALU_DEP_2)
	v_permlanex16_b32 v19, v17, s3, 0xfedcba98 op_sel:[1,1]
	v_permlanex16_b32 v18, v16, s3, 0xfedcba98 op_sel:[1,1]
	s_delay_alu instid0(VALU_DEP_2) | instskip(NEXT) | instid1(VALU_DEP_2)
	v_cmp_eq_f32_e32 vcc_lo, v17, v19
	v_cmp_lt_i32_e64 s3, v18, v16
	v_cmp_lt_f32_e64 s4, v17, v19
	s_delay_alu instid0(VALU_DEP_2)
	s_and_b32 s3, vcc_lo, s3
	s_delay_alu instid0(VALU_DEP_1) | instid1(SALU_CYCLE_1)
	s_or_b32 s3, s4, s3
	s_cmp_gt_i32 s8, 0
	v_cndmask_b32_e64 v24, v17, v19, s3
	s_cselect_b32 s15, -1, 0
	s_delay_alu instid0(SALU_CYCLE_1)
	s_and_b32 vcc_lo, exec_lo, s15
	s_cbranch_vccz .LBB94_18
; %bb.7:
	s_load_b128 s[4:7], s[0:1], 0x20
	v_mul_lo_u32 v17, v23, s11
	v_mul_lo_u32 v19, v23, s14
	;; [unrolled: 1-line block ×3, first 2 shown]
	v_cndmask_b32_e64 v16, v16, v18, s3
	v_mov_b32_e32 v22, 0
	s_and_saveexec_b32 s1, s2
	s_cbranch_execz .LBB94_9
; %bb.8:
	v_sub_f32_e32 v50, v24, v24
	v_cmp_le_i32_e32 vcc_lo, s9, v16
	v_cmp_gt_i32_e64 s0, s10, v16
	v_subrev_nc_u32_e32 v51, s9, v16
	v_ashrrev_i32_e32 v22, 31, v21
	v_mul_f32_e32 v18, 0x3fb8aa3b, v50
	s_delay_alu instid0(VALU_DEP_4) | instskip(NEXT) | instid1(SALU_CYCLE_1)
	s_and_b32 s0, vcc_lo, s0
	s_and_b32 vcc_lo, s17, s0
	s_delay_alu instid0(VALU_DEP_1) | instskip(SKIP_2) | instid1(VALU_DEP_3)
	v_rndne_f32_e32 v46, v18
	v_fma_f32 v20, 0x3fb8aa3b, v50, -v18
	v_lshlrev_b64 v[48:49], 2, v[21:22]
	v_sub_f32_e32 v18, v18, v46
	s_delay_alu instid0(VALU_DEP_3) | instskip(NEXT) | instid1(VALU_DEP_1)
	v_fmamk_f32 v20, v50, 0x32a5705f, v20
	v_add_f32_e32 v20, v18, v20
	v_ashrrev_i32_e32 v18, 31, v17
	s_delay_alu instid0(VALU_DEP_2) | instskip(NEXT) | instid1(VALU_DEP_1)
	v_exp_f32_e32 v52, v20
	v_lshlrev_b64 v[44:45], 2, v[17:18]
	v_ashrrev_i32_e32 v20, 31, v19
	v_cvt_i32_f32_e32 v18, v46
	s_delay_alu instid0(VALU_DEP_2) | instskip(SKIP_3) | instid1(TRANS32_DEP_1)
	v_lshlrev_b64 v[46:47], 2, v[19:20]
	v_cndmask_b32_e32 v20, 0x200, v51, vcc_lo
	v_add_co_u32 v44, vcc_lo, s12, v44
	v_add_co_ci_u32_e32 v45, vcc_lo, s13, v45, vcc_lo
	v_ldexp_f32 v18, v52, v18
	v_cmp_ngt_f32_e32 vcc_lo, 0xc2ce8ed0, v50
	s_delay_alu instid0(VALU_DEP_2)
	v_cndmask_b32_e32 v18, 0, v18, vcc_lo
	s_waitcnt lgkmcnt(0)
	v_add_co_u32 v46, vcc_lo, s4, v46
	v_add_co_ci_u32_e32 v47, vcc_lo, s5, v47, vcc_lo
	v_cmp_nlt_f32_e32 vcc_lo, 0x42b17218, v50
	v_cndmask_b32_e32 v22, 0x7f800000, v18, vcc_lo
	v_add_co_u32 v48, vcc_lo, s6, v48
	v_add_co_ci_u32_e32 v49, vcc_lo, s7, v49, vcc_lo
	global_store_b32 v[46:47], v20, off
	global_store_b32 v[44:45], v22, off
	;; [unrolled: 1-line block ×3, first 2 shown]
.LBB94_9:
	s_or_b32 exec_lo, exec_lo, s1
	v_ashrrev_i32_e32 v20, 31, v16
	s_mov_b32 s0, exec_lo
	s_delay_alu instid0(VALU_DEP_1) | instskip(NEXT) | instid1(VALU_DEP_1)
	v_lshrrev_b32_e32 v18, 28, v20
	v_add_nc_u32_e32 v18, v16, v18
	s_delay_alu instid0(VALU_DEP_1) | instskip(NEXT) | instid1(VALU_DEP_1)
	v_ashrrev_i32_e32 v18, 4, v18
	v_lshrrev_b32_e32 v44, 27, v18
	s_delay_alu instid0(VALU_DEP_1) | instskip(NEXT) | instid1(VALU_DEP_1)
	v_add_nc_u32_e32 v44, v18, v44
	v_and_b32_e32 v44, 0xffffffe0, v44
	s_delay_alu instid0(VALU_DEP_1) | instskip(NEXT) | instid1(VALU_DEP_1)
	v_sub_nc_u32_e32 v44, v18, v44
	v_cmpx_eq_u32_e64 v25, v44
	s_cbranch_execz .LBB94_11
; %bb.10:
	v_lshrrev_b32_e32 v20, 23, v20
	v_lshlrev_b32_e32 v18, 4, v18
	s_delay_alu instid0(VALU_DEP_2) | instskip(NEXT) | instid1(VALU_DEP_2)
	v_add_nc_u32_e32 v20, v16, v20
	v_sub_nc_u32_e32 v16, v16, v18
	s_delay_alu instid0(VALU_DEP_2) | instskip(NEXT) | instid1(VALU_DEP_1)
	v_ashrrev_i32_e32 v18, 9, v20
	v_lshl_add_u32 v16, v18, 4, v16
	s_delay_alu instid0(VALU_DEP_1)
	v_cmp_ne_u32_e32 vcc_lo, 15, v16
	v_cndmask_b32_e32 v3, 0xff800000, v3, vcc_lo
	v_cmp_ne_u32_e32 vcc_lo, 14, v16
	v_cndmask_b32_e32 v2, 0xff800000, v2, vcc_lo
	;; [unrolled: 2-line block ×16, first 2 shown]
.LBB94_11:
	s_or_b32 exec_lo, exec_lo, s0
	s_cmp_eq_u32 s8, 1
	s_cbranch_scc1 .LBB94_18
; %bb.12:
	v_add_nc_u32_e32 v20, s16, v43
	v_add_nc_u32_e32 v16, 1, v21
	;; [unrolled: 1-line block ×3, first 2 shown]
	s_add_i32 s3, s8, -1
	s_mov_b32 s14, 0x76543210
	v_add3_u32 v42, v20, v42, s18
	v_add_nc_u32_e32 v20, 1, v17
	s_branch .LBB94_14
.LBB94_13:                              ;   in Loop: Header=BB94_14 Depth=1
	s_or_b32 exec_lo, exec_lo, s0
	v_add_nc_u32_e32 v42, s16, v42
	v_add_nc_u32_e32 v16, 1, v16
	v_add_nc_u32_e32 v18, 1, v18
	v_add_nc_u32_e32 v20, 1, v20
	s_add_i32 s3, s3, -1
	s_delay_alu instid0(SALU_CYCLE_1)
	s_cmp_eq_u32 s3, 0
	s_cbranch_scc1 .LBB94_18
.LBB94_14:                              ; =>This Inner Loop Header: Depth=1
	v_cmp_gt_f32_e32 vcc_lo, v13, v12
	v_cndmask_b32_e32 v19, v12, v13, vcc_lo
	v_cndmask_b32_e32 v17, v26, v27, vcc_lo
	s_delay_alu instid0(VALU_DEP_2) | instskip(SKIP_1) | instid1(VALU_DEP_3)
	v_cmp_gt_f32_e32 vcc_lo, v14, v19
	v_cndmask_b32_e32 v19, v19, v14, vcc_lo
	v_cndmask_b32_e32 v17, v17, v28, vcc_lo
	s_delay_alu instid0(VALU_DEP_2) | instskip(SKIP_1) | instid1(VALU_DEP_3)
	;; [unrolled: 4-line block ×13, first 2 shown]
	v_cmp_gt_f32_e32 vcc_lo, v2, v19
	v_cndmask_b32_e32 v19, v19, v2, vcc_lo
	v_cndmask_b32_e32 v17, v17, v40, vcc_lo
	s_delay_alu instid0(VALU_DEP_2) | instskip(NEXT) | instid1(VALU_DEP_2)
	v_cmp_gt_f32_e32 vcc_lo, v3, v19
	v_cndmask_b32_e32 v17, v17, v41, vcc_lo
	v_cndmask_b32_e32 v19, v19, v3, vcc_lo
	s_delay_alu instid0(VALU_DEP_2) | instskip(NEXT) | instid1(VALU_DEP_2)
	v_mov_b32_dpp v21, v17 quad_perm:[1,0,3,2] row_mask:0xf bank_mask:0xf
	v_mov_b32_dpp v43, v19 quad_perm:[1,0,3,2] row_mask:0xf bank_mask:0xf
	s_delay_alu instid0(VALU_DEP_2) | instskip(NEXT) | instid1(VALU_DEP_2)
	v_cmp_lt_i32_e32 vcc_lo, v21, v17
	v_cmp_eq_f32_e64 s0, v19, v43
	v_cmp_lt_f32_e64 s1, v19, v43
	s_delay_alu instid0(VALU_DEP_2)
	s_and_b32 s0, s0, vcc_lo
	s_delay_alu instid0(VALU_DEP_1) | instid1(SALU_CYCLE_1)
	s_or_b32 vcc_lo, s1, s0
	v_cndmask_b32_e32 v19, v19, v43, vcc_lo
	v_cndmask_b32_e32 v17, v17, v21, vcc_lo
	s_delay_alu instid0(VALU_DEP_2) | instskip(NEXT) | instid1(VALU_DEP_2)
	v_mov_b32_dpp v21, v19 quad_perm:[2,3,0,1] row_mask:0xf bank_mask:0xf
	v_mov_b32_dpp v43, v17 quad_perm:[2,3,0,1] row_mask:0xf bank_mask:0xf
	s_delay_alu instid0(VALU_DEP_2) | instskip(NEXT) | instid1(VALU_DEP_2)
	v_cmp_eq_f32_e32 vcc_lo, v19, v21
	v_cmp_lt_i32_e64 s0, v43, v17
	v_cmp_lt_f32_e64 s1, v19, v21
	s_delay_alu instid0(VALU_DEP_2)
	s_and_b32 s0, vcc_lo, s0
	s_delay_alu instid0(VALU_DEP_1) | instid1(SALU_CYCLE_1)
	s_or_b32 vcc_lo, s1, s0
	v_cndmask_b32_e32 v19, v19, v21, vcc_lo
	v_cndmask_b32_e32 v17, v17, v43, vcc_lo
	s_delay_alu instid0(VALU_DEP_2) | instskip(NEXT) | instid1(VALU_DEP_2)
	v_mov_b32_dpp v21, v19 row_xmask:7 row_mask:0xf bank_mask:0xf
	v_mov_b32_dpp v43, v17 row_xmask:7 row_mask:0xf bank_mask:0xf
	s_delay_alu instid0(VALU_DEP_2) | instskip(NEXT) | instid1(VALU_DEP_2)
	v_cmp_eq_f32_e32 vcc_lo, v19, v21
	v_cmp_lt_i32_e64 s0, v43, v17
	v_cmp_lt_f32_e64 s1, v19, v21
	s_delay_alu instid0(VALU_DEP_2)
	s_and_b32 s0, vcc_lo, s0
	s_delay_alu instid0(VALU_DEP_1) | instid1(SALU_CYCLE_1)
	s_or_b32 vcc_lo, s1, s0
	v_cndmask_b32_e32 v19, v19, v21, vcc_lo
	v_cndmask_b32_e32 v21, v17, v43, vcc_lo
	s_delay_alu instid0(VALU_DEP_2) | instskip(NEXT) | instid1(VALU_DEP_2)
	v_mov_b32_dpp v17, v19 row_xmask:15 row_mask:0xf bank_mask:0xf
	v_mov_b32_dpp v43, v21 row_xmask:15 row_mask:0xf bank_mask:0xf
	s_delay_alu instid0(VALU_DEP_2) | instskip(NEXT) | instid1(VALU_DEP_2)
	v_cmp_eq_f32_e32 vcc_lo, v19, v17
	v_cmp_lt_i32_e64 s0, v43, v21
	v_cmp_lt_f32_e64 s1, v19, v17
	s_delay_alu instid0(VALU_DEP_2)
	s_and_b32 s0, vcc_lo, s0
	s_delay_alu instid0(VALU_DEP_1) | instid1(SALU_CYCLE_1)
	s_or_b32 vcc_lo, s1, s0
	v_cndmask_b32_e32 v17, v19, v17, vcc_lo
	v_cndmask_b32_e32 v21, v21, v43, vcc_lo
	s_delay_alu instid0(VALU_DEP_2) | instskip(NEXT) | instid1(VALU_DEP_2)
	v_permlanex16_b32 v19, v17, s14, 0xfedcba98 op_sel:[1,1]
	v_permlanex16_b32 v43, v21, s14, 0xfedcba98 op_sel:[1,1]
	s_delay_alu instid0(VALU_DEP_2) | instskip(NEXT) | instid1(VALU_DEP_2)
	v_cmp_eq_f32_e32 vcc_lo, v17, v19
	v_cmp_lt_i32_e64 s0, v43, v21
	v_cmp_lt_f32_e64 s1, v17, v19
	s_delay_alu instid0(VALU_DEP_2)
	s_and_b32 s0, vcc_lo, s0
	s_delay_alu instid0(VALU_DEP_1) | instid1(SALU_CYCLE_1)
	s_or_b32 vcc_lo, s1, s0
	v_cndmask_b32_e32 v43, v21, v43, vcc_lo
	s_and_saveexec_b32 s1, s2
	s_cbranch_execz .LBB94_16
; %bb.15:                               ;   in Loop: Header=BB94_14 Depth=1
	v_cndmask_b32_e32 v17, v17, v19, vcc_lo
	s_delay_alu instid0(VALU_DEP_2) | instskip(SKIP_3) | instid1(VALU_DEP_3)
	v_cmp_le_i32_e32 vcc_lo, s9, v43
	v_cmp_gt_i32_e64 s0, s10, v43
	v_subrev_nc_u32_e32 v51, s9, v43
	v_ashrrev_i32_e32 v21, 31, v20
	s_and_b32 s0, vcc_lo, s0
	s_delay_alu instid0(SALU_CYCLE_1) | instskip(SKIP_1) | instid1(VALU_DEP_1)
	s_and_b32 vcc_lo, s17, s0
	v_sub_f32_e32 v50, v17, v24
	v_mul_f32_e32 v17, 0x3fb8aa3b, v50
	s_delay_alu instid0(VALU_DEP_1) | instskip(SKIP_1) | instid1(VALU_DEP_2)
	v_fma_f32 v19, 0x3fb8aa3b, v50, -v17
	v_rndne_f32_e32 v44, v17
	v_fmac_f32_e32 v19, 0x32a5705f, v50
	s_delay_alu instid0(VALU_DEP_2) | instskip(SKIP_2) | instid1(VALU_DEP_3)
	v_sub_f32_e32 v17, v17, v44
	v_cvt_i32_f32_e32 v49, v44
	v_lshlrev_b64 v[44:45], 2, v[20:21]
	v_add_f32_e32 v17, v17, v19
	v_ashrrev_i32_e32 v19, 31, v18
	s_delay_alu instid0(VALU_DEP_2) | instskip(SKIP_1) | instid1(VALU_DEP_2)
	v_exp_f32_e32 v48, v17
	v_ashrrev_i32_e32 v17, 31, v16
	v_lshlrev_b64 v[46:47], 2, v[18:19]
	s_waitcnt_depctr 0xfff
	v_ldexp_f32 v19, v48, v49
	v_lshlrev_b64 v[48:49], 2, v[16:17]
	v_cndmask_b32_e32 v17, 0x200, v51, vcc_lo
	v_cmp_ngt_f32_e32 vcc_lo, 0xc2ce8ed0, v50
	s_delay_alu instid0(VALU_DEP_4) | instskip(SKIP_3) | instid1(VALU_DEP_4)
	v_cndmask_b32_e32 v19, 0, v19, vcc_lo
	v_add_co_u32 v44, vcc_lo, s12, v44
	v_add_co_ci_u32_e32 v45, vcc_lo, s13, v45, vcc_lo
	v_cmp_nlt_f32_e32 vcc_lo, 0x42b17218, v50
	v_cndmask_b32_e32 v19, 0x7f800000, v19, vcc_lo
	s_waitcnt lgkmcnt(0)
	v_add_co_u32 v46, vcc_lo, s4, v46
	v_add_co_ci_u32_e32 v47, vcc_lo, s5, v47, vcc_lo
	s_delay_alu instid0(VALU_DEP_3)
	v_add_f32_e32 v22, v22, v19
	v_add_co_u32 v48, vcc_lo, s6, v48
	v_add_co_ci_u32_e32 v49, vcc_lo, s7, v49, vcc_lo
	global_store_b32 v[44:45], v19, off
	global_store_b32 v[46:47], v17, off
	;; [unrolled: 1-line block ×3, first 2 shown]
.LBB94_16:                              ;   in Loop: Header=BB94_14 Depth=1
	s_or_b32 exec_lo, exec_lo, s1
	s_delay_alu instid0(VALU_DEP_1) | instskip(SKIP_1) | instid1(VALU_DEP_1)
	v_ashrrev_i32_e32 v19, 31, v43
	s_mov_b32 s0, exec_lo
	v_lshrrev_b32_e32 v17, 28, v19
	s_delay_alu instid0(VALU_DEP_1) | instskip(NEXT) | instid1(VALU_DEP_1)
	v_add_nc_u32_e32 v17, v43, v17
	v_ashrrev_i32_e32 v17, 4, v17
	s_delay_alu instid0(VALU_DEP_1) | instskip(NEXT) | instid1(VALU_DEP_1)
	v_lshrrev_b32_e32 v21, 27, v17
	v_add_nc_u32_e32 v21, v17, v21
	s_delay_alu instid0(VALU_DEP_1) | instskip(NEXT) | instid1(VALU_DEP_1)
	v_and_b32_e32 v21, 0xffffffe0, v21
	v_sub_nc_u32_e32 v21, v17, v21
	s_delay_alu instid0(VALU_DEP_1)
	v_cmpx_eq_u32_e64 v25, v21
	s_cbranch_execz .LBB94_13
; %bb.17:                               ;   in Loop: Header=BB94_14 Depth=1
	v_lshrrev_b32_e32 v19, 23, v19
	v_lshlrev_b32_e32 v17, 4, v17
	s_delay_alu instid0(VALU_DEP_2) | instskip(NEXT) | instid1(VALU_DEP_2)
	v_add_nc_u32_e32 v19, v43, v19
	v_sub_nc_u32_e32 v17, v43, v17
	s_delay_alu instid0(VALU_DEP_2) | instskip(NEXT) | instid1(VALU_DEP_1)
	v_ashrrev_i32_e32 v19, 9, v19
	v_lshl_add_u32 v17, v19, 4, v17
	s_delay_alu instid0(VALU_DEP_1)
	v_cmp_ne_u32_e32 vcc_lo, 15, v17
	v_cndmask_b32_e32 v3, 0xff800000, v3, vcc_lo
	v_cmp_ne_u32_e32 vcc_lo, 14, v17
	v_cndmask_b32_e32 v2, 0xff800000, v2, vcc_lo
	;; [unrolled: 2-line block ×16, first 2 shown]
	s_branch .LBB94_13
.LBB94_18:
	s_delay_alu instid0(VALU_DEP_1)
	v_sub_f32_e32 v13, v13, v24
	v_sub_f32_e32 v12, v12, v24
	;; [unrolled: 1-line block ×5, first 2 shown]
	v_mul_f32_e32 v17, 0x3fb8aa3b, v13
	v_cmp_ngt_f32_e32 vcc_lo, 0xc2ce8ed0, v12
	v_sub_f32_e32 v7, v7, v24
	v_sub_f32_e32 v1, v1, v24
	;; [unrolled: 1-line block ×3, first 2 shown]
	v_rndne_f32_e32 v21, v17
	v_sub_f32_e32 v14, v14, v24
	s_delay_alu instid0(VALU_DEP_1) | instskip(NEXT) | instid1(VALU_DEP_1)
	v_dual_mul_f32 v16, 0x3fb8aa3b, v12 :: v_dual_mul_f32 v25, 0x3fb8aa3b, v14
	v_rndne_f32_e32 v19, v16
	v_fma_f32 v18, 0x3fb8aa3b, v12, -v16
	s_delay_alu instid0(VALU_DEP_2)
	v_sub_f32_e32 v16, v16, v19
	v_fma_f32 v20, 0x3fb8aa3b, v13, -v17
	v_sub_f32_e32 v15, v15, v24
	v_sub_f32_e32 v17, v17, v21
	v_cvt_i32_f32_e32 v21, v21
	v_cvt_i32_f32_e32 v19, v19
	v_fmac_f32_e32 v20, 0x32a5705f, v13
	s_delay_alu instid0(VALU_DEP_1) | instskip(SKIP_1) | instid1(VALU_DEP_2)
	v_dual_mul_f32 v26, 0x3fb8aa3b, v15 :: v_dual_add_f32 v17, v17, v20
	v_rndne_f32_e32 v20, v25
	v_rndne_f32_e32 v29, v26
	v_sub_f32_e32 v8, v8, v24
	s_delay_alu instid0(VALU_DEP_4) | instskip(SKIP_3) | instid1(VALU_DEP_1)
	v_exp_f32_e32 v17, v17
	s_waitcnt_depctr 0xfff
	v_ldexp_f32 v17, v17, v21
	v_fmac_f32_e32 v18, 0x32a5705f, v12
	v_add_f32_e32 v16, v16, v18
	v_fma_f32 v18, 0x3fb8aa3b, v14, -v25
	v_sub_f32_e32 v25, v25, v20
	v_cvt_i32_f32_e32 v20, v20
	s_delay_alu instid0(VALU_DEP_4) | instskip(NEXT) | instid1(VALU_DEP_3)
	v_exp_f32_e32 v16, v16
	v_fmac_f32_e32 v18, 0x32a5705f, v14
	s_waitcnt_depctr 0xfff
	v_ldexp_f32 v16, v16, v19
	v_sub_f32_e32 v19, v26, v29
	v_mul_f32_e32 v27, 0x3fb8aa3b, v8
	v_fma_f32 v28, 0x3fb8aa3b, v15, -v26
	s_delay_alu instid0(VALU_DEP_4) | instskip(SKIP_3) | instid1(VALU_DEP_4)
	v_cndmask_b32_e32 v16, 0, v16, vcc_lo
	v_cmp_ngt_f32_e32 vcc_lo, 0xc2ce8ed0, v13
	v_cndmask_b32_e32 v17, 0, v17, vcc_lo
	v_cmp_nlt_f32_e32 vcc_lo, 0x42b17218, v12
	v_cndmask_b32_e32 v12, 0x7f800000, v16, vcc_lo
	v_cmp_nlt_f32_e32 vcc_lo, 0x42b17218, v13
	v_fma_f32 v16, 0x3fb8aa3b, v8, -v27
	v_cndmask_b32_e32 v13, 0x7f800000, v17, vcc_lo
	v_cmp_ngt_f32_e32 vcc_lo, 0xc2ce8ed0, v14
	v_fmac_f32_e32 v28, 0x32a5705f, v15
	s_delay_alu instid0(VALU_DEP_1) | instskip(NEXT) | instid1(VALU_DEP_1)
	v_dual_add_f32 v18, v25, v18 :: v_dual_add_f32 v19, v19, v28
	v_exp_f32_e32 v18, v18
	s_delay_alu instid0(VALU_DEP_1) | instskip(SKIP_3) | instid1(VALU_DEP_1)
	v_exp_f32_e32 v19, v19
	s_waitcnt_depctr 0xfff
	v_ldexp_f32 v17, v18, v20
	v_rndne_f32_e32 v18, v27
	v_sub_f32_e32 v20, v27, v18
	v_add_f32_e32 v12, v12, v13
	s_delay_alu instid0(VALU_DEP_4) | instskip(SKIP_2) | instid1(VALU_DEP_2)
	v_cndmask_b32_e32 v13, 0, v17, vcc_lo
	v_cvt_i32_f32_e32 v17, v29
	v_cmp_nlt_f32_e32 vcc_lo, 0x42b17218, v14
	v_ldexp_f32 v14, v19, v17
	s_delay_alu instid0(VALU_DEP_4) | instskip(SKIP_1) | instid1(VALU_DEP_2)
	v_cndmask_b32_e32 v13, 0x7f800000, v13, vcc_lo
	v_cmp_ngt_f32_e32 vcc_lo, 0xc2ce8ed0, v15
	v_dual_add_f32 v12, v12, v13 :: v_dual_cndmask_b32 v13, 0, v14
	v_cmp_nlt_f32_e32 vcc_lo, 0x42b17218, v15
	v_dual_sub_f32 v10, v10, v24 :: v_dual_mul_f32 v17, 0x3fb8aa3b, v9
	v_cvt_i32_f32_e32 v15, v18
	s_delay_alu instid0(VALU_DEP_4)
	v_cndmask_b32_e32 v13, 0x7f800000, v13, vcc_lo
	v_cmp_ngt_f32_e32 vcc_lo, 0xc2ce8ed0, v8
	v_fmac_f32_e32 v16, 0x32a5705f, v8
	v_rndne_f32_e32 v19, v17
	v_mul_f32_e32 v18, 0x3fb8aa3b, v10
	v_add_f32_e32 v12, v12, v13
	s_delay_alu instid0(VALU_DEP_4) | instskip(NEXT) | instid1(VALU_DEP_1)
	v_add_f32_e32 v16, v20, v16
	v_exp_f32_e32 v14, v16
	v_fma_f32 v16, 0x3fb8aa3b, v9, -v17
	v_sub_f32_e32 v17, v17, v19
	s_waitcnt_depctr 0xfff
	v_ldexp_f32 v13, v14, v15
	v_fma_f32 v15, 0x3fb8aa3b, v10, -v18
	v_fmac_f32_e32 v16, 0x32a5705f, v9
	s_delay_alu instid0(VALU_DEP_3) | instskip(NEXT) | instid1(VALU_DEP_2)
	v_cndmask_b32_e32 v13, 0, v13, vcc_lo
	v_dual_fmac_f32 v15, 0x32a5705f, v10 :: v_dual_add_f32 v14, v17, v16
	v_rndne_f32_e32 v16, v18
	v_cmp_nlt_f32_e32 vcc_lo, 0x42b17218, v8
	s_delay_alu instid0(VALU_DEP_2) | instskip(SKIP_3) | instid1(VALU_DEP_4)
	v_dual_sub_f32 v17, v18, v16 :: v_dual_cndmask_b32 v8, 0x7f800000, v13
	v_cvt_i32_f32_e32 v13, v19
	v_cmp_ngt_f32_e32 vcc_lo, 0xc2ce8ed0, v9
	v_cvt_i32_f32_e32 v16, v16
	v_add_f32_e32 v15, v17, v15
	v_mul_f32_e32 v17, 0x3fb8aa3b, v11
	v_exp_f32_e32 v14, v14
	v_add_f32_e32 v8, v12, v8
	s_waitcnt_depctr 0xfff
	v_ldexp_f32 v12, v14, v13
	v_exp_f32_e32 v13, v15
	v_fma_f32 v14, 0x3fb8aa3b, v11, -v17
	v_rndne_f32_e32 v15, v17
	s_delay_alu instid0(VALU_DEP_2) | instskip(NEXT) | instid1(VALU_DEP_2)
	v_fmac_f32_e32 v14, 0x32a5705f, v11
	v_dual_sub_f32 v17, v17, v15 :: v_dual_cndmask_b32 v12, 0, v12
	v_cmp_nlt_f32_e32 vcc_lo, 0x42b17218, v9
	s_delay_alu instid0(VALU_DEP_2) | instskip(NEXT) | instid1(TRANS32_DEP_1)
	v_cndmask_b32_e32 v9, 0x7f800000, v12, vcc_lo
	v_ldexp_f32 v12, v13, v16
	v_cmp_ngt_f32_e32 vcc_lo, 0xc2ce8ed0, v10
	s_delay_alu instid0(VALU_DEP_2)
	v_dual_add_f32 v8, v8, v9 :: v_dual_cndmask_b32 v9, 0, v12
	v_add_f32_e32 v13, v17, v14
	v_cmp_nlt_f32_e32 vcc_lo, 0x42b17218, v10
	v_sub_f32_e32 v4, v4, v24
	v_cvt_i32_f32_e32 v10, v15
	v_mul_f32_e32 v17, 0x3fb8aa3b, v7
	v_exp_f32_e32 v12, v13
	v_cndmask_b32_e32 v9, 0x7f800000, v9, vcc_lo
	v_mul_f32_e32 v13, 0x3fb8aa3b, v4
	v_sub_f32_e32 v5, v5, v24
	v_cmp_ngt_f32_e32 vcc_lo, 0xc2ce8ed0, v11
	s_delay_alu instid0(VALU_DEP_4) | instskip(NEXT) | instid1(VALU_DEP_4)
	v_add_f32_e32 v8, v8, v9
	v_fma_f32 v14, 0x3fb8aa3b, v4, -v13
	v_rndne_f32_e32 v15, v13
	v_mul_f32_e32 v16, 0x3fb8aa3b, v5
	s_delay_alu instid0(TRANS32_DEP_1) | instskip(NEXT) | instid1(VALU_DEP_4)
	v_ldexp_f32 v9, v12, v10
	v_fmac_f32_e32 v14, 0x32a5705f, v4
	s_delay_alu instid0(VALU_DEP_4) | instskip(NEXT) | instid1(VALU_DEP_4)
	v_sub_f32_e32 v10, v13, v15
	v_rndne_f32_e32 v13, v16
	s_delay_alu instid0(VALU_DEP_4)
	v_cndmask_b32_e32 v9, 0, v9, vcc_lo
	v_cmp_nlt_f32_e32 vcc_lo, 0x42b17218, v11
	v_fma_f32 v12, 0x3fb8aa3b, v5, -v16
	v_add_f32_e32 v10, v10, v14
	v_sub_f32_e32 v6, v6, v24
	v_sub_f32_e32 v14, v16, v13
	v_cndmask_b32_e32 v9, 0x7f800000, v9, vcc_lo
	v_cvt_i32_f32_e32 v15, v15
	v_exp_f32_e32 v10, v10
	v_cmp_ngt_f32_e32 vcc_lo, 0xc2ce8ed0, v4
	s_delay_alu instid0(VALU_DEP_3)
	v_add_f32_e32 v8, v8, v9
	s_waitcnt_depctr 0xfff
	v_ldexp_f32 v9, v10, v15
	v_mul_f32_e32 v16, 0x3fb8aa3b, v6
	v_cvt_i32_f32_e32 v10, v13
	v_fma_f32 v13, 0x3fb8aa3b, v7, -v17
	v_fmac_f32_e32 v12, 0x32a5705f, v5
	v_cndmask_b32_e32 v9, 0, v9, vcc_lo
	v_rndne_f32_e32 v15, v17
	v_cmp_nlt_f32_e32 vcc_lo, 0x42b17218, v4
	v_fmac_f32_e32 v13, 0x32a5705f, v7
	v_add_f32_e32 v11, v14, v12
	v_fma_f32 v12, 0x3fb8aa3b, v6, -v16
	v_rndne_f32_e32 v14, v16
	v_cndmask_b32_e32 v4, 0x7f800000, v9, vcc_lo
	v_cmp_ngt_f32_e32 vcc_lo, 0xc2ce8ed0, v5
	v_exp_f32_e32 v11, v11
	v_fmac_f32_e32 v12, 0x32a5705f, v6
	v_sub_f32_e32 v16, v16, v14
	v_cvt_i32_f32_e32 v9, v14
	s_delay_alu instid0(VALU_DEP_2) | instskip(SKIP_4) | instid1(VALU_DEP_2)
	v_add_f32_e32 v12, v16, v12
	s_waitcnt_depctr 0xfff
	v_ldexp_f32 v10, v11, v10
	v_exp_f32_e32 v11, v12
	v_sub_f32_e32 v12, v17, v15
	v_cndmask_b32_e32 v10, 0, v10, vcc_lo
	v_cmp_nlt_f32_e32 vcc_lo, 0x42b17218, v5
	s_delay_alu instid0(VALU_DEP_3) | instskip(NEXT) | instid1(VALU_DEP_3)
	v_dual_add_f32 v12, v12, v13 :: v_dual_mul_f32 v13, 0x3fb8aa3b, v3
	v_dual_cndmask_b32 v5, 0x7f800000, v10 :: v_dual_add_f32 v4, v8, v4
	s_waitcnt_depctr 0xfff
	v_ldexp_f32 v8, v11, v9
	v_exp_f32_e32 v9, v12
	v_cmp_ngt_f32_e32 vcc_lo, 0xc2ce8ed0, v6
	v_mul_f32_e32 v10, 0x3fb8aa3b, v2
	v_rndne_f32_e32 v14, v13
	v_cndmask_b32_e32 v8, 0, v8, vcc_lo
	v_cmp_nlt_f32_e32 vcc_lo, 0x42b17218, v6
	s_delay_alu instid0(VALU_DEP_4)
	v_fma_f32 v11, 0x3fb8aa3b, v2, -v10
	v_sub_f32_e32 v0, v0, v24
	v_rndne_f32_e32 v12, v10
	v_add_f32_e32 v4, v4, v5
	v_cvt_i32_f32_e32 v5, v15
	v_fmac_f32_e32 v11, 0x32a5705f, v2
	v_cndmask_b32_e32 v6, 0x7f800000, v8, vcc_lo
	v_mul_f32_e32 v8, 0x3fb8aa3b, v0
	v_cmp_ngt_f32_e32 vcc_lo, 0xc2ce8ed0, v7
	v_ldexp_f32 v5, v9, v5
	s_delay_alu instid0(VALU_DEP_4) | instskip(NEXT) | instid1(VALU_DEP_4)
	v_add_f32_e32 v4, v4, v6
	v_fma_f32 v6, 0x3fb8aa3b, v0, -v8
	v_rndne_f32_e32 v9, v8
	s_delay_alu instid0(VALU_DEP_4)
	v_cndmask_b32_e32 v5, 0, v5, vcc_lo
	v_cmp_nlt_f32_e32 vcc_lo, 0x42b17218, v7
	v_mul_f32_e32 v7, 0x3fb8aa3b, v1
	v_fmac_f32_e32 v6, 0x32a5705f, v0
	v_sub_f32_e32 v8, v8, v9
	v_cvt_i32_f32_e32 v9, v9
	v_cndmask_b32_e32 v5, 0x7f800000, v5, vcc_lo
	v_cmp_ngt_f32_e32 vcc_lo, 0xc2ce8ed0, v0
	s_delay_alu instid0(VALU_DEP_4) | instskip(SKIP_1) | instid1(VALU_DEP_4)
	v_add_f32_e32 v6, v8, v6
	v_rndne_f32_e32 v8, v7
	v_add_f32_e32 v4, v4, v5
	v_fma_f32 v5, 0x3fb8aa3b, v1, -v7
	s_delay_alu instid0(VALU_DEP_4) | instskip(NEXT) | instid1(VALU_DEP_3)
	v_exp_f32_e32 v6, v6
	v_sub_f32_e32 v7, v7, v8
	v_cvt_i32_f32_e32 v8, v8
	s_delay_alu instid0(VALU_DEP_3) | instskip(NEXT) | instid1(VALU_DEP_1)
	v_fmac_f32_e32 v5, 0x32a5705f, v1
	v_add_f32_e32 v5, v7, v5
	v_sub_f32_e32 v7, v10, v12
	s_waitcnt_depctr 0xfff
	v_ldexp_f32 v6, v6, v9
	v_fma_f32 v10, 0x3fb8aa3b, v3, -v13
	v_sub_f32_e32 v9, v13, v14
	v_exp_f32_e32 v5, v5
	s_delay_alu instid0(VALU_DEP_3) | instskip(SKIP_2) | instid1(VALU_DEP_3)
	v_dual_add_f32 v7, v7, v11 :: v_dual_cndmask_b32 v6, 0, v6
	v_cmp_nlt_f32_e32 vcc_lo, 0x42b17218, v0
	v_fmac_f32_e32 v10, 0x32a5705f, v3
	v_exp_f32_e32 v7, v7
	s_delay_alu instid0(VALU_DEP_3) | instskip(SKIP_1) | instid1(TRANS32_DEP_2)
	v_cndmask_b32_e32 v0, 0x7f800000, v6, vcc_lo
	v_cmp_ngt_f32_e32 vcc_lo, 0xc2ce8ed0, v1
	v_ldexp_f32 v5, v5, v8
	v_add_f32_e32 v9, v9, v10
	v_cvt_i32_f32_e32 v6, v12
	s_delay_alu instid0(VALU_DEP_3) | instskip(SKIP_1) | instid1(VALU_DEP_4)
	v_dual_add_f32 v0, v4, v0 :: v_dual_cndmask_b32 v5, 0, v5
	v_cmp_nlt_f32_e32 vcc_lo, 0x42b17218, v1
	v_exp_f32_e32 v8, v9
	s_delay_alu instid0(TRANS32_DEP_2) | instid1(VALU_DEP_3)
	v_ldexp_f32 v4, v7, v6
	v_cvt_i32_f32_e32 v6, v14
	v_cndmask_b32_e32 v1, 0x7f800000, v5, vcc_lo
	v_cmp_ngt_f32_e32 vcc_lo, 0xc2ce8ed0, v2
	s_delay_alu instid0(VALU_DEP_2) | instskip(SKIP_2) | instid1(TRANS32_DEP_1)
	v_add_f32_e32 v0, v0, v1
	v_cndmask_b32_e32 v4, 0, v4, vcc_lo
	v_cmp_nlt_f32_e32 vcc_lo, 0x42b17218, v2
	v_ldexp_f32 v5, v8, v6
	s_delay_alu instid0(VALU_DEP_3) | instskip(SKIP_1) | instid1(VALU_DEP_2)
	v_cndmask_b32_e32 v1, 0x7f800000, v4, vcc_lo
	v_cmp_ngt_f32_e32 vcc_lo, 0xc2ce8ed0, v3
	v_add_f32_e32 v0, v0, v1
	s_delay_alu instid0(VALU_DEP_4) | instskip(SKIP_1) | instid1(VALU_DEP_2)
	v_cndmask_b32_e32 v2, 0, v5, vcc_lo
	v_cmp_nlt_f32_e32 vcc_lo, 0x42b17218, v3
	v_cndmask_b32_e32 v1, 0x7f800000, v2, vcc_lo
	s_delay_alu instid0(VALU_DEP_1) | instskip(NEXT) | instid1(VALU_DEP_1)
	v_add_f32_e32 v0, v0, v1
	v_mov_b32_dpp v1, v0 quad_perm:[1,0,3,2] row_mask:0xf bank_mask:0xf
	s_delay_alu instid0(VALU_DEP_1) | instskip(NEXT) | instid1(VALU_DEP_1)
	v_add_f32_e32 v0, v0, v1
	v_mov_b32_dpp v1, v0 quad_perm:[2,3,0,1] row_mask:0xf bank_mask:0xf
	s_delay_alu instid0(VALU_DEP_1) | instskip(NEXT) | instid1(VALU_DEP_1)
	v_add_f32_e32 v0, v0, v1
	v_mov_b32_dpp v1, v0 row_xmask:7 row_mask:0xf bank_mask:0xf
	s_delay_alu instid0(VALU_DEP_1) | instskip(NEXT) | instid1(VALU_DEP_1)
	v_add_f32_e32 v0, v0, v1
	v_mov_b32_dpp v1, v0 row_xmask:15 row_mask:0xf bank_mask:0xf
	s_and_b32 exec_lo, exec_lo, s2
	s_cbranch_execz .LBB94_23
; %bb.19:
	s_delay_alu instid0(VALU_DEP_1)
	v_add_f32_e32 v0, v0, v1
	s_mov_b32 s0, 0x76543210
	s_delay_alu instid0(VALU_DEP_1) | instid1(SALU_CYCLE_1)
	v_permlanex16_b32 v1, v0, s0, 0xfedcba98 op_sel:[1,1]
	s_delay_alu instid0(VALU_DEP_1) | instskip(NEXT) | instid1(VALU_DEP_1)
	v_add_f32_e32 v0, v0, v1
	v_add_f32_e32 v0, v22, v0
	s_delay_alu instid0(VALU_DEP_1)
	v_cmp_neq_f32_e32 vcc_lo, 0, v0
	s_and_b32 exec_lo, exec_lo, vcc_lo
	s_cbranch_execz .LBB94_23
; %bb.20:
	s_and_not1_b32 vcc_lo, exec_lo, s15
	s_cbranch_vccnz .LBB94_23
; %bb.21:
	v_div_scale_f32 v2, null, v0, v0, 1.0
	v_div_scale_f32 v4, vcc_lo, 1.0, v0, 1.0
	s_delay_alu instid0(VALU_DEP_2) | instskip(SKIP_2) | instid1(VALU_DEP_1)
	v_rcp_f32_e32 v3, v2
	s_waitcnt_depctr 0xfff
	v_fma_f32 v1, -v2, v3, 1.0
	v_fmac_f32_e32 v3, v1, v3
	v_mul_lo_u32 v1, v23, s11
	s_delay_alu instid0(VALU_DEP_2) | instskip(NEXT) | instid1(VALU_DEP_1)
	v_mul_f32_e32 v5, v4, v3
	v_fma_f32 v6, -v2, v5, v4
	s_delay_alu instid0(VALU_DEP_1) | instskip(NEXT) | instid1(VALU_DEP_1)
	v_fmac_f32_e32 v5, v6, v3
	v_fma_f32 v4, -v2, v5, v4
	v_ashrrev_i32_e32 v2, 31, v1
	s_delay_alu instid0(VALU_DEP_2) | instskip(NEXT) | instid1(VALU_DEP_2)
	v_div_fmas_f32 v5, v4, v3, v5
	v_lshlrev_b64 v[3:4], 2, v[1:2]
	s_delay_alu instid0(VALU_DEP_2) | instskip(NEXT) | instid1(VALU_DEP_2)
	v_div_fixup_f32 v2, v5, v0, 1.0
	v_add_co_u32 v0, vcc_lo, s12, v3
	s_delay_alu instid0(VALU_DEP_3)
	v_add_co_ci_u32_e32 v1, vcc_lo, s13, v4, vcc_lo
.LBB94_22:                              ; =>This Inner Loop Header: Depth=1
	global_load_b32 v3, v[0:1], off
	s_add_i32 s8, s8, -1
	s_delay_alu instid0(SALU_CYCLE_1)
	s_cmp_lg_u32 s8, 0
	s_waitcnt vmcnt(0)
	v_mul_f32_e32 v3, v2, v3
	global_store_b32 v[0:1], v3, off
	v_add_co_u32 v0, vcc_lo, v0, 4
	v_add_co_ci_u32_e32 v1, vcc_lo, 0, v1, vcc_lo
	s_cbranch_scc1 .LBB94_22
.LBB94_23:
	s_nop 0
	s_sendmsg sendmsg(MSG_DEALLOC_VGPRS)
	s_endpgm
	.section	.rodata,"a",@progbits
	.p2align	6, 0x0
	.amdhsa_kernel _ZN4vllm3moe17topkGatingSoftmaxIfLi16ELi512ELi2ELi64ELb0ELi1ELNS0_23SharedExpertScoringFuncE1EEEvPKT_PKbPfiPiS9_iiiiii
		.amdhsa_group_segment_fixed_size 0
		.amdhsa_private_segment_fixed_size 0
		.amdhsa_kernarg_size 72
		.amdhsa_user_sgpr_count 15
		.amdhsa_user_sgpr_dispatch_ptr 0
		.amdhsa_user_sgpr_queue_ptr 0
		.amdhsa_user_sgpr_kernarg_segment_ptr 1
		.amdhsa_user_sgpr_dispatch_id 0
		.amdhsa_user_sgpr_private_segment_size 0
		.amdhsa_wavefront_size32 1
		.amdhsa_uses_dynamic_stack 0
		.amdhsa_enable_private_segment 0
		.amdhsa_system_sgpr_workgroup_id_x 1
		.amdhsa_system_sgpr_workgroup_id_y 0
		.amdhsa_system_sgpr_workgroup_id_z 0
		.amdhsa_system_sgpr_workgroup_info 0
		.amdhsa_system_vgpr_workitem_id 1
		.amdhsa_next_free_vgpr 53
		.amdhsa_next_free_sgpr 19
		.amdhsa_reserve_vcc 1
		.amdhsa_float_round_mode_32 0
		.amdhsa_float_round_mode_16_64 0
		.amdhsa_float_denorm_mode_32 3
		.amdhsa_float_denorm_mode_16_64 3
		.amdhsa_dx10_clamp 1
		.amdhsa_ieee_mode 1
		.amdhsa_fp16_overflow 0
		.amdhsa_workgroup_processor_mode 1
		.amdhsa_memory_ordered 1
		.amdhsa_forward_progress 0
		.amdhsa_shared_vgpr_count 0
		.amdhsa_exception_fp_ieee_invalid_op 0
		.amdhsa_exception_fp_denorm_src 0
		.amdhsa_exception_fp_ieee_div_zero 0
		.amdhsa_exception_fp_ieee_overflow 0
		.amdhsa_exception_fp_ieee_underflow 0
		.amdhsa_exception_fp_ieee_inexact 0
		.amdhsa_exception_int_div_zero 0
	.end_amdhsa_kernel
	.section	.text._ZN4vllm3moe17topkGatingSoftmaxIfLi16ELi512ELi2ELi64ELb0ELi1ELNS0_23SharedExpertScoringFuncE1EEEvPKT_PKbPfiPiS9_iiiiii,"axG",@progbits,_ZN4vllm3moe17topkGatingSoftmaxIfLi16ELi512ELi2ELi64ELb0ELi1ELNS0_23SharedExpertScoringFuncE1EEEvPKT_PKbPfiPiS9_iiiiii,comdat
.Lfunc_end94:
	.size	_ZN4vllm3moe17topkGatingSoftmaxIfLi16ELi512ELi2ELi64ELb0ELi1ELNS0_23SharedExpertScoringFuncE1EEEvPKT_PKbPfiPiS9_iiiiii, .Lfunc_end94-_ZN4vllm3moe17topkGatingSoftmaxIfLi16ELi512ELi2ELi64ELb0ELi1ELNS0_23SharedExpertScoringFuncE1EEEvPKT_PKbPfiPiS9_iiiiii
                                        ; -- End function
	.section	.AMDGPU.csdata,"",@progbits
; Kernel info:
; codeLenInByte = 5080
; NumSgprs: 21
; NumVgprs: 53
; ScratchSize: 0
; MemoryBound: 0
; FloatMode: 240
; IeeeMode: 1
; LDSByteSize: 0 bytes/workgroup (compile time only)
; SGPRBlocks: 2
; VGPRBlocks: 6
; NumSGPRsForWavesPerEU: 21
; NumVGPRsForWavesPerEU: 53
; Occupancy: 16
; WaveLimiterHint : 0
; COMPUTE_PGM_RSRC2:SCRATCH_EN: 0
; COMPUTE_PGM_RSRC2:USER_SGPR: 15
; COMPUTE_PGM_RSRC2:TRAP_HANDLER: 0
; COMPUTE_PGM_RSRC2:TGID_X_EN: 1
; COMPUTE_PGM_RSRC2:TGID_Y_EN: 0
; COMPUTE_PGM_RSRC2:TGID_Z_EN: 0
; COMPUTE_PGM_RSRC2:TIDIG_COMP_CNT: 1
	.section	.text._ZN4vllm3moe17topkGatingSoftmaxIfLi16ELi512ELi2ELi64ELb1ELi2ELNS0_23SharedExpertScoringFuncE1EEEvPKT_PKbPfiPiS9_iiiiii,"axG",@progbits,_ZN4vllm3moe17topkGatingSoftmaxIfLi16ELi512ELi2ELi64ELb1ELi2ELNS0_23SharedExpertScoringFuncE1EEEvPKT_PKbPfiPiS9_iiiiii,comdat
	.protected	_ZN4vllm3moe17topkGatingSoftmaxIfLi16ELi512ELi2ELi64ELb1ELi2ELNS0_23SharedExpertScoringFuncE1EEEvPKT_PKbPfiPiS9_iiiiii ; -- Begin function _ZN4vllm3moe17topkGatingSoftmaxIfLi16ELi512ELi2ELi64ELb1ELi2ELNS0_23SharedExpertScoringFuncE1EEEvPKT_PKbPfiPiS9_iiiiii
	.globl	_ZN4vllm3moe17topkGatingSoftmaxIfLi16ELi512ELi2ELi64ELb1ELi2ELNS0_23SharedExpertScoringFuncE1EEEvPKT_PKbPfiPiS9_iiiiii
	.p2align	8
	.type	_ZN4vllm3moe17topkGatingSoftmaxIfLi16ELi512ELi2ELi64ELb1ELi2ELNS0_23SharedExpertScoringFuncE1EEEvPKT_PKbPfiPiS9_iiiiii,@function
_ZN4vllm3moe17topkGatingSoftmaxIfLi16ELi512ELi2ELi64ELb1ELi2ELNS0_23SharedExpertScoringFuncE1EEEvPKT_PKbPfiPiS9_iiiiii: ; @_ZN4vllm3moe17topkGatingSoftmaxIfLi16ELi512ELi2ELi64ELb1ELi2ELNS0_23SharedExpertScoringFuncE1EEEvPKT_PKbPfiPiS9_iiiiii
; %bb.0:
	s_load_b32 s16, s[0:1], 0x18
	v_and_b32_e32 v1, 0x3ff, v0
	v_bfe_u32 v16, v0, 10, 10
	s_lshl_b32 s18, s15, 1
	s_mov_b32 s2, exec_lo
	s_delay_alu instid0(VALU_DEP_2) | instskip(NEXT) | instid1(VALU_DEP_1)
	v_lshrrev_b32_e32 v41, 5, v1
	v_add3_u32 v23, s18, v16, v41
	s_waitcnt lgkmcnt(0)
	s_delay_alu instid0(VALU_DEP_1)
	v_cmpx_gt_i32_e64 s16, v23
	s_cbranch_execz .LBB95_22
; %bb.1:
	s_clause 0x1
	s_load_b128 s[4:7], s[0:1], 0x0
	s_load_b64 s[12:13], s[0:1], 0x10
	s_waitcnt lgkmcnt(0)
	s_cmp_eq_u64 s[6:7], 0
	s_cbranch_scc1 .LBB95_3
; %bb.2:
	v_ashrrev_i32_e32 v0, 31, v23
	v_add_co_u32 v2, vcc_lo, s6, v23
	s_delay_alu instid0(VALU_DEP_2) | instskip(SKIP_3) | instid1(VALU_DEP_1)
	v_add_co_ci_u32_e32 v3, vcc_lo, s7, v0, vcc_lo
	global_load_u8 v0, v[2:3], off
	s_waitcnt vmcnt(0)
	v_and_b32_e32 v0, 1, v0
	v_cmp_eq_u32_e32 vcc_lo, 1, v0
	s_xor_b32 s2, vcc_lo, -1
	s_delay_alu instid0(SALU_CYCLE_1)
	s_or_not1_b32 s17, s2, exec_lo
	s_branch .LBB95_4
.LBB95_3:
	s_mov_b32 s17, -1
.LBB95_4:
	s_clause 0x1
	s_load_b64 s[14:15], s[0:1], 0x40
	s_load_b128 s[8:11], s[0:1], 0x30
	v_and_b32_e32 v24, 31, v1
	s_mov_b32 s2, exec_lo
	s_delay_alu instid0(VALU_DEP_1) | instskip(SKIP_2) | instid1(VALU_DEP_1)
	v_dual_mov_b32 v22, 0 :: v_dual_lshlrev_b32 v25, 4, v24
	s_waitcnt lgkmcnt(0)
	v_mul_lo_u32 v2, v23, s15
	v_ashrrev_i32_e32 v3, 31, v2
	s_delay_alu instid0(VALU_DEP_1) | instskip(SKIP_1) | instid1(VALU_DEP_2)
	v_lshlrev_b64 v[0:1], 2, v[2:3]
	v_lshlrev_b32_e32 v2, 6, v24
	v_add_co_u32 v17, vcc_lo, s4, v0
	s_delay_alu instid0(VALU_DEP_3) | instskip(NEXT) | instid1(VALU_DEP_2)
	v_add_co_ci_u32_e32 v18, vcc_lo, s5, v1, vcc_lo
	v_add_co_u32 v12, vcc_lo, v17, v2
	s_delay_alu instid0(VALU_DEP_2)
	v_add_co_ci_u32_e32 v13, vcc_lo, 0, v18, vcc_lo
	s_clause 0x3
	global_load_b128 v[0:3], v[12:13], off offset:48
	global_load_b128 v[4:7], v[12:13], off offset:32
	;; [unrolled: 1-line block ×3, first 2 shown]
	global_load_b128 v[12:15], v[12:13], off
	v_cmpx_gt_u32_e32 2, v24
	s_cbranch_execz .LBB95_6
; %bb.5:
	v_lshlrev_b32_e32 v19, 2, v24
	s_delay_alu instid0(VALU_DEP_1)
	v_add_co_u32 v17, vcc_lo, v17, v19
	v_add_co_ci_u32_e32 v18, vcc_lo, 0, v18, vcc_lo
	global_load_b32 v17, v[17:18], off offset:2048
	s_waitcnt vmcnt(0)
	v_mul_f32_e32 v18, 0xbfb8aa3b, v17
	v_cmp_nlt_f32_e32 vcc_lo, 0x42ce8ed0, v17
	s_delay_alu instid0(VALU_DEP_2) | instskip(SKIP_1) | instid1(VALU_DEP_1)
	v_fma_f32 v19, 0xbfb8aa3b, v17, -v18
	v_rndne_f32_e32 v20, v18
	v_dual_fmamk_f32 v19, v17, 0xb2a5705f, v19 :: v_dual_sub_f32 v18, v18, v20
	s_delay_alu instid0(VALU_DEP_1) | instskip(SKIP_1) | instid1(VALU_DEP_2)
	v_add_f32_e32 v18, v18, v19
	v_cvt_i32_f32_e32 v19, v20
	v_exp_f32_e32 v18, v18
	s_waitcnt_depctr 0xfff
	v_ldexp_f32 v18, v18, v19
	s_delay_alu instid0(VALU_DEP_1) | instskip(SKIP_1) | instid1(VALU_DEP_2)
	v_cndmask_b32_e32 v18, 0, v18, vcc_lo
	v_cmp_ngt_f32_e32 vcc_lo, 0xc2b17218, v17
	v_cndmask_b32_e32 v17, 0x7f800000, v18, vcc_lo
	s_delay_alu instid0(VALU_DEP_1) | instskip(NEXT) | instid1(VALU_DEP_1)
	v_add_f32_e32 v19, 1.0, v17
	v_div_scale_f32 v18, null, v19, v19, 1.0
	v_div_scale_f32 v21, vcc_lo, 1.0, v19, 1.0
	s_delay_alu instid0(VALU_DEP_2) | instskip(SKIP_2) | instid1(VALU_DEP_1)
	v_rcp_f32_e32 v20, v18
	s_waitcnt_depctr 0xfff
	v_fma_f32 v17, -v18, v20, 1.0
	v_fmac_f32_e32 v20, v17, v20
	v_mul_lo_u32 v17, v23, s11
	s_delay_alu instid0(VALU_DEP_2) | instskip(NEXT) | instid1(VALU_DEP_2)
	v_mul_f32_e32 v26, v21, v20
	v_add3_u32 v17, v17, s8, v24
	s_delay_alu instid0(VALU_DEP_2) | instskip(NEXT) | instid1(VALU_DEP_1)
	v_fma_f32 v27, -v18, v26, v21
	v_fmac_f32_e32 v26, v27, v20
	s_delay_alu instid0(VALU_DEP_1) | instskip(NEXT) | instid1(VALU_DEP_4)
	v_fma_f32 v21, -v18, v26, v21
	v_ashrrev_i32_e32 v18, 31, v17
	s_delay_alu instid0(VALU_DEP_2) | instskip(NEXT) | instid1(VALU_DEP_2)
	v_div_fmas_f32 v20, v21, v20, v26
	v_lshlrev_b64 v[17:18], 2, v[17:18]
	s_delay_alu instid0(VALU_DEP_2) | instskip(NEXT) | instid1(VALU_DEP_2)
	v_div_fixup_f32 v19, v20, v19, 1.0
	v_add_co_u32 v17, vcc_lo, s12, v17
	s_delay_alu instid0(VALU_DEP_3)
	v_add_co_ci_u32_e32 v18, vcc_lo, s13, v18, vcc_lo
	global_store_b32 v[17:18], v19, off
.LBB95_6:
	s_or_b32 exec_lo, exec_lo, s2
	v_or_b32_e32 v26, 1, v25
	s_waitcnt vmcnt(0)
	v_cmp_lt_f32_e32 vcc_lo, v12, v13
	v_or_b32_e32 v27, 2, v25
	v_or_b32_e32 v28, 3, v25
	;; [unrolled: 1-line block ×4, first 2 shown]
	v_dual_cndmask_b32 v17, v25, v26 :: v_dual_cndmask_b32 v18, v12, v13
	v_or_b32_e32 v31, 6, v25
	v_or_b32_e32 v32, 7, v25
	;; [unrolled: 1-line block ×4, first 2 shown]
	v_cmp_lt_f32_e32 vcc_lo, v18, v14
	v_or_b32_e32 v35, 10, v25
	v_or_b32_e32 v36, 11, v25
	v_or_b32_e32 v37, 12, v25
	v_or_b32_e32 v38, 13, v25
	v_dual_cndmask_b32 v17, v17, v27 :: v_dual_cndmask_b32 v18, v18, v14
	v_or_b32_e32 v39, 14, v25
	v_or_b32_e32 v40, 15, v25
	s_delay_alu instid0(VALU_DEP_3) | instskip(NEXT) | instid1(VALU_DEP_4)
	v_cmp_lt_f32_e32 vcc_lo, v18, v15
	v_dual_cndmask_b32 v17, v17, v28 :: v_dual_cndmask_b32 v18, v18, v15
	s_delay_alu instid0(VALU_DEP_1) | instskip(NEXT) | instid1(VALU_DEP_2)
	v_cmp_lt_f32_e32 vcc_lo, v18, v8
	v_dual_cndmask_b32 v17, v17, v29 :: v_dual_cndmask_b32 v18, v18, v8
	s_delay_alu instid0(VALU_DEP_1) | instskip(NEXT) | instid1(VALU_DEP_2)
	;; [unrolled: 3-line block ×13, first 2 shown]
	v_mov_b32_dpp v19, v17 quad_perm:[1,0,3,2] row_mask:0xf bank_mask:0xf
	v_mov_b32_dpp v20, v18 quad_perm:[1,0,3,2] row_mask:0xf bank_mask:0xf
	s_delay_alu instid0(VALU_DEP_2) | instskip(NEXT) | instid1(VALU_DEP_2)
	v_cmp_lt_i32_e32 vcc_lo, v19, v17
	v_cmp_eq_f32_e64 s2, v18, v20
	v_cmp_lt_f32_e64 s3, v18, v20
	s_delay_alu instid0(VALU_DEP_2)
	s_and_b32 s2, s2, vcc_lo
	s_delay_alu instid0(VALU_DEP_1) | instid1(SALU_CYCLE_1)
	s_or_b32 vcc_lo, s3, s2
	v_dual_cndmask_b32 v18, v18, v20 :: v_dual_cndmask_b32 v17, v17, v19
	s_delay_alu instid0(VALU_DEP_1) | instskip(NEXT) | instid1(VALU_DEP_2)
	v_mov_b32_dpp v19, v18 quad_perm:[2,3,0,1] row_mask:0xf bank_mask:0xf
	v_mov_b32_dpp v20, v17 quad_perm:[2,3,0,1] row_mask:0xf bank_mask:0xf
	s_delay_alu instid0(VALU_DEP_2) | instskip(NEXT) | instid1(VALU_DEP_2)
	v_cmp_eq_f32_e32 vcc_lo, v18, v19
	v_cmp_lt_i32_e64 s2, v20, v17
	v_cmp_lt_f32_e64 s3, v18, v19
	s_delay_alu instid0(VALU_DEP_2)
	s_and_b32 s2, vcc_lo, s2
	s_delay_alu instid0(VALU_DEP_1) | instid1(SALU_CYCLE_1)
	s_or_b32 vcc_lo, s3, s2
	v_dual_cndmask_b32 v18, v18, v19 :: v_dual_cndmask_b32 v19, v17, v20
	s_delay_alu instid0(VALU_DEP_1) | instskip(NEXT) | instid1(VALU_DEP_2)
	v_mov_b32_dpp v17, v18 row_xmask:7 row_mask:0xf bank_mask:0xf
	v_mov_b32_dpp v20, v19 row_xmask:7 row_mask:0xf bank_mask:0xf
	s_delay_alu instid0(VALU_DEP_2) | instskip(NEXT) | instid1(VALU_DEP_2)
	v_cmp_eq_f32_e32 vcc_lo, v18, v17
	v_cmp_lt_i32_e64 s2, v20, v19
	v_cmp_lt_f32_e64 s3, v18, v17
	s_delay_alu instid0(VALU_DEP_2)
	s_and_b32 s2, vcc_lo, s2
	s_delay_alu instid0(VALU_DEP_1) | instid1(SALU_CYCLE_1)
	s_or_b32 vcc_lo, s3, s2
	s_cmp_gt_i32 s8, 0
	v_dual_cndmask_b32 v17, v18, v17 :: v_dual_cndmask_b32 v18, v19, v20
	v_cmp_eq_u32_e32 vcc_lo, 0, v24
	s_cselect_b32 s15, -1, 0
	s_cmp_lt_i32 s8, 1
	s_delay_alu instid0(VALU_DEP_2) | instskip(SKIP_1) | instid1(VALU_DEP_2)
	v_mov_b32_dpp v20, v17 row_xmask:15 row_mask:0xf bank_mask:0xf
	v_mov_b32_dpp v19, v18 row_xmask:15 row_mask:0xf bank_mask:0xf
	v_cmp_lt_f32_e64 s2, v17, v20
	v_cmp_eq_f32_e64 s3, v17, v20
	s_delay_alu instid0(VALU_DEP_3)
	v_cmp_lt_i32_e64 s4, v19, v18
	s_cbranch_scc1 .LBB95_18
; %bb.7:
	s_delay_alu instid0(VALU_DEP_1)
	s_and_b32 s3, s3, s4
	s_load_b128 s[4:7], s[0:1], 0x20
	s_or_b32 s2, s2, s3
	v_mul_lo_u32 v21, v23, s8
	v_cndmask_b32_e64 v20, v17, v20, s2
	v_cndmask_b32_e64 v18, v18, v19, s2
	s_mov_b32 s2, 0x76543210
	v_mul_lo_u32 v17, v23, s11
	v_mul_lo_u32 v19, v23, s14
	v_permlanex16_b32 v22, v20, s2, 0xfedcba98 op_sel:[1,1]
	v_permlanex16_b32 v42, v18, s2, 0xfedcba98 op_sel:[1,1]
	s_delay_alu instid0(VALU_DEP_2) | instskip(NEXT) | instid1(VALU_DEP_2)
	v_cmp_eq_f32_e64 s0, v20, v22
	v_cmp_lt_i32_e64 s1, v42, v18
	v_cmp_lt_f32_e64 s2, v20, v22
	s_delay_alu instid0(VALU_DEP_2)
	s_and_b32 s0, s0, s1
	s_delay_alu instid0(VALU_DEP_1) | instid1(SALU_CYCLE_1)
	s_or_b32 s0, s2, s0
	s_delay_alu instid0(SALU_CYCLE_1)
	v_cndmask_b32_e64 v43, v18, v42, s0
	v_cndmask_b32_e64 v42, v20, v22, s0
	v_mov_b32_e32 v22, 0
	s_and_saveexec_b32 s2, vcc_lo
	s_cbranch_execz .LBB95_9
; %bb.8:
	s_delay_alu instid0(VALU_DEP_2)
	v_sub_f32_e32 v50, v42, v42
	v_cmp_le_i32_e64 s0, s9, v43
	v_cmp_gt_i32_e64 s1, s10, v43
	v_subrev_nc_u32_e32 v51, s9, v43
	v_ashrrev_i32_e32 v22, 31, v21
	v_mul_f32_e32 v18, 0x3fb8aa3b, v50
	s_delay_alu instid0(VALU_DEP_4) | instskip(NEXT) | instid1(SALU_CYCLE_1)
	s_and_b32 s0, s0, s1
	s_and_b32 s0, s17, s0
	s_delay_alu instid0(VALU_DEP_1) | instskip(SKIP_2) | instid1(VALU_DEP_3)
	v_rndne_f32_e32 v46, v18
	v_fma_f32 v20, 0x3fb8aa3b, v50, -v18
	v_lshlrev_b64 v[48:49], 2, v[21:22]
	v_sub_f32_e32 v18, v18, v46
	s_delay_alu instid0(VALU_DEP_3) | instskip(NEXT) | instid1(VALU_DEP_1)
	v_fmamk_f32 v20, v50, 0x32a5705f, v20
	v_add_f32_e32 v20, v18, v20
	v_ashrrev_i32_e32 v18, 31, v17
	s_delay_alu instid0(VALU_DEP_2) | instskip(NEXT) | instid1(VALU_DEP_1)
	v_exp_f32_e32 v52, v20
	v_lshlrev_b64 v[44:45], 2, v[17:18]
	v_ashrrev_i32_e32 v20, 31, v19
	v_cvt_i32_f32_e32 v18, v46
	s_delay_alu instid0(VALU_DEP_2) | instskip(SKIP_2) | instid1(VALU_DEP_1)
	v_lshlrev_b64 v[46:47], 2, v[19:20]
	v_cndmask_b32_e64 v20, 0x200, v51, s0
	v_add_co_u32 v44, s0, s12, v44
	v_add_co_ci_u32_e64 v45, s0, s13, v45, s0
	s_delay_alu instid0(TRANS32_DEP_1) | instskip(SKIP_1) | instid1(VALU_DEP_1)
	v_ldexp_f32 v18, v52, v18
	v_cmp_ngt_f32_e64 s0, 0xc2ce8ed0, v50
	v_cndmask_b32_e64 v18, 0, v18, s0
	s_waitcnt lgkmcnt(0)
	v_add_co_u32 v46, s0, s4, v46
	s_delay_alu instid0(VALU_DEP_1) | instskip(SKIP_1) | instid1(VALU_DEP_1)
	v_add_co_ci_u32_e64 v47, s0, s5, v47, s0
	v_cmp_nlt_f32_e64 s0, 0x42b17218, v50
	v_cndmask_b32_e64 v22, 0x7f800000, v18, s0
	v_add_co_u32 v48, s0, s6, v48
	s_delay_alu instid0(VALU_DEP_1)
	v_add_co_ci_u32_e64 v49, s0, s7, v49, s0
	global_store_b32 v[46:47], v20, off
	global_store_b32 v[44:45], v22, off
	;; [unrolled: 1-line block ×3, first 2 shown]
.LBB95_9:
	s_or_b32 exec_lo, exec_lo, s2
	v_ashrrev_i32_e32 v20, 31, v43
	s_mov_b32 s1, exec_lo
	s_delay_alu instid0(VALU_DEP_1) | instskip(NEXT) | instid1(VALU_DEP_1)
	v_lshrrev_b32_e32 v18, 28, v20
	v_add_nc_u32_e32 v18, v43, v18
	s_delay_alu instid0(VALU_DEP_1) | instskip(NEXT) | instid1(VALU_DEP_1)
	v_ashrrev_i32_e32 v18, 4, v18
	v_lshrrev_b32_e32 v44, 27, v18
	s_delay_alu instid0(VALU_DEP_1) | instskip(NEXT) | instid1(VALU_DEP_1)
	v_add_nc_u32_e32 v44, v18, v44
	v_and_b32_e32 v44, 0xffffffe0, v44
	s_delay_alu instid0(VALU_DEP_1) | instskip(NEXT) | instid1(VALU_DEP_1)
	v_sub_nc_u32_e32 v44, v18, v44
	v_cmpx_eq_u32_e64 v24, v44
	s_cbranch_execz .LBB95_11
; %bb.10:
	v_lshrrev_b32_e32 v20, 23, v20
	v_lshlrev_b32_e32 v18, 4, v18
	s_delay_alu instid0(VALU_DEP_2) | instskip(NEXT) | instid1(VALU_DEP_2)
	v_add_nc_u32_e32 v20, v43, v20
	v_sub_nc_u32_e32 v18, v43, v18
	s_delay_alu instid0(VALU_DEP_2) | instskip(NEXT) | instid1(VALU_DEP_1)
	v_ashrrev_i32_e32 v20, 9, v20
	v_lshl_add_u32 v18, v20, 4, v18
	s_delay_alu instid0(VALU_DEP_1) | instskip(NEXT) | instid1(VALU_DEP_1)
	v_cmp_ne_u32_e64 s0, 15, v18
	v_cndmask_b32_e64 v3, 0xff800000, v3, s0
	v_cmp_ne_u32_e64 s0, 14, v18
	s_delay_alu instid0(VALU_DEP_1) | instskip(SKIP_1) | instid1(VALU_DEP_1)
	v_cndmask_b32_e64 v2, 0xff800000, v2, s0
	v_cmp_ne_u32_e64 s0, 13, v18
	v_cndmask_b32_e64 v1, 0xff800000, v1, s0
	v_cmp_ne_u32_e64 s0, 12, v18
	s_delay_alu instid0(VALU_DEP_1) | instskip(SKIP_1) | instid1(VALU_DEP_1)
	v_cndmask_b32_e64 v0, 0xff800000, v0, s0
	;; [unrolled: 5-line block ×7, first 2 shown]
	v_cmp_ne_u32_e64 s0, 1, v18
	v_cndmask_b32_e64 v13, 0xff800000, v13, s0
	v_cmp_ne_u32_e64 s0, 0, v18
	s_delay_alu instid0(VALU_DEP_1)
	v_cndmask_b32_e64 v12, 0xff800000, v12, s0
.LBB95_11:
	s_or_b32 exec_lo, exec_lo, s1
	s_cmp_eq_u32 s8, 1
	s_cbranch_scc1 .LBB95_18
; %bb.12:
	v_add_nc_u32_e32 v20, s16, v16
	v_add_nc_u32_e32 v16, 1, v21
	;; [unrolled: 1-line block ×3, first 2 shown]
	s_add_i32 s3, s8, -1
	s_mov_b32 s14, 0x76543210
	v_add3_u32 v41, v20, v41, s18
	v_add_nc_u32_e32 v20, 1, v17
	s_branch .LBB95_14
.LBB95_13:                              ;   in Loop: Header=BB95_14 Depth=1
	s_or_b32 exec_lo, exec_lo, s1
	v_add_nc_u32_e32 v41, s16, v41
	v_add_nc_u32_e32 v16, 1, v16
	;; [unrolled: 1-line block ×4, first 2 shown]
	s_add_i32 s3, s3, -1
	s_delay_alu instid0(SALU_CYCLE_1)
	s_cmp_eq_u32 s3, 0
	s_cbranch_scc1 .LBB95_18
.LBB95_14:                              ; =>This Inner Loop Header: Depth=1
	v_cmp_gt_f32_e64 s0, v13, v12
	s_delay_alu instid0(VALU_DEP_1) | instskip(SKIP_1) | instid1(VALU_DEP_2)
	v_cndmask_b32_e64 v19, v12, v13, s0
	v_cndmask_b32_e64 v17, v25, v26, s0
	v_cmp_gt_f32_e64 s0, v14, v19
	s_delay_alu instid0(VALU_DEP_1) | instskip(NEXT) | instid1(VALU_DEP_3)
	v_cndmask_b32_e64 v19, v19, v14, s0
	v_cndmask_b32_e64 v17, v17, v27, s0
	s_delay_alu instid0(VALU_DEP_2) | instskip(NEXT) | instid1(VALU_DEP_1)
	v_cmp_gt_f32_e64 s0, v15, v19
	v_cndmask_b32_e64 v19, v19, v15, s0
	s_delay_alu instid0(VALU_DEP_3) | instskip(NEXT) | instid1(VALU_DEP_2)
	v_cndmask_b32_e64 v17, v17, v28, s0
	v_cmp_gt_f32_e64 s0, v8, v19
	s_delay_alu instid0(VALU_DEP_1) | instskip(NEXT) | instid1(VALU_DEP_3)
	v_cndmask_b32_e64 v19, v19, v8, s0
	v_cndmask_b32_e64 v17, v17, v29, s0
	s_delay_alu instid0(VALU_DEP_2) | instskip(NEXT) | instid1(VALU_DEP_1)
	v_cmp_gt_f32_e64 s0, v9, v19
	v_cndmask_b32_e64 v19, v19, v9, s0
	s_delay_alu instid0(VALU_DEP_3) | instskip(NEXT) | instid1(VALU_DEP_2)
	;; [unrolled: 9-line block ×6, first 2 shown]
	v_cndmask_b32_e64 v17, v17, v38, s0
	v_cmp_gt_f32_e64 s0, v2, v19
	s_delay_alu instid0(VALU_DEP_1) | instskip(NEXT) | instid1(VALU_DEP_3)
	v_cndmask_b32_e64 v19, v19, v2, s0
	v_cndmask_b32_e64 v17, v17, v39, s0
	s_delay_alu instid0(VALU_DEP_2) | instskip(NEXT) | instid1(VALU_DEP_1)
	v_cmp_gt_f32_e64 s0, v3, v19
	v_cndmask_b32_e64 v17, v17, v40, s0
	v_cndmask_b32_e64 v19, v19, v3, s0
	s_delay_alu instid0(VALU_DEP_2) | instskip(NEXT) | instid1(VALU_DEP_2)
	v_mov_b32_dpp v21, v17 quad_perm:[1,0,3,2] row_mask:0xf bank_mask:0xf
	v_mov_b32_dpp v43, v19 quad_perm:[1,0,3,2] row_mask:0xf bank_mask:0xf
	s_delay_alu instid0(VALU_DEP_2) | instskip(NEXT) | instid1(VALU_DEP_2)
	v_cmp_lt_i32_e64 s0, v21, v17
	v_cmp_eq_f32_e64 s1, v19, v43
	v_cmp_lt_f32_e64 s2, v19, v43
	s_delay_alu instid0(VALU_DEP_2)
	s_and_b32 s0, s1, s0
	s_delay_alu instid0(VALU_DEP_1) | instid1(SALU_CYCLE_1)
	s_or_b32 s0, s2, s0
	s_delay_alu instid0(SALU_CYCLE_1) | instskip(SKIP_1) | instid1(VALU_DEP_2)
	v_cndmask_b32_e64 v19, v19, v43, s0
	v_cndmask_b32_e64 v17, v17, v21, s0
	v_mov_b32_dpp v21, v19 quad_perm:[2,3,0,1] row_mask:0xf bank_mask:0xf
	s_delay_alu instid0(VALU_DEP_2) | instskip(NEXT) | instid1(VALU_DEP_2)
	v_mov_b32_dpp v43, v17 quad_perm:[2,3,0,1] row_mask:0xf bank_mask:0xf
	v_cmp_eq_f32_e64 s0, v19, v21
	s_delay_alu instid0(VALU_DEP_2) | instskip(SKIP_1) | instid1(VALU_DEP_2)
	v_cmp_lt_i32_e64 s1, v43, v17
	v_cmp_lt_f32_e64 s2, v19, v21
	s_and_b32 s0, s0, s1
	s_delay_alu instid0(VALU_DEP_1) | instid1(SALU_CYCLE_1)
	s_or_b32 s0, s2, s0
	s_delay_alu instid0(SALU_CYCLE_1) | instskip(SKIP_1) | instid1(VALU_DEP_2)
	v_cndmask_b32_e64 v19, v19, v21, s0
	v_cndmask_b32_e64 v17, v17, v43, s0
	v_mov_b32_dpp v21, v19 row_xmask:7 row_mask:0xf bank_mask:0xf
	s_delay_alu instid0(VALU_DEP_2) | instskip(NEXT) | instid1(VALU_DEP_2)
	v_mov_b32_dpp v43, v17 row_xmask:7 row_mask:0xf bank_mask:0xf
	v_cmp_eq_f32_e64 s0, v19, v21
	s_delay_alu instid0(VALU_DEP_2) | instskip(SKIP_1) | instid1(VALU_DEP_2)
	v_cmp_lt_i32_e64 s1, v43, v17
	v_cmp_lt_f32_e64 s2, v19, v21
	s_and_b32 s0, s0, s1
	s_delay_alu instid0(VALU_DEP_1) | instid1(SALU_CYCLE_1)
	s_or_b32 s0, s2, s0
	s_delay_alu instid0(SALU_CYCLE_1) | instskip(SKIP_1) | instid1(VALU_DEP_2)
	v_cndmask_b32_e64 v19, v19, v21, s0
	v_cndmask_b32_e64 v21, v17, v43, s0
	v_mov_b32_dpp v17, v19 row_xmask:15 row_mask:0xf bank_mask:0xf
	s_delay_alu instid0(VALU_DEP_2) | instskip(NEXT) | instid1(VALU_DEP_2)
	v_mov_b32_dpp v43, v21 row_xmask:15 row_mask:0xf bank_mask:0xf
	v_cmp_eq_f32_e64 s0, v19, v17
	s_delay_alu instid0(VALU_DEP_2) | instskip(SKIP_1) | instid1(VALU_DEP_2)
	v_cmp_lt_i32_e64 s1, v43, v21
	v_cmp_lt_f32_e64 s2, v19, v17
	s_and_b32 s0, s0, s1
	s_delay_alu instid0(VALU_DEP_1) | instid1(SALU_CYCLE_1)
	s_or_b32 s0, s2, s0
	s_delay_alu instid0(SALU_CYCLE_1) | instskip(SKIP_1) | instid1(VALU_DEP_2)
	v_cndmask_b32_e64 v17, v19, v17, s0
	v_cndmask_b32_e64 v21, v21, v43, s0
	v_permlanex16_b32 v19, v17, s14, 0xfedcba98 op_sel:[1,1]
	s_delay_alu instid0(VALU_DEP_2) | instskip(NEXT) | instid1(VALU_DEP_2)
	v_permlanex16_b32 v43, v21, s14, 0xfedcba98 op_sel:[1,1]
	v_cmp_eq_f32_e64 s0, v17, v19
	s_delay_alu instid0(VALU_DEP_2) | instskip(SKIP_1) | instid1(VALU_DEP_2)
	v_cmp_lt_i32_e64 s1, v43, v21
	v_cmp_lt_f32_e64 s2, v17, v19
	s_and_b32 s0, s0, s1
	s_delay_alu instid0(VALU_DEP_1) | instid1(SALU_CYCLE_1)
	s_or_b32 s0, s2, s0
	s_delay_alu instid0(SALU_CYCLE_1)
	v_cndmask_b32_e64 v43, v21, v43, s0
	s_and_saveexec_b32 s2, vcc_lo
	s_cbranch_execz .LBB95_16
; %bb.15:                               ;   in Loop: Header=BB95_14 Depth=1
	v_cndmask_b32_e64 v17, v17, v19, s0
	s_delay_alu instid0(VALU_DEP_2) | instskip(SKIP_4) | instid1(VALU_DEP_4)
	v_cmp_le_i32_e64 s0, s9, v43
	v_cmp_gt_i32_e64 s1, s10, v43
	v_ashrrev_i32_e32 v21, 31, v20
	v_subrev_nc_u32_e32 v51, s9, v43
	v_sub_f32_e32 v50, v17, v42
	s_and_b32 s0, s0, s1
	s_delay_alu instid0(SALU_CYCLE_1) | instskip(NEXT) | instid1(VALU_DEP_1)
	s_and_b32 s0, s17, s0
	v_mul_f32_e32 v17, 0x3fb8aa3b, v50
	s_delay_alu instid0(VALU_DEP_1) | instskip(SKIP_1) | instid1(VALU_DEP_2)
	v_fma_f32 v19, 0x3fb8aa3b, v50, -v17
	v_rndne_f32_e32 v44, v17
	v_fmac_f32_e32 v19, 0x32a5705f, v50
	s_delay_alu instid0(VALU_DEP_2) | instskip(SKIP_2) | instid1(VALU_DEP_3)
	v_sub_f32_e32 v17, v17, v44
	v_cvt_i32_f32_e32 v49, v44
	v_lshlrev_b64 v[44:45], 2, v[20:21]
	v_add_f32_e32 v17, v17, v19
	v_ashrrev_i32_e32 v19, 31, v18
	s_delay_alu instid0(VALU_DEP_2) | instskip(SKIP_1) | instid1(VALU_DEP_2)
	v_exp_f32_e32 v48, v17
	v_ashrrev_i32_e32 v17, 31, v16
	v_lshlrev_b64 v[46:47], 2, v[18:19]
	s_waitcnt_depctr 0xfff
	v_ldexp_f32 v19, v48, v49
	v_lshlrev_b64 v[48:49], 2, v[16:17]
	v_cndmask_b32_e64 v17, 0x200, v51, s0
	v_cmp_ngt_f32_e64 s0, 0xc2ce8ed0, v50
	s_delay_alu instid0(VALU_DEP_1) | instskip(SKIP_1) | instid1(VALU_DEP_1)
	v_cndmask_b32_e64 v19, 0, v19, s0
	v_add_co_u32 v44, s0, s12, v44
	v_add_co_ci_u32_e64 v45, s0, s13, v45, s0
	v_cmp_nlt_f32_e64 s0, 0x42b17218, v50
	s_delay_alu instid0(VALU_DEP_1) | instskip(SKIP_2) | instid1(VALU_DEP_1)
	v_cndmask_b32_e64 v19, 0x7f800000, v19, s0
	s_waitcnt lgkmcnt(0)
	v_add_co_u32 v46, s0, s4, v46
	v_add_co_ci_u32_e64 v47, s0, s5, v47, s0
	s_delay_alu instid0(VALU_DEP_3) | instskip(SKIP_1) | instid1(VALU_DEP_1)
	v_add_f32_e32 v22, v22, v19
	v_add_co_u32 v48, s0, s6, v48
	v_add_co_ci_u32_e64 v49, s0, s7, v49, s0
	global_store_b32 v[44:45], v19, off
	global_store_b32 v[46:47], v17, off
	;; [unrolled: 1-line block ×3, first 2 shown]
.LBB95_16:                              ;   in Loop: Header=BB95_14 Depth=1
	s_or_b32 exec_lo, exec_lo, s2
	s_delay_alu instid0(VALU_DEP_1) | instskip(SKIP_1) | instid1(VALU_DEP_1)
	v_ashrrev_i32_e32 v19, 31, v43
	s_mov_b32 s1, exec_lo
	v_lshrrev_b32_e32 v17, 28, v19
	s_delay_alu instid0(VALU_DEP_1) | instskip(NEXT) | instid1(VALU_DEP_1)
	v_add_nc_u32_e32 v17, v43, v17
	v_ashrrev_i32_e32 v17, 4, v17
	s_delay_alu instid0(VALU_DEP_1) | instskip(NEXT) | instid1(VALU_DEP_1)
	v_lshrrev_b32_e32 v21, 27, v17
	v_add_nc_u32_e32 v21, v17, v21
	s_delay_alu instid0(VALU_DEP_1) | instskip(NEXT) | instid1(VALU_DEP_1)
	v_and_b32_e32 v21, 0xffffffe0, v21
	v_sub_nc_u32_e32 v21, v17, v21
	s_delay_alu instid0(VALU_DEP_1)
	v_cmpx_eq_u32_e64 v24, v21
	s_cbranch_execz .LBB95_13
; %bb.17:                               ;   in Loop: Header=BB95_14 Depth=1
	v_lshrrev_b32_e32 v19, 23, v19
	v_lshlrev_b32_e32 v17, 4, v17
	s_delay_alu instid0(VALU_DEP_2) | instskip(NEXT) | instid1(VALU_DEP_2)
	v_add_nc_u32_e32 v19, v43, v19
	v_sub_nc_u32_e32 v17, v43, v17
	s_delay_alu instid0(VALU_DEP_2) | instskip(NEXT) | instid1(VALU_DEP_1)
	v_ashrrev_i32_e32 v19, 9, v19
	v_lshl_add_u32 v17, v19, 4, v17
	s_delay_alu instid0(VALU_DEP_1) | instskip(NEXT) | instid1(VALU_DEP_1)
	v_cmp_ne_u32_e64 s0, 15, v17
	v_cndmask_b32_e64 v3, 0xff800000, v3, s0
	v_cmp_ne_u32_e64 s0, 14, v17
	s_delay_alu instid0(VALU_DEP_1) | instskip(SKIP_1) | instid1(VALU_DEP_1)
	v_cndmask_b32_e64 v2, 0xff800000, v2, s0
	v_cmp_ne_u32_e64 s0, 13, v17
	v_cndmask_b32_e64 v1, 0xff800000, v1, s0
	v_cmp_ne_u32_e64 s0, 12, v17
	s_delay_alu instid0(VALU_DEP_1) | instskip(SKIP_1) | instid1(VALU_DEP_1)
	v_cndmask_b32_e64 v0, 0xff800000, v0, s0
	;; [unrolled: 5-line block ×7, first 2 shown]
	v_cmp_ne_u32_e64 s0, 1, v17
	v_cndmask_b32_e64 v13, 0xff800000, v13, s0
	v_cmp_ne_u32_e64 s0, 0, v17
	s_delay_alu instid0(VALU_DEP_1)
	v_cndmask_b32_e64 v12, 0xff800000, v12, s0
	s_branch .LBB95_13
.LBB95_18:
	v_cmp_eq_u32_e32 vcc_lo, 0, v24
	v_cmp_neq_f32_e64 s0, 0, v22
	s_delay_alu instid0(VALU_DEP_1) | instskip(NEXT) | instid1(SALU_CYCLE_1)
	s_and_b32 s0, vcc_lo, s0
	s_and_b32 exec_lo, exec_lo, s0
	s_cbranch_execz .LBB95_22
; %bb.19:
	s_and_not1_b32 vcc_lo, exec_lo, s15
	s_cbranch_vccnz .LBB95_22
; %bb.20:
	v_div_scale_f32 v1, null, v22, v22, 1.0
	v_div_scale_f32 v3, vcc_lo, 1.0, v22, 1.0
	s_delay_alu instid0(VALU_DEP_2) | instskip(SKIP_2) | instid1(VALU_DEP_1)
	v_rcp_f32_e32 v2, v1
	s_waitcnt_depctr 0xfff
	v_fma_f32 v0, -v1, v2, 1.0
	v_fmac_f32_e32 v2, v0, v2
	v_mul_lo_u32 v0, v23, s11
	s_delay_alu instid0(VALU_DEP_2) | instskip(NEXT) | instid1(VALU_DEP_1)
	v_mul_f32_e32 v4, v3, v2
	v_fma_f32 v5, -v1, v4, v3
	s_delay_alu instid0(VALU_DEP_1) | instskip(NEXT) | instid1(VALU_DEP_1)
	v_fmac_f32_e32 v4, v5, v2
	v_fma_f32 v3, -v1, v4, v3
	v_ashrrev_i32_e32 v1, 31, v0
	s_delay_alu instid0(VALU_DEP_2) | instskip(NEXT) | instid1(VALU_DEP_2)
	v_div_fmas_f32 v2, v3, v2, v4
	v_lshlrev_b64 v[0:1], 2, v[0:1]
	s_delay_alu instid0(VALU_DEP_2) | instskip(NEXT) | instid1(VALU_DEP_2)
	v_div_fixup_f32 v2, v2, v22, 1.0
	v_add_co_u32 v0, vcc_lo, s12, v0
	s_delay_alu instid0(VALU_DEP_3)
	v_add_co_ci_u32_e32 v1, vcc_lo, s13, v1, vcc_lo
.LBB95_21:                              ; =>This Inner Loop Header: Depth=1
	global_load_b32 v3, v[0:1], off
	s_add_i32 s8, s8, -1
	s_delay_alu instid0(SALU_CYCLE_1)
	s_cmp_lg_u32 s8, 0
	s_waitcnt vmcnt(0)
	v_mul_f32_e32 v3, v2, v3
	global_store_b32 v[0:1], v3, off
	v_add_co_u32 v0, vcc_lo, v0, 4
	v_add_co_ci_u32_e32 v1, vcc_lo, 0, v1, vcc_lo
	s_cbranch_scc1 .LBB95_21
.LBB95_22:
	s_nop 0
	s_sendmsg sendmsg(MSG_DEALLOC_VGPRS)
	s_endpgm
	.section	.rodata,"a",@progbits
	.p2align	6, 0x0
	.amdhsa_kernel _ZN4vllm3moe17topkGatingSoftmaxIfLi16ELi512ELi2ELi64ELb1ELi2ELNS0_23SharedExpertScoringFuncE1EEEvPKT_PKbPfiPiS9_iiiiii
		.amdhsa_group_segment_fixed_size 0
		.amdhsa_private_segment_fixed_size 0
		.amdhsa_kernarg_size 72
		.amdhsa_user_sgpr_count 15
		.amdhsa_user_sgpr_dispatch_ptr 0
		.amdhsa_user_sgpr_queue_ptr 0
		.amdhsa_user_sgpr_kernarg_segment_ptr 1
		.amdhsa_user_sgpr_dispatch_id 0
		.amdhsa_user_sgpr_private_segment_size 0
		.amdhsa_wavefront_size32 1
		.amdhsa_uses_dynamic_stack 0
		.amdhsa_enable_private_segment 0
		.amdhsa_system_sgpr_workgroup_id_x 1
		.amdhsa_system_sgpr_workgroup_id_y 0
		.amdhsa_system_sgpr_workgroup_id_z 0
		.amdhsa_system_sgpr_workgroup_info 0
		.amdhsa_system_vgpr_workitem_id 1
		.amdhsa_next_free_vgpr 53
		.amdhsa_next_free_sgpr 19
		.amdhsa_reserve_vcc 1
		.amdhsa_float_round_mode_32 0
		.amdhsa_float_round_mode_16_64 0
		.amdhsa_float_denorm_mode_32 3
		.amdhsa_float_denorm_mode_16_64 3
		.amdhsa_dx10_clamp 1
		.amdhsa_ieee_mode 1
		.amdhsa_fp16_overflow 0
		.amdhsa_workgroup_processor_mode 1
		.amdhsa_memory_ordered 1
		.amdhsa_forward_progress 0
		.amdhsa_shared_vgpr_count 0
		.amdhsa_exception_fp_ieee_invalid_op 0
		.amdhsa_exception_fp_denorm_src 0
		.amdhsa_exception_fp_ieee_div_zero 0
		.amdhsa_exception_fp_ieee_overflow 0
		.amdhsa_exception_fp_ieee_underflow 0
		.amdhsa_exception_fp_ieee_inexact 0
		.amdhsa_exception_int_div_zero 0
	.end_amdhsa_kernel
	.section	.text._ZN4vllm3moe17topkGatingSoftmaxIfLi16ELi512ELi2ELi64ELb1ELi2ELNS0_23SharedExpertScoringFuncE1EEEvPKT_PKbPfiPiS9_iiiiii,"axG",@progbits,_ZN4vllm3moe17topkGatingSoftmaxIfLi16ELi512ELi2ELi64ELb1ELi2ELNS0_23SharedExpertScoringFuncE1EEEvPKT_PKbPfiPiS9_iiiiii,comdat
.Lfunc_end95:
	.size	_ZN4vllm3moe17topkGatingSoftmaxIfLi16ELi512ELi2ELi64ELb1ELi2ELNS0_23SharedExpertScoringFuncE1EEEvPKT_PKbPfiPiS9_iiiiii, .Lfunc_end95-_ZN4vllm3moe17topkGatingSoftmaxIfLi16ELi512ELi2ELi64ELb1ELi2ELNS0_23SharedExpertScoringFuncE1EEEvPKT_PKbPfiPiS9_iiiiii
                                        ; -- End function
	.section	.AMDGPU.csdata,"",@progbits
; Kernel info:
; codeLenInByte = 4048
; NumSgprs: 21
; NumVgprs: 53
; ScratchSize: 0
; MemoryBound: 0
; FloatMode: 240
; IeeeMode: 1
; LDSByteSize: 0 bytes/workgroup (compile time only)
; SGPRBlocks: 2
; VGPRBlocks: 6
; NumSGPRsForWavesPerEU: 21
; NumVGPRsForWavesPerEU: 53
; Occupancy: 16
; WaveLimiterHint : 0
; COMPUTE_PGM_RSRC2:SCRATCH_EN: 0
; COMPUTE_PGM_RSRC2:USER_SGPR: 15
; COMPUTE_PGM_RSRC2:TRAP_HANDLER: 0
; COMPUTE_PGM_RSRC2:TGID_X_EN: 1
; COMPUTE_PGM_RSRC2:TGID_Y_EN: 0
; COMPUTE_PGM_RSRC2:TGID_Z_EN: 0
; COMPUTE_PGM_RSRC2:TIDIG_COMP_CNT: 1
	.section	.text._ZN4vllm3moe17topkGatingSoftmaxIfLi16ELi512ELi2ELi64ELb0ELi2ELNS0_23SharedExpertScoringFuncE1EEEvPKT_PKbPfiPiS9_iiiiii,"axG",@progbits,_ZN4vllm3moe17topkGatingSoftmaxIfLi16ELi512ELi2ELi64ELb0ELi2ELNS0_23SharedExpertScoringFuncE1EEEvPKT_PKbPfiPiS9_iiiiii,comdat
	.protected	_ZN4vllm3moe17topkGatingSoftmaxIfLi16ELi512ELi2ELi64ELb0ELi2ELNS0_23SharedExpertScoringFuncE1EEEvPKT_PKbPfiPiS9_iiiiii ; -- Begin function _ZN4vllm3moe17topkGatingSoftmaxIfLi16ELi512ELi2ELi64ELb0ELi2ELNS0_23SharedExpertScoringFuncE1EEEvPKT_PKbPfiPiS9_iiiiii
	.globl	_ZN4vllm3moe17topkGatingSoftmaxIfLi16ELi512ELi2ELi64ELb0ELi2ELNS0_23SharedExpertScoringFuncE1EEEvPKT_PKbPfiPiS9_iiiiii
	.p2align	8
	.type	_ZN4vllm3moe17topkGatingSoftmaxIfLi16ELi512ELi2ELi64ELb0ELi2ELNS0_23SharedExpertScoringFuncE1EEEvPKT_PKbPfiPiS9_iiiiii,@function
_ZN4vllm3moe17topkGatingSoftmaxIfLi16ELi512ELi2ELi64ELb0ELi2ELNS0_23SharedExpertScoringFuncE1EEEvPKT_PKbPfiPiS9_iiiiii: ; @_ZN4vllm3moe17topkGatingSoftmaxIfLi16ELi512ELi2ELi64ELb0ELi2ELNS0_23SharedExpertScoringFuncE1EEEvPKT_PKbPfiPiS9_iiiiii
; %bb.0:
	s_load_b32 s16, s[0:1], 0x18
	v_and_b32_e32 v1, 0x3ff, v0
	v_bfe_u32 v16, v0, 10, 10
	s_lshl_b32 s18, s15, 1
	s_mov_b32 s2, exec_lo
	s_delay_alu instid0(VALU_DEP_2) | instskip(NEXT) | instid1(VALU_DEP_1)
	v_lshrrev_b32_e32 v42, 5, v1
	v_add3_u32 v23, s18, v16, v42
	s_waitcnt lgkmcnt(0)
	s_delay_alu instid0(VALU_DEP_1)
	v_cmpx_gt_i32_e64 s16, v23
	s_cbranch_execz .LBB96_23
; %bb.1:
	s_clause 0x1
	s_load_b128 s[4:7], s[0:1], 0x0
	s_load_b64 s[12:13], s[0:1], 0x10
	s_waitcnt lgkmcnt(0)
	s_cmp_eq_u64 s[6:7], 0
	s_cbranch_scc1 .LBB96_3
; %bb.2:
	v_ashrrev_i32_e32 v0, 31, v23
	v_add_co_u32 v2, vcc_lo, s6, v23
	s_delay_alu instid0(VALU_DEP_2) | instskip(SKIP_3) | instid1(VALU_DEP_1)
	v_add_co_ci_u32_e32 v3, vcc_lo, s7, v0, vcc_lo
	global_load_u8 v0, v[2:3], off
	s_waitcnt vmcnt(0)
	v_and_b32_e32 v0, 1, v0
	v_cmp_eq_u32_e32 vcc_lo, 1, v0
	s_xor_b32 s2, vcc_lo, -1
	s_delay_alu instid0(SALU_CYCLE_1)
	s_or_not1_b32 s17, s2, exec_lo
	s_branch .LBB96_4
.LBB96_3:
	s_mov_b32 s17, -1
.LBB96_4:
	s_load_b64 s[14:15], s[0:1], 0x40
	v_and_b32_e32 v24, 31, v1
	v_mov_b32_e32 v22, 0
	s_mov_b32 s2, exec_lo
	s_delay_alu instid0(VALU_DEP_2) | instskip(SKIP_2) | instid1(VALU_DEP_1)
	v_lshlrev_b32_e32 v26, 4, v24
	s_waitcnt lgkmcnt(0)
	v_mul_lo_u32 v2, v23, s15
	v_ashrrev_i32_e32 v3, 31, v2
	s_delay_alu instid0(VALU_DEP_1) | instskip(SKIP_1) | instid1(VALU_DEP_2)
	v_lshlrev_b64 v[0:1], 2, v[2:3]
	v_lshlrev_b32_e32 v2, 6, v24
	v_add_co_u32 v17, vcc_lo, s4, v0
	s_delay_alu instid0(VALU_DEP_3) | instskip(SKIP_1) | instid1(VALU_DEP_2)
	v_add_co_ci_u32_e32 v18, vcc_lo, s5, v1, vcc_lo
	s_load_b128 s[4:7], s[0:1], 0x30
	v_add_co_u32 v12, vcc_lo, v17, v2
	s_delay_alu instid0(VALU_DEP_2)
	v_add_co_ci_u32_e32 v13, vcc_lo, 0, v18, vcc_lo
	s_clause 0x3
	global_load_b128 v[0:3], v[12:13], off offset:48
	global_load_b128 v[4:7], v[12:13], off offset:32
	;; [unrolled: 1-line block ×3, first 2 shown]
	global_load_b128 v[12:15], v[12:13], off
	v_cmpx_gt_u32_e32 2, v24
	s_cbranch_execz .LBB96_6
; %bb.5:
	v_lshlrev_b32_e32 v19, 2, v24
	s_delay_alu instid0(VALU_DEP_1)
	v_add_co_u32 v17, vcc_lo, v17, v19
	v_add_co_ci_u32_e32 v18, vcc_lo, 0, v18, vcc_lo
	global_load_b32 v17, v[17:18], off offset:2048
	s_waitcnt vmcnt(0)
	v_mul_f32_e32 v18, 0xbfb8aa3b, v17
	v_cmp_nlt_f32_e32 vcc_lo, 0x42ce8ed0, v17
	s_delay_alu instid0(VALU_DEP_2) | instskip(SKIP_1) | instid1(VALU_DEP_1)
	v_fma_f32 v19, 0xbfb8aa3b, v17, -v18
	v_rndne_f32_e32 v20, v18
	v_dual_fmamk_f32 v19, v17, 0xb2a5705f, v19 :: v_dual_sub_f32 v18, v18, v20
	s_delay_alu instid0(VALU_DEP_1) | instskip(SKIP_1) | instid1(VALU_DEP_2)
	v_add_f32_e32 v18, v18, v19
	v_cvt_i32_f32_e32 v19, v20
	v_exp_f32_e32 v18, v18
	s_waitcnt_depctr 0xfff
	v_ldexp_f32 v18, v18, v19
	s_delay_alu instid0(VALU_DEP_1) | instskip(SKIP_1) | instid1(VALU_DEP_2)
	v_cndmask_b32_e32 v18, 0, v18, vcc_lo
	v_cmp_ngt_f32_e32 vcc_lo, 0xc2b17218, v17
	v_cndmask_b32_e32 v17, 0x7f800000, v18, vcc_lo
	s_delay_alu instid0(VALU_DEP_1) | instskip(NEXT) | instid1(VALU_DEP_1)
	v_add_f32_e32 v19, 1.0, v17
	v_div_scale_f32 v18, null, v19, v19, 1.0
	v_div_scale_f32 v21, vcc_lo, 1.0, v19, 1.0
	s_delay_alu instid0(VALU_DEP_2) | instskip(SKIP_2) | instid1(VALU_DEP_1)
	v_rcp_f32_e32 v20, v18
	s_waitcnt_depctr 0xfff
	v_fma_f32 v17, -v18, v20, 1.0
	v_fmac_f32_e32 v20, v17, v20
	s_waitcnt lgkmcnt(0)
	v_mul_lo_u32 v17, v23, s7
	s_delay_alu instid0(VALU_DEP_2) | instskip(NEXT) | instid1(VALU_DEP_2)
	v_mul_f32_e32 v25, v21, v20
	v_add3_u32 v17, v17, s4, v24
	s_delay_alu instid0(VALU_DEP_2) | instskip(NEXT) | instid1(VALU_DEP_1)
	v_fma_f32 v27, -v18, v25, v21
	v_fmac_f32_e32 v25, v27, v20
	s_delay_alu instid0(VALU_DEP_1) | instskip(NEXT) | instid1(VALU_DEP_4)
	v_fma_f32 v21, -v18, v25, v21
	v_ashrrev_i32_e32 v18, 31, v17
	s_delay_alu instid0(VALU_DEP_2) | instskip(NEXT) | instid1(VALU_DEP_2)
	v_div_fmas_f32 v20, v21, v20, v25
	v_lshlrev_b64 v[17:18], 2, v[17:18]
	s_delay_alu instid0(VALU_DEP_2) | instskip(NEXT) | instid1(VALU_DEP_2)
	v_div_fixup_f32 v19, v20, v19, 1.0
	v_add_co_u32 v17, vcc_lo, s12, v17
	s_delay_alu instid0(VALU_DEP_3)
	v_add_co_ci_u32_e32 v18, vcc_lo, s13, v18, vcc_lo
	global_store_b32 v[17:18], v19, off
.LBB96_6:
	s_or_b32 exec_lo, exec_lo, s2
	v_or_b32_e32 v27, 1, v26
	s_waitcnt vmcnt(0)
	v_cmp_lt_f32_e32 vcc_lo, v12, v13
	v_or_b32_e32 v28, 2, v26
	v_or_b32_e32 v29, 3, v26
	;; [unrolled: 1-line block ×4, first 2 shown]
	v_dual_cndmask_b32 v17, v26, v27 :: v_dual_cndmask_b32 v18, v12, v13
	v_or_b32_e32 v32, 6, v26
	v_or_b32_e32 v33, 7, v26
	;; [unrolled: 1-line block ×4, first 2 shown]
	v_cmp_lt_f32_e32 vcc_lo, v18, v14
	v_or_b32_e32 v36, 10, v26
	v_or_b32_e32 v37, 11, v26
	;; [unrolled: 1-line block ×4, first 2 shown]
	v_dual_cndmask_b32 v17, v17, v28 :: v_dual_cndmask_b32 v18, v18, v14
	v_or_b32_e32 v40, 14, v26
	v_or_b32_e32 v41, 15, v26
	s_delay_alu instid0(VALU_DEP_3) | instskip(NEXT) | instid1(VALU_DEP_4)
	v_cmp_lt_f32_e32 vcc_lo, v18, v15
	v_dual_cndmask_b32 v17, v17, v29 :: v_dual_cndmask_b32 v18, v18, v15
	s_delay_alu instid0(VALU_DEP_1) | instskip(NEXT) | instid1(VALU_DEP_2)
	v_cmp_lt_f32_e32 vcc_lo, v18, v8
	v_dual_cndmask_b32 v17, v17, v30 :: v_dual_cndmask_b32 v18, v18, v8
	s_delay_alu instid0(VALU_DEP_1) | instskip(NEXT) | instid1(VALU_DEP_2)
	;; [unrolled: 3-line block ×13, first 2 shown]
	v_mov_b32_dpp v19, v17 quad_perm:[1,0,3,2] row_mask:0xf bank_mask:0xf
	v_mov_b32_dpp v20, v18 quad_perm:[1,0,3,2] row_mask:0xf bank_mask:0xf
	s_delay_alu instid0(VALU_DEP_2) | instskip(NEXT) | instid1(VALU_DEP_2)
	v_cmp_lt_i32_e32 vcc_lo, v19, v17
	v_cmp_eq_f32_e64 s2, v18, v20
	v_cmp_lt_f32_e64 s3, v18, v20
	s_delay_alu instid0(VALU_DEP_2)
	s_and_b32 s2, s2, vcc_lo
	s_delay_alu instid0(VALU_DEP_1) | instid1(SALU_CYCLE_1)
	s_or_b32 vcc_lo, s3, s2
	v_dual_cndmask_b32 v18, v18, v20 :: v_dual_cndmask_b32 v17, v17, v19
	s_delay_alu instid0(VALU_DEP_1) | instskip(NEXT) | instid1(VALU_DEP_2)
	v_mov_b32_dpp v19, v18 quad_perm:[2,3,0,1] row_mask:0xf bank_mask:0xf
	v_mov_b32_dpp v20, v17 quad_perm:[2,3,0,1] row_mask:0xf bank_mask:0xf
	s_delay_alu instid0(VALU_DEP_2) | instskip(NEXT) | instid1(VALU_DEP_2)
	v_cmp_eq_f32_e32 vcc_lo, v18, v19
	v_cmp_lt_i32_e64 s2, v20, v17
	v_cmp_lt_f32_e64 s3, v18, v19
	s_delay_alu instid0(VALU_DEP_2)
	s_and_b32 s2, vcc_lo, s2
	s_delay_alu instid0(VALU_DEP_1) | instid1(SALU_CYCLE_1)
	s_or_b32 vcc_lo, s3, s2
	v_dual_cndmask_b32 v18, v18, v19 :: v_dual_cndmask_b32 v17, v17, v20
	s_delay_alu instid0(VALU_DEP_1) | instskip(NEXT) | instid1(VALU_DEP_2)
	v_mov_b32_dpp v19, v18 row_xmask:7 row_mask:0xf bank_mask:0xf
	v_mov_b32_dpp v20, v17 row_xmask:7 row_mask:0xf bank_mask:0xf
	s_delay_alu instid0(VALU_DEP_2) | instskip(NEXT) | instid1(VALU_DEP_2)
	v_cmp_eq_f32_e32 vcc_lo, v18, v19
	v_cmp_lt_i32_e64 s2, v20, v17
	v_cmp_lt_f32_e64 s3, v18, v19
	s_delay_alu instid0(VALU_DEP_2)
	s_and_b32 s2, vcc_lo, s2
	s_delay_alu instid0(VALU_DEP_1) | instid1(SALU_CYCLE_1)
	s_or_b32 vcc_lo, s3, s2
	v_dual_cndmask_b32 v18, v18, v19 :: v_dual_cndmask_b32 v17, v17, v20
	s_delay_alu instid0(VALU_DEP_1) | instskip(NEXT) | instid1(VALU_DEP_2)
	v_mov_b32_dpp v19, v18 row_xmask:15 row_mask:0xf bank_mask:0xf
	v_mov_b32_dpp v20, v17 row_xmask:15 row_mask:0xf bank_mask:0xf
	s_delay_alu instid0(VALU_DEP_2) | instskip(NEXT) | instid1(VALU_DEP_2)
	v_cmp_eq_f32_e32 vcc_lo, v18, v19
	v_cmp_lt_i32_e64 s2, v20, v17
	v_cmp_lt_f32_e64 s3, v18, v19
	s_delay_alu instid0(VALU_DEP_2)
	s_and_b32 s2, vcc_lo, s2
	s_delay_alu instid0(VALU_DEP_1) | instid1(SALU_CYCLE_1)
	s_or_b32 vcc_lo, s3, s2
	s_mov_b32 s2, 0x76543210
	v_dual_cndmask_b32 v19, v18, v19 :: v_dual_cndmask_b32 v18, v17, v20
	s_delay_alu instid0(VALU_DEP_1) | instskip(NEXT) | instid1(VALU_DEP_2)
	v_permlanex16_b32 v17, v19, s2, 0xfedcba98 op_sel:[1,1]
	v_permlanex16_b32 v20, v18, s2, 0xfedcba98 op_sel:[1,1]
	s_delay_alu instid0(VALU_DEP_2) | instskip(NEXT) | instid1(VALU_DEP_2)
	v_cmp_eq_f32_e32 vcc_lo, v19, v17
	v_cmp_lt_i32_e64 s2, v20, v18
	v_cmp_lt_f32_e64 s3, v19, v17
	s_delay_alu instid0(VALU_DEP_2) | instskip(SKIP_1) | instid1(VALU_DEP_2)
	s_and_b32 s2, vcc_lo, s2
	v_cmp_eq_u32_e32 vcc_lo, 0, v24
	s_or_b32 s2, s3, s2
	s_waitcnt lgkmcnt(0)
	s_cmp_gt_i32 s4, 0
	v_cndmask_b32_e64 v25, v19, v17, s2
	s_cselect_b32 s3, -1, 0
	s_cmp_lt_i32 s4, 1
	s_cbranch_scc1 .LBB96_18
; %bb.7:
	s_load_b128 s[8:11], s[0:1], 0x20
	v_mul_lo_u32 v17, v23, s7
	v_mul_lo_u32 v19, v23, s14
	v_mul_lo_u32 v21, v23, s4
	v_cndmask_b32_e64 v43, v18, v20, s2
	v_mov_b32_e32 v22, 0
	s_and_saveexec_b32 s2, vcc_lo
	s_cbranch_execz .LBB96_9
; %bb.8:
	v_sub_f32_e32 v50, v25, v25
	v_cmp_le_i32_e64 s0, s5, v43
	v_cmp_gt_i32_e64 s1, s6, v43
	v_subrev_nc_u32_e32 v51, s5, v43
	v_ashrrev_i32_e32 v22, 31, v21
	v_mul_f32_e32 v18, 0x3fb8aa3b, v50
	s_delay_alu instid0(VALU_DEP_4) | instskip(NEXT) | instid1(SALU_CYCLE_1)
	s_and_b32 s0, s0, s1
	s_and_b32 s0, s17, s0
	s_delay_alu instid0(VALU_DEP_1) | instskip(SKIP_2) | instid1(VALU_DEP_3)
	v_rndne_f32_e32 v46, v18
	v_fma_f32 v20, 0x3fb8aa3b, v50, -v18
	v_lshlrev_b64 v[48:49], 2, v[21:22]
	v_sub_f32_e32 v18, v18, v46
	s_delay_alu instid0(VALU_DEP_3) | instskip(NEXT) | instid1(VALU_DEP_1)
	v_fmamk_f32 v20, v50, 0x32a5705f, v20
	v_add_f32_e32 v20, v18, v20
	v_ashrrev_i32_e32 v18, 31, v17
	s_delay_alu instid0(VALU_DEP_2) | instskip(NEXT) | instid1(VALU_DEP_1)
	v_exp_f32_e32 v52, v20
	v_lshlrev_b64 v[44:45], 2, v[17:18]
	v_ashrrev_i32_e32 v20, 31, v19
	v_cvt_i32_f32_e32 v18, v46
	s_delay_alu instid0(VALU_DEP_2) | instskip(SKIP_2) | instid1(VALU_DEP_1)
	v_lshlrev_b64 v[46:47], 2, v[19:20]
	v_cndmask_b32_e64 v20, 0x200, v51, s0
	v_add_co_u32 v44, s0, s12, v44
	v_add_co_ci_u32_e64 v45, s0, s13, v45, s0
	s_delay_alu instid0(TRANS32_DEP_1) | instskip(SKIP_1) | instid1(VALU_DEP_1)
	v_ldexp_f32 v18, v52, v18
	v_cmp_ngt_f32_e64 s0, 0xc2ce8ed0, v50
	v_cndmask_b32_e64 v18, 0, v18, s0
	s_waitcnt lgkmcnt(0)
	v_add_co_u32 v46, s0, s8, v46
	s_delay_alu instid0(VALU_DEP_1) | instskip(SKIP_1) | instid1(VALU_DEP_1)
	v_add_co_ci_u32_e64 v47, s0, s9, v47, s0
	v_cmp_nlt_f32_e64 s0, 0x42b17218, v50
	v_cndmask_b32_e64 v22, 0x7f800000, v18, s0
	v_add_co_u32 v48, s0, s10, v48
	s_delay_alu instid0(VALU_DEP_1)
	v_add_co_ci_u32_e64 v49, s0, s11, v49, s0
	global_store_b32 v[46:47], v20, off
	global_store_b32 v[44:45], v22, off
	;; [unrolled: 1-line block ×3, first 2 shown]
.LBB96_9:
	s_or_b32 exec_lo, exec_lo, s2
	v_ashrrev_i32_e32 v20, 31, v43
	s_mov_b32 s1, exec_lo
	s_delay_alu instid0(VALU_DEP_1) | instskip(NEXT) | instid1(VALU_DEP_1)
	v_lshrrev_b32_e32 v18, 28, v20
	v_add_nc_u32_e32 v18, v43, v18
	s_delay_alu instid0(VALU_DEP_1) | instskip(NEXT) | instid1(VALU_DEP_1)
	v_ashrrev_i32_e32 v18, 4, v18
	v_lshrrev_b32_e32 v44, 27, v18
	s_delay_alu instid0(VALU_DEP_1) | instskip(NEXT) | instid1(VALU_DEP_1)
	v_add_nc_u32_e32 v44, v18, v44
	v_and_b32_e32 v44, 0xffffffe0, v44
	s_delay_alu instid0(VALU_DEP_1) | instskip(NEXT) | instid1(VALU_DEP_1)
	v_sub_nc_u32_e32 v44, v18, v44
	v_cmpx_eq_u32_e64 v24, v44
	s_cbranch_execz .LBB96_11
; %bb.10:
	v_lshrrev_b32_e32 v20, 23, v20
	v_lshlrev_b32_e32 v18, 4, v18
	s_delay_alu instid0(VALU_DEP_2) | instskip(NEXT) | instid1(VALU_DEP_2)
	v_add_nc_u32_e32 v20, v43, v20
	v_sub_nc_u32_e32 v18, v43, v18
	s_delay_alu instid0(VALU_DEP_2) | instskip(NEXT) | instid1(VALU_DEP_1)
	v_ashrrev_i32_e32 v20, 9, v20
	v_lshl_add_u32 v18, v20, 4, v18
	s_delay_alu instid0(VALU_DEP_1) | instskip(NEXT) | instid1(VALU_DEP_1)
	v_cmp_ne_u32_e64 s0, 15, v18
	v_cndmask_b32_e64 v3, 0xff800000, v3, s0
	v_cmp_ne_u32_e64 s0, 14, v18
	s_delay_alu instid0(VALU_DEP_1) | instskip(SKIP_1) | instid1(VALU_DEP_1)
	v_cndmask_b32_e64 v2, 0xff800000, v2, s0
	v_cmp_ne_u32_e64 s0, 13, v18
	v_cndmask_b32_e64 v1, 0xff800000, v1, s0
	v_cmp_ne_u32_e64 s0, 12, v18
	s_delay_alu instid0(VALU_DEP_1) | instskip(SKIP_1) | instid1(VALU_DEP_1)
	v_cndmask_b32_e64 v0, 0xff800000, v0, s0
	;; [unrolled: 5-line block ×7, first 2 shown]
	v_cmp_ne_u32_e64 s0, 1, v18
	v_cndmask_b32_e64 v13, 0xff800000, v13, s0
	v_cmp_ne_u32_e64 s0, 0, v18
	s_delay_alu instid0(VALU_DEP_1)
	v_cndmask_b32_e64 v12, 0xff800000, v12, s0
.LBB96_11:
	s_or_b32 exec_lo, exec_lo, s1
	s_cmp_eq_u32 s4, 1
	s_cbranch_scc1 .LBB96_18
; %bb.12:
	v_add_nc_u32_e32 v20, s16, v16
	v_add_nc_u32_e32 v16, 1, v21
	;; [unrolled: 1-line block ×3, first 2 shown]
	s_add_i32 s14, s4, -1
	s_mov_b32 s15, 0x76543210
	v_add3_u32 v42, v20, v42, s18
	v_add_nc_u32_e32 v20, 1, v17
	s_branch .LBB96_14
.LBB96_13:                              ;   in Loop: Header=BB96_14 Depth=1
	s_or_b32 exec_lo, exec_lo, s1
	v_add_nc_u32_e32 v42, s16, v42
	v_add_nc_u32_e32 v16, 1, v16
	;; [unrolled: 1-line block ×4, first 2 shown]
	s_add_i32 s14, s14, -1
	s_delay_alu instid0(SALU_CYCLE_1)
	s_cmp_eq_u32 s14, 0
	s_cbranch_scc1 .LBB96_18
.LBB96_14:                              ; =>This Inner Loop Header: Depth=1
	v_cmp_gt_f32_e64 s0, v13, v12
	s_delay_alu instid0(VALU_DEP_1) | instskip(SKIP_1) | instid1(VALU_DEP_2)
	v_cndmask_b32_e64 v19, v12, v13, s0
	v_cndmask_b32_e64 v17, v26, v27, s0
	v_cmp_gt_f32_e64 s0, v14, v19
	s_delay_alu instid0(VALU_DEP_1) | instskip(NEXT) | instid1(VALU_DEP_3)
	v_cndmask_b32_e64 v19, v19, v14, s0
	v_cndmask_b32_e64 v17, v17, v28, s0
	s_delay_alu instid0(VALU_DEP_2) | instskip(NEXT) | instid1(VALU_DEP_1)
	v_cmp_gt_f32_e64 s0, v15, v19
	v_cndmask_b32_e64 v19, v19, v15, s0
	s_delay_alu instid0(VALU_DEP_3) | instskip(NEXT) | instid1(VALU_DEP_2)
	v_cndmask_b32_e64 v17, v17, v29, s0
	v_cmp_gt_f32_e64 s0, v8, v19
	s_delay_alu instid0(VALU_DEP_1) | instskip(NEXT) | instid1(VALU_DEP_3)
	v_cndmask_b32_e64 v19, v19, v8, s0
	v_cndmask_b32_e64 v17, v17, v30, s0
	s_delay_alu instid0(VALU_DEP_2) | instskip(NEXT) | instid1(VALU_DEP_1)
	v_cmp_gt_f32_e64 s0, v9, v19
	v_cndmask_b32_e64 v19, v19, v9, s0
	s_delay_alu instid0(VALU_DEP_3) | instskip(NEXT) | instid1(VALU_DEP_2)
	;; [unrolled: 9-line block ×6, first 2 shown]
	v_cndmask_b32_e64 v17, v17, v39, s0
	v_cmp_gt_f32_e64 s0, v2, v19
	s_delay_alu instid0(VALU_DEP_1) | instskip(NEXT) | instid1(VALU_DEP_3)
	v_cndmask_b32_e64 v19, v19, v2, s0
	v_cndmask_b32_e64 v17, v17, v40, s0
	s_delay_alu instid0(VALU_DEP_2) | instskip(NEXT) | instid1(VALU_DEP_1)
	v_cmp_gt_f32_e64 s0, v3, v19
	v_cndmask_b32_e64 v17, v17, v41, s0
	v_cndmask_b32_e64 v19, v19, v3, s0
	s_delay_alu instid0(VALU_DEP_2) | instskip(NEXT) | instid1(VALU_DEP_2)
	v_mov_b32_dpp v21, v17 quad_perm:[1,0,3,2] row_mask:0xf bank_mask:0xf
	v_mov_b32_dpp v43, v19 quad_perm:[1,0,3,2] row_mask:0xf bank_mask:0xf
	s_delay_alu instid0(VALU_DEP_2) | instskip(NEXT) | instid1(VALU_DEP_2)
	v_cmp_lt_i32_e64 s0, v21, v17
	v_cmp_eq_f32_e64 s1, v19, v43
	v_cmp_lt_f32_e64 s2, v19, v43
	s_delay_alu instid0(VALU_DEP_2)
	s_and_b32 s0, s1, s0
	s_delay_alu instid0(VALU_DEP_1) | instid1(SALU_CYCLE_1)
	s_or_b32 s0, s2, s0
	s_delay_alu instid0(SALU_CYCLE_1) | instskip(SKIP_1) | instid1(VALU_DEP_2)
	v_cndmask_b32_e64 v19, v19, v43, s0
	v_cndmask_b32_e64 v17, v17, v21, s0
	v_mov_b32_dpp v21, v19 quad_perm:[2,3,0,1] row_mask:0xf bank_mask:0xf
	s_delay_alu instid0(VALU_DEP_2) | instskip(NEXT) | instid1(VALU_DEP_2)
	v_mov_b32_dpp v43, v17 quad_perm:[2,3,0,1] row_mask:0xf bank_mask:0xf
	v_cmp_eq_f32_e64 s0, v19, v21
	s_delay_alu instid0(VALU_DEP_2) | instskip(SKIP_1) | instid1(VALU_DEP_2)
	v_cmp_lt_i32_e64 s1, v43, v17
	v_cmp_lt_f32_e64 s2, v19, v21
	s_and_b32 s0, s0, s1
	s_delay_alu instid0(VALU_DEP_1) | instid1(SALU_CYCLE_1)
	s_or_b32 s0, s2, s0
	s_delay_alu instid0(SALU_CYCLE_1) | instskip(SKIP_1) | instid1(VALU_DEP_2)
	v_cndmask_b32_e64 v19, v19, v21, s0
	v_cndmask_b32_e64 v17, v17, v43, s0
	v_mov_b32_dpp v21, v19 row_xmask:7 row_mask:0xf bank_mask:0xf
	s_delay_alu instid0(VALU_DEP_2) | instskip(NEXT) | instid1(VALU_DEP_2)
	v_mov_b32_dpp v43, v17 row_xmask:7 row_mask:0xf bank_mask:0xf
	v_cmp_eq_f32_e64 s0, v19, v21
	s_delay_alu instid0(VALU_DEP_2) | instskip(SKIP_1) | instid1(VALU_DEP_2)
	v_cmp_lt_i32_e64 s1, v43, v17
	v_cmp_lt_f32_e64 s2, v19, v21
	s_and_b32 s0, s0, s1
	s_delay_alu instid0(VALU_DEP_1) | instid1(SALU_CYCLE_1)
	s_or_b32 s0, s2, s0
	s_delay_alu instid0(SALU_CYCLE_1) | instskip(SKIP_1) | instid1(VALU_DEP_2)
	v_cndmask_b32_e64 v19, v19, v21, s0
	v_cndmask_b32_e64 v21, v17, v43, s0
	v_mov_b32_dpp v17, v19 row_xmask:15 row_mask:0xf bank_mask:0xf
	s_delay_alu instid0(VALU_DEP_2) | instskip(NEXT) | instid1(VALU_DEP_2)
	v_mov_b32_dpp v43, v21 row_xmask:15 row_mask:0xf bank_mask:0xf
	v_cmp_eq_f32_e64 s0, v19, v17
	s_delay_alu instid0(VALU_DEP_2) | instskip(SKIP_1) | instid1(VALU_DEP_2)
	v_cmp_lt_i32_e64 s1, v43, v21
	v_cmp_lt_f32_e64 s2, v19, v17
	s_and_b32 s0, s0, s1
	s_delay_alu instid0(VALU_DEP_1) | instid1(SALU_CYCLE_1)
	s_or_b32 s0, s2, s0
	s_delay_alu instid0(SALU_CYCLE_1) | instskip(SKIP_1) | instid1(VALU_DEP_2)
	v_cndmask_b32_e64 v17, v19, v17, s0
	v_cndmask_b32_e64 v21, v21, v43, s0
	v_permlanex16_b32 v19, v17, s15, 0xfedcba98 op_sel:[1,1]
	s_delay_alu instid0(VALU_DEP_2) | instskip(NEXT) | instid1(VALU_DEP_2)
	v_permlanex16_b32 v43, v21, s15, 0xfedcba98 op_sel:[1,1]
	v_cmp_eq_f32_e64 s0, v17, v19
	s_delay_alu instid0(VALU_DEP_2) | instskip(SKIP_1) | instid1(VALU_DEP_2)
	v_cmp_lt_i32_e64 s1, v43, v21
	v_cmp_lt_f32_e64 s2, v17, v19
	s_and_b32 s0, s0, s1
	s_delay_alu instid0(VALU_DEP_1) | instid1(SALU_CYCLE_1)
	s_or_b32 s0, s2, s0
	s_delay_alu instid0(SALU_CYCLE_1)
	v_cndmask_b32_e64 v43, v21, v43, s0
	s_and_saveexec_b32 s2, vcc_lo
	s_cbranch_execz .LBB96_16
; %bb.15:                               ;   in Loop: Header=BB96_14 Depth=1
	v_cndmask_b32_e64 v17, v17, v19, s0
	s_delay_alu instid0(VALU_DEP_2) | instskip(SKIP_4) | instid1(VALU_DEP_4)
	v_cmp_le_i32_e64 s0, s5, v43
	v_cmp_gt_i32_e64 s1, s6, v43
	v_ashrrev_i32_e32 v21, 31, v20
	v_subrev_nc_u32_e32 v51, s5, v43
	v_sub_f32_e32 v50, v17, v25
	s_and_b32 s0, s0, s1
	s_delay_alu instid0(SALU_CYCLE_1) | instskip(NEXT) | instid1(VALU_DEP_1)
	s_and_b32 s0, s17, s0
	v_mul_f32_e32 v17, 0x3fb8aa3b, v50
	s_delay_alu instid0(VALU_DEP_1) | instskip(SKIP_1) | instid1(VALU_DEP_2)
	v_fma_f32 v19, 0x3fb8aa3b, v50, -v17
	v_rndne_f32_e32 v44, v17
	v_fmac_f32_e32 v19, 0x32a5705f, v50
	s_delay_alu instid0(VALU_DEP_2) | instskip(SKIP_2) | instid1(VALU_DEP_3)
	v_sub_f32_e32 v17, v17, v44
	v_cvt_i32_f32_e32 v49, v44
	v_lshlrev_b64 v[44:45], 2, v[20:21]
	v_add_f32_e32 v17, v17, v19
	v_ashrrev_i32_e32 v19, 31, v18
	s_delay_alu instid0(VALU_DEP_2) | instskip(SKIP_1) | instid1(VALU_DEP_2)
	v_exp_f32_e32 v48, v17
	v_ashrrev_i32_e32 v17, 31, v16
	v_lshlrev_b64 v[46:47], 2, v[18:19]
	s_waitcnt_depctr 0xfff
	v_ldexp_f32 v19, v48, v49
	v_lshlrev_b64 v[48:49], 2, v[16:17]
	v_cndmask_b32_e64 v17, 0x200, v51, s0
	v_cmp_ngt_f32_e64 s0, 0xc2ce8ed0, v50
	s_delay_alu instid0(VALU_DEP_1) | instskip(SKIP_1) | instid1(VALU_DEP_1)
	v_cndmask_b32_e64 v19, 0, v19, s0
	v_add_co_u32 v44, s0, s12, v44
	v_add_co_ci_u32_e64 v45, s0, s13, v45, s0
	v_cmp_nlt_f32_e64 s0, 0x42b17218, v50
	s_delay_alu instid0(VALU_DEP_1) | instskip(SKIP_2) | instid1(VALU_DEP_1)
	v_cndmask_b32_e64 v19, 0x7f800000, v19, s0
	s_waitcnt lgkmcnt(0)
	v_add_co_u32 v46, s0, s8, v46
	v_add_co_ci_u32_e64 v47, s0, s9, v47, s0
	s_delay_alu instid0(VALU_DEP_3) | instskip(SKIP_1) | instid1(VALU_DEP_1)
	v_add_f32_e32 v22, v22, v19
	v_add_co_u32 v48, s0, s10, v48
	v_add_co_ci_u32_e64 v49, s0, s11, v49, s0
	global_store_b32 v[44:45], v19, off
	global_store_b32 v[46:47], v17, off
	;; [unrolled: 1-line block ×3, first 2 shown]
.LBB96_16:                              ;   in Loop: Header=BB96_14 Depth=1
	s_or_b32 exec_lo, exec_lo, s2
	s_delay_alu instid0(VALU_DEP_1) | instskip(SKIP_1) | instid1(VALU_DEP_1)
	v_ashrrev_i32_e32 v19, 31, v43
	s_mov_b32 s1, exec_lo
	v_lshrrev_b32_e32 v17, 28, v19
	s_delay_alu instid0(VALU_DEP_1) | instskip(NEXT) | instid1(VALU_DEP_1)
	v_add_nc_u32_e32 v17, v43, v17
	v_ashrrev_i32_e32 v17, 4, v17
	s_delay_alu instid0(VALU_DEP_1) | instskip(NEXT) | instid1(VALU_DEP_1)
	v_lshrrev_b32_e32 v21, 27, v17
	v_add_nc_u32_e32 v21, v17, v21
	s_delay_alu instid0(VALU_DEP_1) | instskip(NEXT) | instid1(VALU_DEP_1)
	v_and_b32_e32 v21, 0xffffffe0, v21
	v_sub_nc_u32_e32 v21, v17, v21
	s_delay_alu instid0(VALU_DEP_1)
	v_cmpx_eq_u32_e64 v24, v21
	s_cbranch_execz .LBB96_13
; %bb.17:                               ;   in Loop: Header=BB96_14 Depth=1
	v_lshrrev_b32_e32 v19, 23, v19
	v_lshlrev_b32_e32 v17, 4, v17
	s_delay_alu instid0(VALU_DEP_2) | instskip(NEXT) | instid1(VALU_DEP_2)
	v_add_nc_u32_e32 v19, v43, v19
	v_sub_nc_u32_e32 v17, v43, v17
	s_delay_alu instid0(VALU_DEP_2) | instskip(NEXT) | instid1(VALU_DEP_1)
	v_ashrrev_i32_e32 v19, 9, v19
	v_lshl_add_u32 v17, v19, 4, v17
	s_delay_alu instid0(VALU_DEP_1) | instskip(NEXT) | instid1(VALU_DEP_1)
	v_cmp_ne_u32_e64 s0, 15, v17
	v_cndmask_b32_e64 v3, 0xff800000, v3, s0
	v_cmp_ne_u32_e64 s0, 14, v17
	s_delay_alu instid0(VALU_DEP_1) | instskip(SKIP_1) | instid1(VALU_DEP_1)
	v_cndmask_b32_e64 v2, 0xff800000, v2, s0
	v_cmp_ne_u32_e64 s0, 13, v17
	v_cndmask_b32_e64 v1, 0xff800000, v1, s0
	v_cmp_ne_u32_e64 s0, 12, v17
	s_delay_alu instid0(VALU_DEP_1) | instskip(SKIP_1) | instid1(VALU_DEP_1)
	v_cndmask_b32_e64 v0, 0xff800000, v0, s0
	;; [unrolled: 5-line block ×7, first 2 shown]
	v_cmp_ne_u32_e64 s0, 1, v17
	v_cndmask_b32_e64 v13, 0xff800000, v13, s0
	v_cmp_ne_u32_e64 s0, 0, v17
	s_delay_alu instid0(VALU_DEP_1)
	v_cndmask_b32_e64 v12, 0xff800000, v12, s0
	s_branch .LBB96_13
.LBB96_18:
	s_delay_alu instid0(VALU_DEP_1) | instskip(SKIP_3) | instid1(VALU_DEP_4)
	v_sub_f32_e32 v15, v15, v25
	v_sub_f32_e32 v12, v12, v25
	v_sub_f32_e32 v10, v10, v25
	v_sub_f32_e32 v3, v3, v25
	v_dual_sub_f32 v2, v2, v25 :: v_dual_mul_f32 v27, 0x3fb8aa3b, v15
	s_delay_alu instid0(VALU_DEP_4) | instskip(SKIP_2) | instid1(VALU_DEP_4)
	v_dual_sub_f32 v13, v13, v25 :: v_dual_mul_f32 v16, 0x3fb8aa3b, v12
	v_cmp_ngt_f32_e32 vcc_lo, 0xc2ce8ed0, v12
	v_sub_f32_e32 v9, v9, v25
	v_rndne_f32_e32 v30, v27
	s_delay_alu instid0(VALU_DEP_4)
	v_mul_f32_e32 v17, 0x3fb8aa3b, v13
	v_fma_f32 v18, 0x3fb8aa3b, v12, -v16
	v_rndne_f32_e32 v19, v16
	v_sub_f32_e32 v11, v11, v25
	v_sub_f32_e32 v5, v5, v25
	v_rndne_f32_e32 v21, v17
	v_fmac_f32_e32 v18, 0x32a5705f, v12
	v_sub_f32_e32 v16, v16, v19
	v_fma_f32 v29, 0x3fb8aa3b, v15, -v27
	v_sub_f32_e32 v8, v8, v25
	v_fma_f32 v20, 0x3fb8aa3b, v13, -v17
	v_sub_f32_e32 v17, v17, v21
	v_cvt_i32_f32_e32 v19, v19
	v_dual_fmac_f32 v29, 0x32a5705f, v15 :: v_dual_add_f32 v16, v16, v18
	s_delay_alu instid0(VALU_DEP_4)
	v_fmac_f32_e32 v20, 0x32a5705f, v13
	v_cvt_i32_f32_e32 v21, v21
	v_sub_f32_e32 v4, v4, v25
	v_sub_f32_e32 v7, v7, v25
	v_exp_f32_e32 v16, v16
	v_sub_f32_e32 v1, v1, v25
	s_waitcnt_depctr 0xfff
	v_ldexp_f32 v16, v16, v19
	v_dual_sub_f32 v19, v27, v30 :: v_dual_sub_f32 v14, v14, v25
	v_add_f32_e32 v17, v17, v20
	s_delay_alu instid0(VALU_DEP_3) | instskip(SKIP_1) | instid1(VALU_DEP_4)
	v_cndmask_b32_e32 v16, 0, v16, vcc_lo
	v_cmp_ngt_f32_e32 vcc_lo, 0xc2ce8ed0, v13
	v_mul_f32_e32 v26, 0x3fb8aa3b, v14
	s_delay_alu instid0(VALU_DEP_4) | instskip(SKIP_1) | instid1(VALU_DEP_2)
	v_exp_f32_e32 v17, v17
	v_add_f32_e32 v19, v19, v29
	v_fma_f32 v18, 0x3fb8aa3b, v14, -v26
	v_rndne_f32_e32 v20, v26
	s_delay_alu instid0(VALU_DEP_3) | instskip(SKIP_2) | instid1(VALU_DEP_1)
	v_exp_f32_e32 v19, v19
	s_waitcnt_depctr 0xfff
	v_ldexp_f32 v17, v17, v21
	v_dual_mul_f32 v28, 0x3fb8aa3b, v8 :: v_dual_cndmask_b32 v17, 0, v17
	v_cmp_nlt_f32_e32 vcc_lo, 0x42b17218, v12
	v_cndmask_b32_e32 v12, 0x7f800000, v16, vcc_lo
	v_cmp_nlt_f32_e32 vcc_lo, 0x42b17218, v13
	v_sub_f32_e32 v26, v26, v20
	v_cvt_i32_f32_e32 v20, v20
	v_fma_f32 v16, 0x3fb8aa3b, v8, -v28
	v_cndmask_b32_e32 v13, 0x7f800000, v17, vcc_lo
	v_cmp_ngt_f32_e32 vcc_lo, 0xc2ce8ed0, v14
	v_fmac_f32_e32 v18, 0x32a5705f, v14
	s_delay_alu instid0(VALU_DEP_3) | instskip(NEXT) | instid1(VALU_DEP_2)
	v_add_f32_e32 v12, v12, v13
	v_add_f32_e32 v18, v26, v18
	s_delay_alu instid0(VALU_DEP_1) | instskip(SKIP_3) | instid1(VALU_DEP_2)
	v_exp_f32_e32 v18, v18
	s_waitcnt_depctr 0xfff
	v_ldexp_f32 v17, v18, v20
	v_rndne_f32_e32 v18, v28
	v_cndmask_b32_e32 v13, 0, v17, vcc_lo
	v_cvt_i32_f32_e32 v17, v30
	v_cmp_nlt_f32_e32 vcc_lo, 0x42b17218, v14
	s_delay_alu instid0(VALU_DEP_4) | instskip(NEXT) | instid1(VALU_DEP_3)
	v_sub_f32_e32 v20, v28, v18
	v_ldexp_f32 v14, v19, v17
	v_cndmask_b32_e32 v13, 0x7f800000, v13, vcc_lo
	v_cmp_ngt_f32_e32 vcc_lo, 0xc2ce8ed0, v15
	v_mul_f32_e32 v17, 0x3fb8aa3b, v9
	s_delay_alu instid0(VALU_DEP_3) | instskip(SKIP_1) | instid1(VALU_DEP_3)
	v_dual_add_f32 v12, v12, v13 :: v_dual_cndmask_b32 v13, 0, v14
	v_cmp_nlt_f32_e32 vcc_lo, 0x42b17218, v15
	v_rndne_f32_e32 v19, v17
	v_cvt_i32_f32_e32 v15, v18
	v_mul_f32_e32 v18, 0x3fb8aa3b, v10
	v_cndmask_b32_e32 v13, 0x7f800000, v13, vcc_lo
	v_cmp_ngt_f32_e32 vcc_lo, 0xc2ce8ed0, v8
	v_fmac_f32_e32 v16, 0x32a5705f, v8
	s_delay_alu instid0(VALU_DEP_3) | instskip(NEXT) | instid1(VALU_DEP_2)
	v_add_f32_e32 v12, v12, v13
	v_add_f32_e32 v16, v20, v16
	s_delay_alu instid0(VALU_DEP_1) | instskip(SKIP_1) | instid1(VALU_DEP_1)
	v_exp_f32_e32 v14, v16
	v_fma_f32 v16, 0x3fb8aa3b, v9, -v17
	v_dual_sub_f32 v17, v17, v19 :: v_dual_fmac_f32 v16, 0x32a5705f, v9
	s_waitcnt_depctr 0xfff
	v_ldexp_f32 v13, v14, v15
	v_add_f32_e32 v14, v17, v16
	v_fma_f32 v15, 0x3fb8aa3b, v10, -v18
	v_rndne_f32_e32 v16, v18
	s_delay_alu instid0(VALU_DEP_4) | instskip(NEXT) | instid1(VALU_DEP_4)
	v_cndmask_b32_e32 v13, 0, v13, vcc_lo
	v_exp_f32_e32 v14, v14
	s_delay_alu instid0(VALU_DEP_3) | instskip(NEXT) | instid1(VALU_DEP_3)
	v_fmac_f32_e32 v15, 0x32a5705f, v10
	v_sub_f32_e32 v17, v18, v16
	v_cmp_nlt_f32_e32 vcc_lo, 0x42b17218, v8
	v_cvt_i32_f32_e32 v16, v16
	s_delay_alu instid0(VALU_DEP_3) | instskip(SKIP_3) | instid1(VALU_DEP_4)
	v_dual_add_f32 v15, v17, v15 :: v_dual_cndmask_b32 v8, 0x7f800000, v13
	v_cvt_i32_f32_e32 v13, v19
	v_mul_f32_e32 v17, 0x3fb8aa3b, v11
	v_cmp_ngt_f32_e32 vcc_lo, 0xc2ce8ed0, v9
	v_add_f32_e32 v8, v12, v8
	s_delay_alu instid0(VALU_DEP_4) | instskip(SKIP_3) | instid1(VALU_DEP_3)
	v_ldexp_f32 v12, v14, v13
	v_exp_f32_e32 v13, v15
	v_fma_f32 v14, 0x3fb8aa3b, v11, -v17
	v_rndne_f32_e32 v15, v17
	v_cndmask_b32_e32 v12, 0, v12, vcc_lo
	v_cmp_nlt_f32_e32 vcc_lo, 0x42b17218, v9
	s_delay_alu instid0(VALU_DEP_3) | instskip(NEXT) | instid1(VALU_DEP_3)
	v_sub_f32_e32 v17, v17, v15
	v_cndmask_b32_e32 v9, 0x7f800000, v12, vcc_lo
	s_delay_alu instid0(TRANS32_DEP_1) | instskip(SKIP_3) | instid1(VALU_DEP_4)
	v_ldexp_f32 v12, v13, v16
	v_cmp_ngt_f32_e32 vcc_lo, 0xc2ce8ed0, v10
	v_fmac_f32_e32 v14, 0x32a5705f, v11
	v_mul_f32_e32 v16, 0x3fb8aa3b, v5
	v_dual_add_f32 v8, v8, v9 :: v_dual_cndmask_b32 v9, 0, v12
	s_delay_alu instid0(VALU_DEP_3) | instskip(SKIP_3) | instid1(VALU_DEP_4)
	v_add_f32_e32 v13, v17, v14
	v_cmp_nlt_f32_e32 vcc_lo, 0x42b17218, v10
	v_cvt_i32_f32_e32 v10, v15
	v_mul_f32_e32 v17, 0x3fb8aa3b, v7
	v_exp_f32_e32 v12, v13
	v_mul_f32_e32 v13, 0x3fb8aa3b, v4
	s_delay_alu instid0(VALU_DEP_1) | instskip(SKIP_3) | instid1(VALU_DEP_4)
	v_fma_f32 v14, 0x3fb8aa3b, v4, -v13
	v_rndne_f32_e32 v15, v13
	v_cndmask_b32_e32 v9, 0x7f800000, v9, vcc_lo
	v_cmp_ngt_f32_e32 vcc_lo, 0xc2ce8ed0, v11
	v_fmac_f32_e32 v14, 0x32a5705f, v4
	s_delay_alu instid0(VALU_DEP_3) | instskip(NEXT) | instid1(TRANS32_DEP_1)
	v_add_f32_e32 v8, v8, v9
	v_ldexp_f32 v9, v12, v10
	v_sub_f32_e32 v10, v13, v15
	v_fma_f32 v12, 0x3fb8aa3b, v5, -v16
	v_rndne_f32_e32 v13, v16
	v_cvt_i32_f32_e32 v15, v15
	v_cndmask_b32_e32 v9, 0, v9, vcc_lo
	v_cmp_nlt_f32_e32 vcc_lo, 0x42b17218, v11
	v_add_f32_e32 v10, v10, v14
	v_fmac_f32_e32 v12, 0x32a5705f, v5
	v_sub_f32_e32 v14, v16, v13
	v_cndmask_b32_e32 v9, 0x7f800000, v9, vcc_lo
	s_delay_alu instid0(VALU_DEP_4) | instskip(SKIP_1) | instid1(VALU_DEP_2)
	v_exp_f32_e32 v10, v10
	v_cmp_ngt_f32_e32 vcc_lo, 0xc2ce8ed0, v4
	v_dual_add_f32 v11, v14, v12 :: v_dual_add_f32 v8, v8, v9
	s_delay_alu instid0(VALU_DEP_1)
	v_exp_f32_e32 v11, v11
	s_waitcnt_depctr 0xfff
	v_ldexp_f32 v9, v10, v15
	v_cvt_i32_f32_e32 v10, v13
	v_fma_f32 v13, 0x3fb8aa3b, v7, -v17
	v_sub_f32_e32 v6, v6, v25
	v_rndne_f32_e32 v15, v17
	v_cndmask_b32_e32 v9, 0, v9, vcc_lo
	v_cmp_nlt_f32_e32 vcc_lo, 0x42b17218, v4
	v_fmac_f32_e32 v13, 0x32a5705f, v7
	v_mul_f32_e32 v16, 0x3fb8aa3b, v6
	v_ldexp_f32 v10, v11, v10
	v_cndmask_b32_e32 v4, 0x7f800000, v9, vcc_lo
	v_cmp_ngt_f32_e32 vcc_lo, 0xc2ce8ed0, v5
	s_delay_alu instid0(VALU_DEP_4) | instskip(SKIP_2) | instid1(VALU_DEP_3)
	v_fma_f32 v12, 0x3fb8aa3b, v6, -v16
	v_rndne_f32_e32 v14, v16
	v_cndmask_b32_e32 v10, 0, v10, vcc_lo
	v_fmac_f32_e32 v12, 0x32a5705f, v6
	s_delay_alu instid0(VALU_DEP_3) | instskip(SKIP_2) | instid1(VALU_DEP_3)
	v_sub_f32_e32 v16, v16, v14
	v_cmp_nlt_f32_e32 vcc_lo, 0x42b17218, v5
	v_cvt_i32_f32_e32 v9, v14
	v_dual_add_f32 v12, v16, v12 :: v_dual_cndmask_b32 v5, 0x7f800000, v10
	v_mul_f32_e32 v10, 0x3fb8aa3b, v2
	v_cmp_ngt_f32_e32 vcc_lo, 0xc2ce8ed0, v6
	s_delay_alu instid0(VALU_DEP_3) | instskip(SKIP_1) | instid1(VALU_DEP_1)
	v_exp_f32_e32 v11, v12
	v_sub_f32_e32 v12, v17, v15
	v_dual_add_f32 v12, v12, v13 :: v_dual_mul_f32 v13, 0x3fb8aa3b, v3
	v_add_f32_e32 v4, v8, v4
	s_waitcnt_depctr 0xfff
	v_ldexp_f32 v8, v11, v9
	v_fma_f32 v11, 0x3fb8aa3b, v2, -v10
	v_rndne_f32_e32 v14, v13
	v_sub_f32_e32 v0, v0, v25
	v_add_f32_e32 v4, v4, v5
	v_cvt_i32_f32_e32 v5, v15
	v_fmac_f32_e32 v11, 0x32a5705f, v2
	v_exp_f32_e32 v9, v12
	v_cndmask_b32_e32 v8, 0, v8, vcc_lo
	v_cmp_nlt_f32_e32 vcc_lo, 0x42b17218, v6
	v_rndne_f32_e32 v12, v10
	s_delay_alu instid0(VALU_DEP_3) | instskip(SKIP_2) | instid1(TRANS32_DEP_1)
	v_cndmask_b32_e32 v6, 0x7f800000, v8, vcc_lo
	v_mul_f32_e32 v8, 0x3fb8aa3b, v0
	v_cmp_ngt_f32_e32 vcc_lo, 0xc2ce8ed0, v7
	v_ldexp_f32 v5, v9, v5
	s_delay_alu instid0(VALU_DEP_4) | instskip(NEXT) | instid1(VALU_DEP_4)
	v_add_f32_e32 v4, v4, v6
	v_fma_f32 v6, 0x3fb8aa3b, v0, -v8
	v_rndne_f32_e32 v9, v8
	s_delay_alu instid0(VALU_DEP_4)
	v_cndmask_b32_e32 v5, 0, v5, vcc_lo
	v_cmp_nlt_f32_e32 vcc_lo, 0x42b17218, v7
	v_mul_f32_e32 v7, 0x3fb8aa3b, v1
	v_fmac_f32_e32 v6, 0x32a5705f, v0
	v_sub_f32_e32 v8, v8, v9
	v_cvt_i32_f32_e32 v9, v9
	s_delay_alu instid0(VALU_DEP_2) | instskip(SKIP_1) | instid1(VALU_DEP_2)
	v_dual_cndmask_b32 v5, 0x7f800000, v5 :: v_dual_add_f32 v6, v8, v6
	v_rndne_f32_e32 v8, v7
	v_add_f32_e32 v4, v4, v5
	v_fma_f32 v5, 0x3fb8aa3b, v1, -v7
	s_delay_alu instid0(VALU_DEP_4) | instskip(NEXT) | instid1(VALU_DEP_3)
	v_exp_f32_e32 v6, v6
	v_sub_f32_e32 v7, v7, v8
	v_cvt_i32_f32_e32 v8, v8
	s_delay_alu instid0(VALU_DEP_3) | instskip(NEXT) | instid1(VALU_DEP_1)
	v_fmac_f32_e32 v5, 0x32a5705f, v1
	v_add_f32_e32 v5, v7, v5
	v_sub_f32_e32 v7, v10, v12
	s_waitcnt_depctr 0xfff
	v_ldexp_f32 v6, v6, v9
	v_sub_f32_e32 v9, v13, v14
	v_cmp_ngt_f32_e32 vcc_lo, 0xc2ce8ed0, v0
	v_exp_f32_e32 v5, v5
	s_delay_alu instid0(VALU_DEP_3) | instskip(SKIP_2) | instid1(VALU_DEP_3)
	v_dual_add_f32 v7, v7, v11 :: v_dual_cndmask_b32 v6, 0, v6
	v_fma_f32 v10, 0x3fb8aa3b, v3, -v13
	v_cmp_nlt_f32_e32 vcc_lo, 0x42b17218, v0
	v_exp_f32_e32 v7, v7
	s_delay_alu instid0(VALU_DEP_2)
	v_fmac_f32_e32 v10, 0x32a5705f, v3
	s_waitcnt_depctr 0xfff
	v_ldexp_f32 v5, v5, v8
	v_cndmask_b32_e32 v0, 0x7f800000, v6, vcc_lo
	v_cmp_ngt_f32_e32 vcc_lo, 0xc2ce8ed0, v1
	v_cvt_i32_f32_e32 v6, v12
	s_delay_alu instid0(VALU_DEP_3) | instskip(SKIP_2) | instid1(VALU_DEP_3)
	v_dual_add_f32 v9, v9, v10 :: v_dual_add_f32 v0, v4, v0
	v_cndmask_b32_e32 v5, 0, v5, vcc_lo
	v_cmp_nlt_f32_e32 vcc_lo, 0x42b17218, v1
	v_exp_f32_e32 v8, v9
	v_ldexp_f32 v4, v7, v6
	v_cvt_i32_f32_e32 v6, v14
	v_cndmask_b32_e32 v1, 0x7f800000, v5, vcc_lo
	v_cmp_ngt_f32_e32 vcc_lo, 0xc2ce8ed0, v2
	s_delay_alu instid0(VALU_DEP_2) | instskip(SKIP_2) | instid1(TRANS32_DEP_1)
	v_add_f32_e32 v0, v0, v1
	v_cndmask_b32_e32 v4, 0, v4, vcc_lo
	v_cmp_nlt_f32_e32 vcc_lo, 0x42b17218, v2
	v_ldexp_f32 v5, v8, v6
	s_delay_alu instid0(VALU_DEP_3) | instskip(SKIP_1) | instid1(VALU_DEP_2)
	v_cndmask_b32_e32 v1, 0x7f800000, v4, vcc_lo
	v_cmp_ngt_f32_e32 vcc_lo, 0xc2ce8ed0, v3
	v_add_f32_e32 v0, v0, v1
	s_delay_alu instid0(VALU_DEP_4) | instskip(SKIP_1) | instid1(VALU_DEP_2)
	v_cndmask_b32_e32 v2, 0, v5, vcc_lo
	v_cmp_nlt_f32_e32 vcc_lo, 0x42b17218, v3
	v_cndmask_b32_e32 v1, 0x7f800000, v2, vcc_lo
	v_cmp_eq_u32_e32 vcc_lo, 0, v24
	s_delay_alu instid0(VALU_DEP_2) | instskip(NEXT) | instid1(VALU_DEP_1)
	v_add_f32_e32 v0, v0, v1
	v_mov_b32_dpp v1, v0 quad_perm:[1,0,3,2] row_mask:0xf bank_mask:0xf
	s_delay_alu instid0(VALU_DEP_1) | instskip(NEXT) | instid1(VALU_DEP_1)
	v_add_f32_e32 v0, v0, v1
	v_mov_b32_dpp v1, v0 quad_perm:[2,3,0,1] row_mask:0xf bank_mask:0xf
	s_delay_alu instid0(VALU_DEP_1) | instskip(NEXT) | instid1(VALU_DEP_1)
	v_add_f32_e32 v0, v0, v1
	v_mov_b32_dpp v1, v0 row_xmask:7 row_mask:0xf bank_mask:0xf
	s_delay_alu instid0(VALU_DEP_1) | instskip(NEXT) | instid1(VALU_DEP_1)
	v_add_f32_e32 v0, v0, v1
	v_mov_b32_dpp v1, v0 row_xmask:15 row_mask:0xf bank_mask:0xf
	s_and_b32 exec_lo, exec_lo, vcc_lo
	s_cbranch_execz .LBB96_23
; %bb.19:
	s_delay_alu instid0(VALU_DEP_1)
	v_add_f32_e32 v0, v0, v1
	s_mov_b32 s0, 0x76543210
	s_delay_alu instid0(VALU_DEP_1) | instid1(SALU_CYCLE_1)
	v_permlanex16_b32 v1, v0, s0, 0xfedcba98 op_sel:[1,1]
	s_delay_alu instid0(VALU_DEP_1) | instskip(NEXT) | instid1(VALU_DEP_1)
	v_add_f32_e32 v0, v0, v1
	v_add_f32_e32 v0, v22, v0
	s_delay_alu instid0(VALU_DEP_1)
	v_cmp_neq_f32_e32 vcc_lo, 0, v0
	s_and_b32 exec_lo, exec_lo, vcc_lo
	s_cbranch_execz .LBB96_23
; %bb.20:
	s_and_not1_b32 vcc_lo, exec_lo, s3
	s_cbranch_vccnz .LBB96_23
; %bb.21:
	v_div_scale_f32 v2, null, v0, v0, 1.0
	v_div_scale_f32 v4, vcc_lo, 1.0, v0, 1.0
	s_delay_alu instid0(VALU_DEP_2) | instskip(SKIP_2) | instid1(VALU_DEP_1)
	v_rcp_f32_e32 v3, v2
	s_waitcnt_depctr 0xfff
	v_fma_f32 v1, -v2, v3, 1.0
	v_fmac_f32_e32 v3, v1, v3
	v_mul_lo_u32 v1, v23, s7
	s_delay_alu instid0(VALU_DEP_2) | instskip(NEXT) | instid1(VALU_DEP_1)
	v_mul_f32_e32 v5, v4, v3
	v_fma_f32 v6, -v2, v5, v4
	s_delay_alu instid0(VALU_DEP_1) | instskip(NEXT) | instid1(VALU_DEP_1)
	v_fmac_f32_e32 v5, v6, v3
	v_fma_f32 v4, -v2, v5, v4
	v_ashrrev_i32_e32 v2, 31, v1
	s_delay_alu instid0(VALU_DEP_2) | instskip(NEXT) | instid1(VALU_DEP_2)
	v_div_fmas_f32 v5, v4, v3, v5
	v_lshlrev_b64 v[3:4], 2, v[1:2]
	s_delay_alu instid0(VALU_DEP_2) | instskip(NEXT) | instid1(VALU_DEP_2)
	v_div_fixup_f32 v2, v5, v0, 1.0
	v_add_co_u32 v0, vcc_lo, s12, v3
	s_delay_alu instid0(VALU_DEP_3)
	v_add_co_ci_u32_e32 v1, vcc_lo, s13, v4, vcc_lo
.LBB96_22:                              ; =>This Inner Loop Header: Depth=1
	global_load_b32 v3, v[0:1], off
	s_add_i32 s4, s4, -1
	s_delay_alu instid0(SALU_CYCLE_1)
	s_cmp_lg_u32 s4, 0
	s_waitcnt vmcnt(0)
	v_mul_f32_e32 v3, v2, v3
	global_store_b32 v[0:1], v3, off
	v_add_co_u32 v0, vcc_lo, v0, 4
	v_add_co_ci_u32_e32 v1, vcc_lo, 0, v1, vcc_lo
	s_cbranch_scc1 .LBB96_22
.LBB96_23:
	s_nop 0
	s_sendmsg sendmsg(MSG_DEALLOC_VGPRS)
	s_endpgm
	.section	.rodata,"a",@progbits
	.p2align	6, 0x0
	.amdhsa_kernel _ZN4vllm3moe17topkGatingSoftmaxIfLi16ELi512ELi2ELi64ELb0ELi2ELNS0_23SharedExpertScoringFuncE1EEEvPKT_PKbPfiPiS9_iiiiii
		.amdhsa_group_segment_fixed_size 0
		.amdhsa_private_segment_fixed_size 0
		.amdhsa_kernarg_size 72
		.amdhsa_user_sgpr_count 15
		.amdhsa_user_sgpr_dispatch_ptr 0
		.amdhsa_user_sgpr_queue_ptr 0
		.amdhsa_user_sgpr_kernarg_segment_ptr 1
		.amdhsa_user_sgpr_dispatch_id 0
		.amdhsa_user_sgpr_private_segment_size 0
		.amdhsa_wavefront_size32 1
		.amdhsa_uses_dynamic_stack 0
		.amdhsa_enable_private_segment 0
		.amdhsa_system_sgpr_workgroup_id_x 1
		.amdhsa_system_sgpr_workgroup_id_y 0
		.amdhsa_system_sgpr_workgroup_id_z 0
		.amdhsa_system_sgpr_workgroup_info 0
		.amdhsa_system_vgpr_workitem_id 1
		.amdhsa_next_free_vgpr 53
		.amdhsa_next_free_sgpr 19
		.amdhsa_reserve_vcc 1
		.amdhsa_float_round_mode_32 0
		.amdhsa_float_round_mode_16_64 0
		.amdhsa_float_denorm_mode_32 3
		.amdhsa_float_denorm_mode_16_64 3
		.amdhsa_dx10_clamp 1
		.amdhsa_ieee_mode 1
		.amdhsa_fp16_overflow 0
		.amdhsa_workgroup_processor_mode 1
		.amdhsa_memory_ordered 1
		.amdhsa_forward_progress 0
		.amdhsa_shared_vgpr_count 0
		.amdhsa_exception_fp_ieee_invalid_op 0
		.amdhsa_exception_fp_denorm_src 0
		.amdhsa_exception_fp_ieee_div_zero 0
		.amdhsa_exception_fp_ieee_overflow 0
		.amdhsa_exception_fp_ieee_underflow 0
		.amdhsa_exception_fp_ieee_inexact 0
		.amdhsa_exception_int_div_zero 0
	.end_amdhsa_kernel
	.section	.text._ZN4vllm3moe17topkGatingSoftmaxIfLi16ELi512ELi2ELi64ELb0ELi2ELNS0_23SharedExpertScoringFuncE1EEEvPKT_PKbPfiPiS9_iiiiii,"axG",@progbits,_ZN4vllm3moe17topkGatingSoftmaxIfLi16ELi512ELi2ELi64ELb0ELi2ELNS0_23SharedExpertScoringFuncE1EEEvPKT_PKbPfiPiS9_iiiiii,comdat
.Lfunc_end96:
	.size	_ZN4vllm3moe17topkGatingSoftmaxIfLi16ELi512ELi2ELi64ELb0ELi2ELNS0_23SharedExpertScoringFuncE1EEEvPKT_PKbPfiPiS9_iiiiii, .Lfunc_end96-_ZN4vllm3moe17topkGatingSoftmaxIfLi16ELi512ELi2ELi64ELb0ELi2ELNS0_23SharedExpertScoringFuncE1EEEvPKT_PKbPfiPiS9_iiiiii
                                        ; -- End function
	.section	.AMDGPU.csdata,"",@progbits
; Kernel info:
; codeLenInByte = 5792
; NumSgprs: 21
; NumVgprs: 53
; ScratchSize: 0
; MemoryBound: 0
; FloatMode: 240
; IeeeMode: 1
; LDSByteSize: 0 bytes/workgroup (compile time only)
; SGPRBlocks: 2
; VGPRBlocks: 6
; NumSGPRsForWavesPerEU: 21
; NumVGPRsForWavesPerEU: 53
; Occupancy: 16
; WaveLimiterHint : 0
; COMPUTE_PGM_RSRC2:SCRATCH_EN: 0
; COMPUTE_PGM_RSRC2:USER_SGPR: 15
; COMPUTE_PGM_RSRC2:TRAP_HANDLER: 0
; COMPUTE_PGM_RSRC2:TGID_X_EN: 1
; COMPUTE_PGM_RSRC2:TGID_Y_EN: 0
; COMPUTE_PGM_RSRC2:TGID_Z_EN: 0
; COMPUTE_PGM_RSRC2:TIDIG_COMP_CNT: 1
	.section	.text._ZN4vllm3moe17topkGatingSoftmaxIfLi16ELi512ELi2ELi64ELb1ELi4ELNS0_23SharedExpertScoringFuncE1EEEvPKT_PKbPfiPiS9_iiiiii,"axG",@progbits,_ZN4vllm3moe17topkGatingSoftmaxIfLi16ELi512ELi2ELi64ELb1ELi4ELNS0_23SharedExpertScoringFuncE1EEEvPKT_PKbPfiPiS9_iiiiii,comdat
	.protected	_ZN4vllm3moe17topkGatingSoftmaxIfLi16ELi512ELi2ELi64ELb1ELi4ELNS0_23SharedExpertScoringFuncE1EEEvPKT_PKbPfiPiS9_iiiiii ; -- Begin function _ZN4vllm3moe17topkGatingSoftmaxIfLi16ELi512ELi2ELi64ELb1ELi4ELNS0_23SharedExpertScoringFuncE1EEEvPKT_PKbPfiPiS9_iiiiii
	.globl	_ZN4vllm3moe17topkGatingSoftmaxIfLi16ELi512ELi2ELi64ELb1ELi4ELNS0_23SharedExpertScoringFuncE1EEEvPKT_PKbPfiPiS9_iiiiii
	.p2align	8
	.type	_ZN4vllm3moe17topkGatingSoftmaxIfLi16ELi512ELi2ELi64ELb1ELi4ELNS0_23SharedExpertScoringFuncE1EEEvPKT_PKbPfiPiS9_iiiiii,@function
_ZN4vllm3moe17topkGatingSoftmaxIfLi16ELi512ELi2ELi64ELb1ELi4ELNS0_23SharedExpertScoringFuncE1EEEvPKT_PKbPfiPiS9_iiiiii: ; @_ZN4vllm3moe17topkGatingSoftmaxIfLi16ELi512ELi2ELi64ELb1ELi4ELNS0_23SharedExpertScoringFuncE1EEEvPKT_PKbPfiPiS9_iiiiii
; %bb.0:
	s_load_b32 s16, s[0:1], 0x18
	v_and_b32_e32 v1, 0x3ff, v0
	v_bfe_u32 v16, v0, 10, 10
	s_lshl_b32 s18, s15, 1
	s_mov_b32 s2, exec_lo
	s_delay_alu instid0(VALU_DEP_2) | instskip(NEXT) | instid1(VALU_DEP_1)
	v_lshrrev_b32_e32 v41, 5, v1
	v_add3_u32 v23, s18, v16, v41
	s_waitcnt lgkmcnt(0)
	s_delay_alu instid0(VALU_DEP_1)
	v_cmpx_gt_i32_e64 s16, v23
	s_cbranch_execz .LBB97_22
; %bb.1:
	s_clause 0x1
	s_load_b128 s[4:7], s[0:1], 0x0
	s_load_b64 s[12:13], s[0:1], 0x10
	s_waitcnt lgkmcnt(0)
	s_cmp_eq_u64 s[6:7], 0
	s_cbranch_scc1 .LBB97_3
; %bb.2:
	v_ashrrev_i32_e32 v0, 31, v23
	v_add_co_u32 v2, vcc_lo, s6, v23
	s_delay_alu instid0(VALU_DEP_2) | instskip(SKIP_3) | instid1(VALU_DEP_1)
	v_add_co_ci_u32_e32 v3, vcc_lo, s7, v0, vcc_lo
	global_load_u8 v0, v[2:3], off
	s_waitcnt vmcnt(0)
	v_and_b32_e32 v0, 1, v0
	v_cmp_eq_u32_e32 vcc_lo, 1, v0
	s_xor_b32 s2, vcc_lo, -1
	s_delay_alu instid0(SALU_CYCLE_1)
	s_or_not1_b32 s17, s2, exec_lo
	s_branch .LBB97_4
.LBB97_3:
	s_mov_b32 s17, -1
.LBB97_4:
	s_clause 0x1
	s_load_b64 s[14:15], s[0:1], 0x40
	s_load_b128 s[8:11], s[0:1], 0x30
	v_and_b32_e32 v24, 31, v1
	s_mov_b32 s2, exec_lo
	s_delay_alu instid0(VALU_DEP_1) | instskip(SKIP_2) | instid1(VALU_DEP_1)
	v_dual_mov_b32 v22, 0 :: v_dual_lshlrev_b32 v25, 4, v24
	s_waitcnt lgkmcnt(0)
	v_mul_lo_u32 v2, v23, s15
	v_ashrrev_i32_e32 v3, 31, v2
	s_delay_alu instid0(VALU_DEP_1) | instskip(SKIP_1) | instid1(VALU_DEP_2)
	v_lshlrev_b64 v[0:1], 2, v[2:3]
	v_lshlrev_b32_e32 v2, 6, v24
	v_add_co_u32 v17, vcc_lo, s4, v0
	s_delay_alu instid0(VALU_DEP_3) | instskip(NEXT) | instid1(VALU_DEP_2)
	v_add_co_ci_u32_e32 v18, vcc_lo, s5, v1, vcc_lo
	v_add_co_u32 v12, vcc_lo, v17, v2
	s_delay_alu instid0(VALU_DEP_2)
	v_add_co_ci_u32_e32 v13, vcc_lo, 0, v18, vcc_lo
	s_clause 0x3
	global_load_b128 v[0:3], v[12:13], off offset:48
	global_load_b128 v[4:7], v[12:13], off offset:32
	;; [unrolled: 1-line block ×3, first 2 shown]
	global_load_b128 v[12:15], v[12:13], off
	v_cmpx_gt_u32_e32 4, v24
	s_cbranch_execz .LBB97_6
; %bb.5:
	v_lshlrev_b32_e32 v19, 2, v24
	s_delay_alu instid0(VALU_DEP_1)
	v_add_co_u32 v17, vcc_lo, v17, v19
	v_add_co_ci_u32_e32 v18, vcc_lo, 0, v18, vcc_lo
	global_load_b32 v17, v[17:18], off offset:2048
	s_waitcnt vmcnt(0)
	v_mul_f32_e32 v18, 0xbfb8aa3b, v17
	v_cmp_nlt_f32_e32 vcc_lo, 0x42ce8ed0, v17
	s_delay_alu instid0(VALU_DEP_2) | instskip(SKIP_1) | instid1(VALU_DEP_1)
	v_fma_f32 v19, 0xbfb8aa3b, v17, -v18
	v_rndne_f32_e32 v20, v18
	v_dual_fmamk_f32 v19, v17, 0xb2a5705f, v19 :: v_dual_sub_f32 v18, v18, v20
	s_delay_alu instid0(VALU_DEP_1) | instskip(SKIP_1) | instid1(VALU_DEP_2)
	v_add_f32_e32 v18, v18, v19
	v_cvt_i32_f32_e32 v19, v20
	v_exp_f32_e32 v18, v18
	s_waitcnt_depctr 0xfff
	v_ldexp_f32 v18, v18, v19
	s_delay_alu instid0(VALU_DEP_1) | instskip(SKIP_1) | instid1(VALU_DEP_2)
	v_cndmask_b32_e32 v18, 0, v18, vcc_lo
	v_cmp_ngt_f32_e32 vcc_lo, 0xc2b17218, v17
	v_cndmask_b32_e32 v17, 0x7f800000, v18, vcc_lo
	s_delay_alu instid0(VALU_DEP_1) | instskip(NEXT) | instid1(VALU_DEP_1)
	v_add_f32_e32 v19, 1.0, v17
	v_div_scale_f32 v18, null, v19, v19, 1.0
	v_div_scale_f32 v21, vcc_lo, 1.0, v19, 1.0
	s_delay_alu instid0(VALU_DEP_2) | instskip(SKIP_2) | instid1(VALU_DEP_1)
	v_rcp_f32_e32 v20, v18
	s_waitcnt_depctr 0xfff
	v_fma_f32 v17, -v18, v20, 1.0
	v_fmac_f32_e32 v20, v17, v20
	v_mul_lo_u32 v17, v23, s11
	s_delay_alu instid0(VALU_DEP_2) | instskip(NEXT) | instid1(VALU_DEP_2)
	v_mul_f32_e32 v26, v21, v20
	v_add3_u32 v17, v17, s8, v24
	s_delay_alu instid0(VALU_DEP_2) | instskip(NEXT) | instid1(VALU_DEP_1)
	v_fma_f32 v27, -v18, v26, v21
	v_fmac_f32_e32 v26, v27, v20
	s_delay_alu instid0(VALU_DEP_1) | instskip(NEXT) | instid1(VALU_DEP_4)
	v_fma_f32 v21, -v18, v26, v21
	v_ashrrev_i32_e32 v18, 31, v17
	s_delay_alu instid0(VALU_DEP_2) | instskip(NEXT) | instid1(VALU_DEP_2)
	v_div_fmas_f32 v20, v21, v20, v26
	v_lshlrev_b64 v[17:18], 2, v[17:18]
	s_delay_alu instid0(VALU_DEP_2) | instskip(NEXT) | instid1(VALU_DEP_2)
	v_div_fixup_f32 v19, v20, v19, 1.0
	v_add_co_u32 v17, vcc_lo, s12, v17
	s_delay_alu instid0(VALU_DEP_3)
	v_add_co_ci_u32_e32 v18, vcc_lo, s13, v18, vcc_lo
	global_store_b32 v[17:18], v19, off
.LBB97_6:
	s_or_b32 exec_lo, exec_lo, s2
	v_or_b32_e32 v26, 1, v25
	s_waitcnt vmcnt(0)
	v_cmp_lt_f32_e32 vcc_lo, v12, v13
	v_or_b32_e32 v27, 2, v25
	v_or_b32_e32 v28, 3, v25
	;; [unrolled: 1-line block ×4, first 2 shown]
	v_dual_cndmask_b32 v17, v25, v26 :: v_dual_cndmask_b32 v18, v12, v13
	v_or_b32_e32 v31, 6, v25
	v_or_b32_e32 v32, 7, v25
	;; [unrolled: 1-line block ×4, first 2 shown]
	v_cmp_lt_f32_e32 vcc_lo, v18, v14
	v_or_b32_e32 v35, 10, v25
	v_or_b32_e32 v36, 11, v25
	;; [unrolled: 1-line block ×4, first 2 shown]
	v_dual_cndmask_b32 v17, v17, v27 :: v_dual_cndmask_b32 v18, v18, v14
	v_or_b32_e32 v39, 14, v25
	v_or_b32_e32 v40, 15, v25
	s_delay_alu instid0(VALU_DEP_3) | instskip(NEXT) | instid1(VALU_DEP_4)
	v_cmp_lt_f32_e32 vcc_lo, v18, v15
	v_dual_cndmask_b32 v17, v17, v28 :: v_dual_cndmask_b32 v18, v18, v15
	s_delay_alu instid0(VALU_DEP_1) | instskip(NEXT) | instid1(VALU_DEP_2)
	v_cmp_lt_f32_e32 vcc_lo, v18, v8
	v_dual_cndmask_b32 v17, v17, v29 :: v_dual_cndmask_b32 v18, v18, v8
	s_delay_alu instid0(VALU_DEP_1) | instskip(NEXT) | instid1(VALU_DEP_2)
	;; [unrolled: 3-line block ×13, first 2 shown]
	v_mov_b32_dpp v19, v17 quad_perm:[1,0,3,2] row_mask:0xf bank_mask:0xf
	v_mov_b32_dpp v20, v18 quad_perm:[1,0,3,2] row_mask:0xf bank_mask:0xf
	s_delay_alu instid0(VALU_DEP_2) | instskip(NEXT) | instid1(VALU_DEP_2)
	v_cmp_lt_i32_e32 vcc_lo, v19, v17
	v_cmp_eq_f32_e64 s2, v18, v20
	v_cmp_lt_f32_e64 s3, v18, v20
	s_delay_alu instid0(VALU_DEP_2)
	s_and_b32 s2, s2, vcc_lo
	s_delay_alu instid0(VALU_DEP_1) | instid1(SALU_CYCLE_1)
	s_or_b32 vcc_lo, s3, s2
	v_dual_cndmask_b32 v18, v18, v20 :: v_dual_cndmask_b32 v17, v17, v19
	s_delay_alu instid0(VALU_DEP_1) | instskip(NEXT) | instid1(VALU_DEP_2)
	v_mov_b32_dpp v19, v18 quad_perm:[2,3,0,1] row_mask:0xf bank_mask:0xf
	v_mov_b32_dpp v20, v17 quad_perm:[2,3,0,1] row_mask:0xf bank_mask:0xf
	s_delay_alu instid0(VALU_DEP_2) | instskip(NEXT) | instid1(VALU_DEP_2)
	v_cmp_eq_f32_e32 vcc_lo, v18, v19
	v_cmp_lt_i32_e64 s2, v20, v17
	v_cmp_lt_f32_e64 s3, v18, v19
	s_delay_alu instid0(VALU_DEP_2)
	s_and_b32 s2, vcc_lo, s2
	s_delay_alu instid0(VALU_DEP_1) | instid1(SALU_CYCLE_1)
	s_or_b32 vcc_lo, s3, s2
	v_dual_cndmask_b32 v18, v18, v19 :: v_dual_cndmask_b32 v19, v17, v20
	s_delay_alu instid0(VALU_DEP_1) | instskip(NEXT) | instid1(VALU_DEP_2)
	v_mov_b32_dpp v17, v18 row_xmask:7 row_mask:0xf bank_mask:0xf
	v_mov_b32_dpp v20, v19 row_xmask:7 row_mask:0xf bank_mask:0xf
	s_delay_alu instid0(VALU_DEP_2) | instskip(NEXT) | instid1(VALU_DEP_2)
	v_cmp_eq_f32_e32 vcc_lo, v18, v17
	v_cmp_lt_i32_e64 s2, v20, v19
	v_cmp_lt_f32_e64 s3, v18, v17
	s_delay_alu instid0(VALU_DEP_2)
	s_and_b32 s2, vcc_lo, s2
	s_delay_alu instid0(VALU_DEP_1) | instid1(SALU_CYCLE_1)
	s_or_b32 vcc_lo, s3, s2
	s_cmp_gt_i32 s8, 0
	v_dual_cndmask_b32 v17, v18, v17 :: v_dual_cndmask_b32 v18, v19, v20
	v_cmp_eq_u32_e32 vcc_lo, 0, v24
	s_cselect_b32 s15, -1, 0
	s_cmp_lt_i32 s8, 1
	s_delay_alu instid0(VALU_DEP_2) | instskip(SKIP_1) | instid1(VALU_DEP_2)
	v_mov_b32_dpp v20, v17 row_xmask:15 row_mask:0xf bank_mask:0xf
	v_mov_b32_dpp v19, v18 row_xmask:15 row_mask:0xf bank_mask:0xf
	v_cmp_lt_f32_e64 s2, v17, v20
	v_cmp_eq_f32_e64 s3, v17, v20
	s_delay_alu instid0(VALU_DEP_3)
	v_cmp_lt_i32_e64 s4, v19, v18
	s_cbranch_scc1 .LBB97_18
; %bb.7:
	s_delay_alu instid0(VALU_DEP_1)
	s_and_b32 s3, s3, s4
	s_load_b128 s[4:7], s[0:1], 0x20
	s_or_b32 s2, s2, s3
	v_mul_lo_u32 v21, v23, s8
	v_cndmask_b32_e64 v20, v17, v20, s2
	v_cndmask_b32_e64 v18, v18, v19, s2
	s_mov_b32 s2, 0x76543210
	v_mul_lo_u32 v17, v23, s11
	v_mul_lo_u32 v19, v23, s14
	v_permlanex16_b32 v22, v20, s2, 0xfedcba98 op_sel:[1,1]
	v_permlanex16_b32 v42, v18, s2, 0xfedcba98 op_sel:[1,1]
	s_delay_alu instid0(VALU_DEP_2) | instskip(NEXT) | instid1(VALU_DEP_2)
	v_cmp_eq_f32_e64 s0, v20, v22
	v_cmp_lt_i32_e64 s1, v42, v18
	v_cmp_lt_f32_e64 s2, v20, v22
	s_delay_alu instid0(VALU_DEP_2)
	s_and_b32 s0, s0, s1
	s_delay_alu instid0(VALU_DEP_1) | instid1(SALU_CYCLE_1)
	s_or_b32 s0, s2, s0
	s_delay_alu instid0(SALU_CYCLE_1)
	v_cndmask_b32_e64 v43, v18, v42, s0
	v_cndmask_b32_e64 v42, v20, v22, s0
	v_mov_b32_e32 v22, 0
	s_and_saveexec_b32 s2, vcc_lo
	s_cbranch_execz .LBB97_9
; %bb.8:
	s_delay_alu instid0(VALU_DEP_2)
	v_sub_f32_e32 v50, v42, v42
	v_cmp_le_i32_e64 s0, s9, v43
	v_cmp_gt_i32_e64 s1, s10, v43
	v_subrev_nc_u32_e32 v51, s9, v43
	v_ashrrev_i32_e32 v22, 31, v21
	v_mul_f32_e32 v18, 0x3fb8aa3b, v50
	s_delay_alu instid0(VALU_DEP_4) | instskip(NEXT) | instid1(SALU_CYCLE_1)
	s_and_b32 s0, s0, s1
	s_and_b32 s0, s17, s0
	s_delay_alu instid0(VALU_DEP_1) | instskip(SKIP_2) | instid1(VALU_DEP_3)
	v_rndne_f32_e32 v46, v18
	v_fma_f32 v20, 0x3fb8aa3b, v50, -v18
	v_lshlrev_b64 v[48:49], 2, v[21:22]
	v_sub_f32_e32 v18, v18, v46
	s_delay_alu instid0(VALU_DEP_3) | instskip(NEXT) | instid1(VALU_DEP_1)
	v_fmamk_f32 v20, v50, 0x32a5705f, v20
	v_add_f32_e32 v20, v18, v20
	v_ashrrev_i32_e32 v18, 31, v17
	s_delay_alu instid0(VALU_DEP_2) | instskip(NEXT) | instid1(VALU_DEP_1)
	v_exp_f32_e32 v52, v20
	v_lshlrev_b64 v[44:45], 2, v[17:18]
	v_ashrrev_i32_e32 v20, 31, v19
	v_cvt_i32_f32_e32 v18, v46
	s_delay_alu instid0(VALU_DEP_2) | instskip(SKIP_2) | instid1(VALU_DEP_1)
	v_lshlrev_b64 v[46:47], 2, v[19:20]
	v_cndmask_b32_e64 v20, 0x200, v51, s0
	v_add_co_u32 v44, s0, s12, v44
	v_add_co_ci_u32_e64 v45, s0, s13, v45, s0
	s_delay_alu instid0(TRANS32_DEP_1) | instskip(SKIP_1) | instid1(VALU_DEP_1)
	v_ldexp_f32 v18, v52, v18
	v_cmp_ngt_f32_e64 s0, 0xc2ce8ed0, v50
	v_cndmask_b32_e64 v18, 0, v18, s0
	s_waitcnt lgkmcnt(0)
	v_add_co_u32 v46, s0, s4, v46
	s_delay_alu instid0(VALU_DEP_1) | instskip(SKIP_1) | instid1(VALU_DEP_1)
	v_add_co_ci_u32_e64 v47, s0, s5, v47, s0
	v_cmp_nlt_f32_e64 s0, 0x42b17218, v50
	v_cndmask_b32_e64 v22, 0x7f800000, v18, s0
	v_add_co_u32 v48, s0, s6, v48
	s_delay_alu instid0(VALU_DEP_1)
	v_add_co_ci_u32_e64 v49, s0, s7, v49, s0
	global_store_b32 v[46:47], v20, off
	global_store_b32 v[44:45], v22, off
	;; [unrolled: 1-line block ×3, first 2 shown]
.LBB97_9:
	s_or_b32 exec_lo, exec_lo, s2
	v_ashrrev_i32_e32 v20, 31, v43
	s_mov_b32 s1, exec_lo
	s_delay_alu instid0(VALU_DEP_1) | instskip(NEXT) | instid1(VALU_DEP_1)
	v_lshrrev_b32_e32 v18, 28, v20
	v_add_nc_u32_e32 v18, v43, v18
	s_delay_alu instid0(VALU_DEP_1) | instskip(NEXT) | instid1(VALU_DEP_1)
	v_ashrrev_i32_e32 v18, 4, v18
	v_lshrrev_b32_e32 v44, 27, v18
	s_delay_alu instid0(VALU_DEP_1) | instskip(NEXT) | instid1(VALU_DEP_1)
	v_add_nc_u32_e32 v44, v18, v44
	v_and_b32_e32 v44, 0xffffffe0, v44
	s_delay_alu instid0(VALU_DEP_1) | instskip(NEXT) | instid1(VALU_DEP_1)
	v_sub_nc_u32_e32 v44, v18, v44
	v_cmpx_eq_u32_e64 v24, v44
	s_cbranch_execz .LBB97_11
; %bb.10:
	v_lshrrev_b32_e32 v20, 23, v20
	v_lshlrev_b32_e32 v18, 4, v18
	s_delay_alu instid0(VALU_DEP_2) | instskip(NEXT) | instid1(VALU_DEP_2)
	v_add_nc_u32_e32 v20, v43, v20
	v_sub_nc_u32_e32 v18, v43, v18
	s_delay_alu instid0(VALU_DEP_2) | instskip(NEXT) | instid1(VALU_DEP_1)
	v_ashrrev_i32_e32 v20, 9, v20
	v_lshl_add_u32 v18, v20, 4, v18
	s_delay_alu instid0(VALU_DEP_1) | instskip(NEXT) | instid1(VALU_DEP_1)
	v_cmp_ne_u32_e64 s0, 15, v18
	v_cndmask_b32_e64 v3, 0xff800000, v3, s0
	v_cmp_ne_u32_e64 s0, 14, v18
	s_delay_alu instid0(VALU_DEP_1) | instskip(SKIP_1) | instid1(VALU_DEP_1)
	v_cndmask_b32_e64 v2, 0xff800000, v2, s0
	v_cmp_ne_u32_e64 s0, 13, v18
	v_cndmask_b32_e64 v1, 0xff800000, v1, s0
	v_cmp_ne_u32_e64 s0, 12, v18
	s_delay_alu instid0(VALU_DEP_1) | instskip(SKIP_1) | instid1(VALU_DEP_1)
	v_cndmask_b32_e64 v0, 0xff800000, v0, s0
	;; [unrolled: 5-line block ×7, first 2 shown]
	v_cmp_ne_u32_e64 s0, 1, v18
	v_cndmask_b32_e64 v13, 0xff800000, v13, s0
	v_cmp_ne_u32_e64 s0, 0, v18
	s_delay_alu instid0(VALU_DEP_1)
	v_cndmask_b32_e64 v12, 0xff800000, v12, s0
.LBB97_11:
	s_or_b32 exec_lo, exec_lo, s1
	s_cmp_eq_u32 s8, 1
	s_cbranch_scc1 .LBB97_18
; %bb.12:
	v_add_nc_u32_e32 v20, s16, v16
	v_add_nc_u32_e32 v16, 1, v21
	;; [unrolled: 1-line block ×3, first 2 shown]
	s_add_i32 s3, s8, -1
	s_mov_b32 s14, 0x76543210
	v_add3_u32 v41, v20, v41, s18
	v_add_nc_u32_e32 v20, 1, v17
	s_branch .LBB97_14
.LBB97_13:                              ;   in Loop: Header=BB97_14 Depth=1
	s_or_b32 exec_lo, exec_lo, s1
	v_add_nc_u32_e32 v41, s16, v41
	v_add_nc_u32_e32 v16, 1, v16
	;; [unrolled: 1-line block ×4, first 2 shown]
	s_add_i32 s3, s3, -1
	s_delay_alu instid0(SALU_CYCLE_1)
	s_cmp_eq_u32 s3, 0
	s_cbranch_scc1 .LBB97_18
.LBB97_14:                              ; =>This Inner Loop Header: Depth=1
	v_cmp_gt_f32_e64 s0, v13, v12
	s_delay_alu instid0(VALU_DEP_1) | instskip(SKIP_1) | instid1(VALU_DEP_2)
	v_cndmask_b32_e64 v19, v12, v13, s0
	v_cndmask_b32_e64 v17, v25, v26, s0
	v_cmp_gt_f32_e64 s0, v14, v19
	s_delay_alu instid0(VALU_DEP_1) | instskip(NEXT) | instid1(VALU_DEP_3)
	v_cndmask_b32_e64 v19, v19, v14, s0
	v_cndmask_b32_e64 v17, v17, v27, s0
	s_delay_alu instid0(VALU_DEP_2) | instskip(NEXT) | instid1(VALU_DEP_1)
	v_cmp_gt_f32_e64 s0, v15, v19
	v_cndmask_b32_e64 v19, v19, v15, s0
	s_delay_alu instid0(VALU_DEP_3) | instskip(NEXT) | instid1(VALU_DEP_2)
	v_cndmask_b32_e64 v17, v17, v28, s0
	v_cmp_gt_f32_e64 s0, v8, v19
	s_delay_alu instid0(VALU_DEP_1) | instskip(NEXT) | instid1(VALU_DEP_3)
	v_cndmask_b32_e64 v19, v19, v8, s0
	v_cndmask_b32_e64 v17, v17, v29, s0
	s_delay_alu instid0(VALU_DEP_2) | instskip(NEXT) | instid1(VALU_DEP_1)
	v_cmp_gt_f32_e64 s0, v9, v19
	v_cndmask_b32_e64 v19, v19, v9, s0
	s_delay_alu instid0(VALU_DEP_3) | instskip(NEXT) | instid1(VALU_DEP_2)
	;; [unrolled: 9-line block ×6, first 2 shown]
	v_cndmask_b32_e64 v17, v17, v38, s0
	v_cmp_gt_f32_e64 s0, v2, v19
	s_delay_alu instid0(VALU_DEP_1) | instskip(NEXT) | instid1(VALU_DEP_3)
	v_cndmask_b32_e64 v19, v19, v2, s0
	v_cndmask_b32_e64 v17, v17, v39, s0
	s_delay_alu instid0(VALU_DEP_2) | instskip(NEXT) | instid1(VALU_DEP_1)
	v_cmp_gt_f32_e64 s0, v3, v19
	v_cndmask_b32_e64 v17, v17, v40, s0
	v_cndmask_b32_e64 v19, v19, v3, s0
	s_delay_alu instid0(VALU_DEP_2) | instskip(NEXT) | instid1(VALU_DEP_2)
	v_mov_b32_dpp v21, v17 quad_perm:[1,0,3,2] row_mask:0xf bank_mask:0xf
	v_mov_b32_dpp v43, v19 quad_perm:[1,0,3,2] row_mask:0xf bank_mask:0xf
	s_delay_alu instid0(VALU_DEP_2) | instskip(NEXT) | instid1(VALU_DEP_2)
	v_cmp_lt_i32_e64 s0, v21, v17
	v_cmp_eq_f32_e64 s1, v19, v43
	v_cmp_lt_f32_e64 s2, v19, v43
	s_delay_alu instid0(VALU_DEP_2)
	s_and_b32 s0, s1, s0
	s_delay_alu instid0(VALU_DEP_1) | instid1(SALU_CYCLE_1)
	s_or_b32 s0, s2, s0
	s_delay_alu instid0(SALU_CYCLE_1) | instskip(SKIP_1) | instid1(VALU_DEP_2)
	v_cndmask_b32_e64 v19, v19, v43, s0
	v_cndmask_b32_e64 v17, v17, v21, s0
	v_mov_b32_dpp v21, v19 quad_perm:[2,3,0,1] row_mask:0xf bank_mask:0xf
	s_delay_alu instid0(VALU_DEP_2) | instskip(NEXT) | instid1(VALU_DEP_2)
	v_mov_b32_dpp v43, v17 quad_perm:[2,3,0,1] row_mask:0xf bank_mask:0xf
	v_cmp_eq_f32_e64 s0, v19, v21
	s_delay_alu instid0(VALU_DEP_2) | instskip(SKIP_1) | instid1(VALU_DEP_2)
	v_cmp_lt_i32_e64 s1, v43, v17
	v_cmp_lt_f32_e64 s2, v19, v21
	s_and_b32 s0, s0, s1
	s_delay_alu instid0(VALU_DEP_1) | instid1(SALU_CYCLE_1)
	s_or_b32 s0, s2, s0
	s_delay_alu instid0(SALU_CYCLE_1) | instskip(SKIP_1) | instid1(VALU_DEP_2)
	v_cndmask_b32_e64 v19, v19, v21, s0
	v_cndmask_b32_e64 v17, v17, v43, s0
	v_mov_b32_dpp v21, v19 row_xmask:7 row_mask:0xf bank_mask:0xf
	s_delay_alu instid0(VALU_DEP_2) | instskip(NEXT) | instid1(VALU_DEP_2)
	v_mov_b32_dpp v43, v17 row_xmask:7 row_mask:0xf bank_mask:0xf
	v_cmp_eq_f32_e64 s0, v19, v21
	s_delay_alu instid0(VALU_DEP_2) | instskip(SKIP_1) | instid1(VALU_DEP_2)
	v_cmp_lt_i32_e64 s1, v43, v17
	v_cmp_lt_f32_e64 s2, v19, v21
	s_and_b32 s0, s0, s1
	s_delay_alu instid0(VALU_DEP_1) | instid1(SALU_CYCLE_1)
	s_or_b32 s0, s2, s0
	s_delay_alu instid0(SALU_CYCLE_1) | instskip(SKIP_1) | instid1(VALU_DEP_2)
	v_cndmask_b32_e64 v19, v19, v21, s0
	v_cndmask_b32_e64 v21, v17, v43, s0
	v_mov_b32_dpp v17, v19 row_xmask:15 row_mask:0xf bank_mask:0xf
	s_delay_alu instid0(VALU_DEP_2) | instskip(NEXT) | instid1(VALU_DEP_2)
	v_mov_b32_dpp v43, v21 row_xmask:15 row_mask:0xf bank_mask:0xf
	v_cmp_eq_f32_e64 s0, v19, v17
	s_delay_alu instid0(VALU_DEP_2) | instskip(SKIP_1) | instid1(VALU_DEP_2)
	v_cmp_lt_i32_e64 s1, v43, v21
	v_cmp_lt_f32_e64 s2, v19, v17
	s_and_b32 s0, s0, s1
	s_delay_alu instid0(VALU_DEP_1) | instid1(SALU_CYCLE_1)
	s_or_b32 s0, s2, s0
	s_delay_alu instid0(SALU_CYCLE_1) | instskip(SKIP_1) | instid1(VALU_DEP_2)
	v_cndmask_b32_e64 v17, v19, v17, s0
	v_cndmask_b32_e64 v21, v21, v43, s0
	v_permlanex16_b32 v19, v17, s14, 0xfedcba98 op_sel:[1,1]
	s_delay_alu instid0(VALU_DEP_2) | instskip(NEXT) | instid1(VALU_DEP_2)
	v_permlanex16_b32 v43, v21, s14, 0xfedcba98 op_sel:[1,1]
	v_cmp_eq_f32_e64 s0, v17, v19
	s_delay_alu instid0(VALU_DEP_2) | instskip(SKIP_1) | instid1(VALU_DEP_2)
	v_cmp_lt_i32_e64 s1, v43, v21
	v_cmp_lt_f32_e64 s2, v17, v19
	s_and_b32 s0, s0, s1
	s_delay_alu instid0(VALU_DEP_1) | instid1(SALU_CYCLE_1)
	s_or_b32 s0, s2, s0
	s_delay_alu instid0(SALU_CYCLE_1)
	v_cndmask_b32_e64 v43, v21, v43, s0
	s_and_saveexec_b32 s2, vcc_lo
	s_cbranch_execz .LBB97_16
; %bb.15:                               ;   in Loop: Header=BB97_14 Depth=1
	v_cndmask_b32_e64 v17, v17, v19, s0
	s_delay_alu instid0(VALU_DEP_2) | instskip(SKIP_4) | instid1(VALU_DEP_4)
	v_cmp_le_i32_e64 s0, s9, v43
	v_cmp_gt_i32_e64 s1, s10, v43
	v_ashrrev_i32_e32 v21, 31, v20
	v_subrev_nc_u32_e32 v51, s9, v43
	v_sub_f32_e32 v50, v17, v42
	s_and_b32 s0, s0, s1
	s_delay_alu instid0(SALU_CYCLE_1) | instskip(NEXT) | instid1(VALU_DEP_1)
	s_and_b32 s0, s17, s0
	v_mul_f32_e32 v17, 0x3fb8aa3b, v50
	s_delay_alu instid0(VALU_DEP_1) | instskip(SKIP_1) | instid1(VALU_DEP_2)
	v_fma_f32 v19, 0x3fb8aa3b, v50, -v17
	v_rndne_f32_e32 v44, v17
	v_fmac_f32_e32 v19, 0x32a5705f, v50
	s_delay_alu instid0(VALU_DEP_2) | instskip(SKIP_2) | instid1(VALU_DEP_3)
	v_sub_f32_e32 v17, v17, v44
	v_cvt_i32_f32_e32 v49, v44
	v_lshlrev_b64 v[44:45], 2, v[20:21]
	v_add_f32_e32 v17, v17, v19
	v_ashrrev_i32_e32 v19, 31, v18
	s_delay_alu instid0(VALU_DEP_2) | instskip(SKIP_1) | instid1(VALU_DEP_2)
	v_exp_f32_e32 v48, v17
	v_ashrrev_i32_e32 v17, 31, v16
	v_lshlrev_b64 v[46:47], 2, v[18:19]
	s_waitcnt_depctr 0xfff
	v_ldexp_f32 v19, v48, v49
	v_lshlrev_b64 v[48:49], 2, v[16:17]
	v_cndmask_b32_e64 v17, 0x200, v51, s0
	v_cmp_ngt_f32_e64 s0, 0xc2ce8ed0, v50
	s_delay_alu instid0(VALU_DEP_1) | instskip(SKIP_1) | instid1(VALU_DEP_1)
	v_cndmask_b32_e64 v19, 0, v19, s0
	v_add_co_u32 v44, s0, s12, v44
	v_add_co_ci_u32_e64 v45, s0, s13, v45, s0
	v_cmp_nlt_f32_e64 s0, 0x42b17218, v50
	s_delay_alu instid0(VALU_DEP_1) | instskip(SKIP_2) | instid1(VALU_DEP_1)
	v_cndmask_b32_e64 v19, 0x7f800000, v19, s0
	s_waitcnt lgkmcnt(0)
	v_add_co_u32 v46, s0, s4, v46
	v_add_co_ci_u32_e64 v47, s0, s5, v47, s0
	s_delay_alu instid0(VALU_DEP_3) | instskip(SKIP_1) | instid1(VALU_DEP_1)
	v_add_f32_e32 v22, v22, v19
	v_add_co_u32 v48, s0, s6, v48
	v_add_co_ci_u32_e64 v49, s0, s7, v49, s0
	global_store_b32 v[44:45], v19, off
	global_store_b32 v[46:47], v17, off
	;; [unrolled: 1-line block ×3, first 2 shown]
.LBB97_16:                              ;   in Loop: Header=BB97_14 Depth=1
	s_or_b32 exec_lo, exec_lo, s2
	s_delay_alu instid0(VALU_DEP_1) | instskip(SKIP_1) | instid1(VALU_DEP_1)
	v_ashrrev_i32_e32 v19, 31, v43
	s_mov_b32 s1, exec_lo
	v_lshrrev_b32_e32 v17, 28, v19
	s_delay_alu instid0(VALU_DEP_1) | instskip(NEXT) | instid1(VALU_DEP_1)
	v_add_nc_u32_e32 v17, v43, v17
	v_ashrrev_i32_e32 v17, 4, v17
	s_delay_alu instid0(VALU_DEP_1) | instskip(NEXT) | instid1(VALU_DEP_1)
	v_lshrrev_b32_e32 v21, 27, v17
	v_add_nc_u32_e32 v21, v17, v21
	s_delay_alu instid0(VALU_DEP_1) | instskip(NEXT) | instid1(VALU_DEP_1)
	v_and_b32_e32 v21, 0xffffffe0, v21
	v_sub_nc_u32_e32 v21, v17, v21
	s_delay_alu instid0(VALU_DEP_1)
	v_cmpx_eq_u32_e64 v24, v21
	s_cbranch_execz .LBB97_13
; %bb.17:                               ;   in Loop: Header=BB97_14 Depth=1
	v_lshrrev_b32_e32 v19, 23, v19
	v_lshlrev_b32_e32 v17, 4, v17
	s_delay_alu instid0(VALU_DEP_2) | instskip(NEXT) | instid1(VALU_DEP_2)
	v_add_nc_u32_e32 v19, v43, v19
	v_sub_nc_u32_e32 v17, v43, v17
	s_delay_alu instid0(VALU_DEP_2) | instskip(NEXT) | instid1(VALU_DEP_1)
	v_ashrrev_i32_e32 v19, 9, v19
	v_lshl_add_u32 v17, v19, 4, v17
	s_delay_alu instid0(VALU_DEP_1) | instskip(NEXT) | instid1(VALU_DEP_1)
	v_cmp_ne_u32_e64 s0, 15, v17
	v_cndmask_b32_e64 v3, 0xff800000, v3, s0
	v_cmp_ne_u32_e64 s0, 14, v17
	s_delay_alu instid0(VALU_DEP_1) | instskip(SKIP_1) | instid1(VALU_DEP_1)
	v_cndmask_b32_e64 v2, 0xff800000, v2, s0
	v_cmp_ne_u32_e64 s0, 13, v17
	v_cndmask_b32_e64 v1, 0xff800000, v1, s0
	v_cmp_ne_u32_e64 s0, 12, v17
	s_delay_alu instid0(VALU_DEP_1) | instskip(SKIP_1) | instid1(VALU_DEP_1)
	v_cndmask_b32_e64 v0, 0xff800000, v0, s0
	;; [unrolled: 5-line block ×7, first 2 shown]
	v_cmp_ne_u32_e64 s0, 1, v17
	v_cndmask_b32_e64 v13, 0xff800000, v13, s0
	v_cmp_ne_u32_e64 s0, 0, v17
	s_delay_alu instid0(VALU_DEP_1)
	v_cndmask_b32_e64 v12, 0xff800000, v12, s0
	s_branch .LBB97_13
.LBB97_18:
	v_cmp_eq_u32_e32 vcc_lo, 0, v24
	v_cmp_neq_f32_e64 s0, 0, v22
	s_delay_alu instid0(VALU_DEP_1) | instskip(NEXT) | instid1(SALU_CYCLE_1)
	s_and_b32 s0, vcc_lo, s0
	s_and_b32 exec_lo, exec_lo, s0
	s_cbranch_execz .LBB97_22
; %bb.19:
	s_and_not1_b32 vcc_lo, exec_lo, s15
	s_cbranch_vccnz .LBB97_22
; %bb.20:
	v_div_scale_f32 v1, null, v22, v22, 1.0
	v_div_scale_f32 v3, vcc_lo, 1.0, v22, 1.0
	s_delay_alu instid0(VALU_DEP_2) | instskip(SKIP_2) | instid1(VALU_DEP_1)
	v_rcp_f32_e32 v2, v1
	s_waitcnt_depctr 0xfff
	v_fma_f32 v0, -v1, v2, 1.0
	v_fmac_f32_e32 v2, v0, v2
	v_mul_lo_u32 v0, v23, s11
	s_delay_alu instid0(VALU_DEP_2) | instskip(NEXT) | instid1(VALU_DEP_1)
	v_mul_f32_e32 v4, v3, v2
	v_fma_f32 v5, -v1, v4, v3
	s_delay_alu instid0(VALU_DEP_1) | instskip(NEXT) | instid1(VALU_DEP_1)
	v_fmac_f32_e32 v4, v5, v2
	v_fma_f32 v3, -v1, v4, v3
	v_ashrrev_i32_e32 v1, 31, v0
	s_delay_alu instid0(VALU_DEP_2) | instskip(NEXT) | instid1(VALU_DEP_2)
	v_div_fmas_f32 v2, v3, v2, v4
	v_lshlrev_b64 v[0:1], 2, v[0:1]
	s_delay_alu instid0(VALU_DEP_2) | instskip(NEXT) | instid1(VALU_DEP_2)
	v_div_fixup_f32 v2, v2, v22, 1.0
	v_add_co_u32 v0, vcc_lo, s12, v0
	s_delay_alu instid0(VALU_DEP_3)
	v_add_co_ci_u32_e32 v1, vcc_lo, s13, v1, vcc_lo
.LBB97_21:                              ; =>This Inner Loop Header: Depth=1
	global_load_b32 v3, v[0:1], off
	s_add_i32 s8, s8, -1
	s_delay_alu instid0(SALU_CYCLE_1)
	s_cmp_lg_u32 s8, 0
	s_waitcnt vmcnt(0)
	v_mul_f32_e32 v3, v2, v3
	global_store_b32 v[0:1], v3, off
	v_add_co_u32 v0, vcc_lo, v0, 4
	v_add_co_ci_u32_e32 v1, vcc_lo, 0, v1, vcc_lo
	s_cbranch_scc1 .LBB97_21
.LBB97_22:
	s_nop 0
	s_sendmsg sendmsg(MSG_DEALLOC_VGPRS)
	s_endpgm
	.section	.rodata,"a",@progbits
	.p2align	6, 0x0
	.amdhsa_kernel _ZN4vllm3moe17topkGatingSoftmaxIfLi16ELi512ELi2ELi64ELb1ELi4ELNS0_23SharedExpertScoringFuncE1EEEvPKT_PKbPfiPiS9_iiiiii
		.amdhsa_group_segment_fixed_size 0
		.amdhsa_private_segment_fixed_size 0
		.amdhsa_kernarg_size 72
		.amdhsa_user_sgpr_count 15
		.amdhsa_user_sgpr_dispatch_ptr 0
		.amdhsa_user_sgpr_queue_ptr 0
		.amdhsa_user_sgpr_kernarg_segment_ptr 1
		.amdhsa_user_sgpr_dispatch_id 0
		.amdhsa_user_sgpr_private_segment_size 0
		.amdhsa_wavefront_size32 1
		.amdhsa_uses_dynamic_stack 0
		.amdhsa_enable_private_segment 0
		.amdhsa_system_sgpr_workgroup_id_x 1
		.amdhsa_system_sgpr_workgroup_id_y 0
		.amdhsa_system_sgpr_workgroup_id_z 0
		.amdhsa_system_sgpr_workgroup_info 0
		.amdhsa_system_vgpr_workitem_id 1
		.amdhsa_next_free_vgpr 53
		.amdhsa_next_free_sgpr 19
		.amdhsa_reserve_vcc 1
		.amdhsa_float_round_mode_32 0
		.amdhsa_float_round_mode_16_64 0
		.amdhsa_float_denorm_mode_32 3
		.amdhsa_float_denorm_mode_16_64 3
		.amdhsa_dx10_clamp 1
		.amdhsa_ieee_mode 1
		.amdhsa_fp16_overflow 0
		.amdhsa_workgroup_processor_mode 1
		.amdhsa_memory_ordered 1
		.amdhsa_forward_progress 0
		.amdhsa_shared_vgpr_count 0
		.amdhsa_exception_fp_ieee_invalid_op 0
		.amdhsa_exception_fp_denorm_src 0
		.amdhsa_exception_fp_ieee_div_zero 0
		.amdhsa_exception_fp_ieee_overflow 0
		.amdhsa_exception_fp_ieee_underflow 0
		.amdhsa_exception_fp_ieee_inexact 0
		.amdhsa_exception_int_div_zero 0
	.end_amdhsa_kernel
	.section	.text._ZN4vllm3moe17topkGatingSoftmaxIfLi16ELi512ELi2ELi64ELb1ELi4ELNS0_23SharedExpertScoringFuncE1EEEvPKT_PKbPfiPiS9_iiiiii,"axG",@progbits,_ZN4vllm3moe17topkGatingSoftmaxIfLi16ELi512ELi2ELi64ELb1ELi4ELNS0_23SharedExpertScoringFuncE1EEEvPKT_PKbPfiPiS9_iiiiii,comdat
.Lfunc_end97:
	.size	_ZN4vllm3moe17topkGatingSoftmaxIfLi16ELi512ELi2ELi64ELb1ELi4ELNS0_23SharedExpertScoringFuncE1EEEvPKT_PKbPfiPiS9_iiiiii, .Lfunc_end97-_ZN4vllm3moe17topkGatingSoftmaxIfLi16ELi512ELi2ELi64ELb1ELi4ELNS0_23SharedExpertScoringFuncE1EEEvPKT_PKbPfiPiS9_iiiiii
                                        ; -- End function
	.section	.AMDGPU.csdata,"",@progbits
; Kernel info:
; codeLenInByte = 4048
; NumSgprs: 21
; NumVgprs: 53
; ScratchSize: 0
; MemoryBound: 0
; FloatMode: 240
; IeeeMode: 1
; LDSByteSize: 0 bytes/workgroup (compile time only)
; SGPRBlocks: 2
; VGPRBlocks: 6
; NumSGPRsForWavesPerEU: 21
; NumVGPRsForWavesPerEU: 53
; Occupancy: 16
; WaveLimiterHint : 0
; COMPUTE_PGM_RSRC2:SCRATCH_EN: 0
; COMPUTE_PGM_RSRC2:USER_SGPR: 15
; COMPUTE_PGM_RSRC2:TRAP_HANDLER: 0
; COMPUTE_PGM_RSRC2:TGID_X_EN: 1
; COMPUTE_PGM_RSRC2:TGID_Y_EN: 0
; COMPUTE_PGM_RSRC2:TGID_Z_EN: 0
; COMPUTE_PGM_RSRC2:TIDIG_COMP_CNT: 1
	.section	.text._ZN4vllm3moe17topkGatingSoftmaxIfLi16ELi512ELi2ELi64ELb0ELi4ELNS0_23SharedExpertScoringFuncE1EEEvPKT_PKbPfiPiS9_iiiiii,"axG",@progbits,_ZN4vllm3moe17topkGatingSoftmaxIfLi16ELi512ELi2ELi64ELb0ELi4ELNS0_23SharedExpertScoringFuncE1EEEvPKT_PKbPfiPiS9_iiiiii,comdat
	.protected	_ZN4vllm3moe17topkGatingSoftmaxIfLi16ELi512ELi2ELi64ELb0ELi4ELNS0_23SharedExpertScoringFuncE1EEEvPKT_PKbPfiPiS9_iiiiii ; -- Begin function _ZN4vllm3moe17topkGatingSoftmaxIfLi16ELi512ELi2ELi64ELb0ELi4ELNS0_23SharedExpertScoringFuncE1EEEvPKT_PKbPfiPiS9_iiiiii
	.globl	_ZN4vllm3moe17topkGatingSoftmaxIfLi16ELi512ELi2ELi64ELb0ELi4ELNS0_23SharedExpertScoringFuncE1EEEvPKT_PKbPfiPiS9_iiiiii
	.p2align	8
	.type	_ZN4vllm3moe17topkGatingSoftmaxIfLi16ELi512ELi2ELi64ELb0ELi4ELNS0_23SharedExpertScoringFuncE1EEEvPKT_PKbPfiPiS9_iiiiii,@function
_ZN4vllm3moe17topkGatingSoftmaxIfLi16ELi512ELi2ELi64ELb0ELi4ELNS0_23SharedExpertScoringFuncE1EEEvPKT_PKbPfiPiS9_iiiiii: ; @_ZN4vllm3moe17topkGatingSoftmaxIfLi16ELi512ELi2ELi64ELb0ELi4ELNS0_23SharedExpertScoringFuncE1EEEvPKT_PKbPfiPiS9_iiiiii
; %bb.0:
	s_load_b32 s16, s[0:1], 0x18
	v_and_b32_e32 v1, 0x3ff, v0
	v_bfe_u32 v16, v0, 10, 10
	s_lshl_b32 s18, s15, 1
	s_mov_b32 s2, exec_lo
	s_delay_alu instid0(VALU_DEP_2) | instskip(NEXT) | instid1(VALU_DEP_1)
	v_lshrrev_b32_e32 v42, 5, v1
	v_add3_u32 v23, s18, v16, v42
	s_waitcnt lgkmcnt(0)
	s_delay_alu instid0(VALU_DEP_1)
	v_cmpx_gt_i32_e64 s16, v23
	s_cbranch_execz .LBB98_23
; %bb.1:
	s_clause 0x1
	s_load_b128 s[4:7], s[0:1], 0x0
	s_load_b64 s[12:13], s[0:1], 0x10
	s_waitcnt lgkmcnt(0)
	s_cmp_eq_u64 s[6:7], 0
	s_cbranch_scc1 .LBB98_3
; %bb.2:
	v_ashrrev_i32_e32 v0, 31, v23
	v_add_co_u32 v2, vcc_lo, s6, v23
	s_delay_alu instid0(VALU_DEP_2) | instskip(SKIP_3) | instid1(VALU_DEP_1)
	v_add_co_ci_u32_e32 v3, vcc_lo, s7, v0, vcc_lo
	global_load_u8 v0, v[2:3], off
	s_waitcnt vmcnt(0)
	v_and_b32_e32 v0, 1, v0
	v_cmp_eq_u32_e32 vcc_lo, 1, v0
	s_xor_b32 s2, vcc_lo, -1
	s_delay_alu instid0(SALU_CYCLE_1)
	s_or_not1_b32 s17, s2, exec_lo
	s_branch .LBB98_4
.LBB98_3:
	s_mov_b32 s17, -1
.LBB98_4:
	s_load_b64 s[14:15], s[0:1], 0x40
	v_and_b32_e32 v24, 31, v1
	v_mov_b32_e32 v22, 0
	s_mov_b32 s2, exec_lo
	s_delay_alu instid0(VALU_DEP_2) | instskip(SKIP_2) | instid1(VALU_DEP_1)
	v_lshlrev_b32_e32 v26, 4, v24
	s_waitcnt lgkmcnt(0)
	v_mul_lo_u32 v2, v23, s15
	v_ashrrev_i32_e32 v3, 31, v2
	s_delay_alu instid0(VALU_DEP_1) | instskip(SKIP_1) | instid1(VALU_DEP_2)
	v_lshlrev_b64 v[0:1], 2, v[2:3]
	v_lshlrev_b32_e32 v2, 6, v24
	v_add_co_u32 v17, vcc_lo, s4, v0
	s_delay_alu instid0(VALU_DEP_3) | instskip(SKIP_1) | instid1(VALU_DEP_2)
	v_add_co_ci_u32_e32 v18, vcc_lo, s5, v1, vcc_lo
	s_load_b128 s[4:7], s[0:1], 0x30
	v_add_co_u32 v12, vcc_lo, v17, v2
	s_delay_alu instid0(VALU_DEP_2)
	v_add_co_ci_u32_e32 v13, vcc_lo, 0, v18, vcc_lo
	s_clause 0x3
	global_load_b128 v[0:3], v[12:13], off offset:48
	global_load_b128 v[4:7], v[12:13], off offset:32
	;; [unrolled: 1-line block ×3, first 2 shown]
	global_load_b128 v[12:15], v[12:13], off
	v_cmpx_gt_u32_e32 4, v24
	s_cbranch_execz .LBB98_6
; %bb.5:
	v_lshlrev_b32_e32 v19, 2, v24
	s_delay_alu instid0(VALU_DEP_1)
	v_add_co_u32 v17, vcc_lo, v17, v19
	v_add_co_ci_u32_e32 v18, vcc_lo, 0, v18, vcc_lo
	global_load_b32 v17, v[17:18], off offset:2048
	s_waitcnt vmcnt(0)
	v_mul_f32_e32 v18, 0xbfb8aa3b, v17
	v_cmp_nlt_f32_e32 vcc_lo, 0x42ce8ed0, v17
	s_delay_alu instid0(VALU_DEP_2) | instskip(SKIP_1) | instid1(VALU_DEP_1)
	v_fma_f32 v19, 0xbfb8aa3b, v17, -v18
	v_rndne_f32_e32 v20, v18
	v_dual_fmamk_f32 v19, v17, 0xb2a5705f, v19 :: v_dual_sub_f32 v18, v18, v20
	s_delay_alu instid0(VALU_DEP_1) | instskip(SKIP_1) | instid1(VALU_DEP_2)
	v_add_f32_e32 v18, v18, v19
	v_cvt_i32_f32_e32 v19, v20
	v_exp_f32_e32 v18, v18
	s_waitcnt_depctr 0xfff
	v_ldexp_f32 v18, v18, v19
	s_delay_alu instid0(VALU_DEP_1) | instskip(SKIP_1) | instid1(VALU_DEP_2)
	v_cndmask_b32_e32 v18, 0, v18, vcc_lo
	v_cmp_ngt_f32_e32 vcc_lo, 0xc2b17218, v17
	v_cndmask_b32_e32 v17, 0x7f800000, v18, vcc_lo
	s_delay_alu instid0(VALU_DEP_1) | instskip(NEXT) | instid1(VALU_DEP_1)
	v_add_f32_e32 v19, 1.0, v17
	v_div_scale_f32 v18, null, v19, v19, 1.0
	v_div_scale_f32 v21, vcc_lo, 1.0, v19, 1.0
	s_delay_alu instid0(VALU_DEP_2) | instskip(SKIP_2) | instid1(VALU_DEP_1)
	v_rcp_f32_e32 v20, v18
	s_waitcnt_depctr 0xfff
	v_fma_f32 v17, -v18, v20, 1.0
	v_fmac_f32_e32 v20, v17, v20
	s_waitcnt lgkmcnt(0)
	v_mul_lo_u32 v17, v23, s7
	s_delay_alu instid0(VALU_DEP_2) | instskip(NEXT) | instid1(VALU_DEP_2)
	v_mul_f32_e32 v25, v21, v20
	v_add3_u32 v17, v17, s4, v24
	s_delay_alu instid0(VALU_DEP_2) | instskip(NEXT) | instid1(VALU_DEP_1)
	v_fma_f32 v27, -v18, v25, v21
	v_fmac_f32_e32 v25, v27, v20
	s_delay_alu instid0(VALU_DEP_1) | instskip(NEXT) | instid1(VALU_DEP_4)
	v_fma_f32 v21, -v18, v25, v21
	v_ashrrev_i32_e32 v18, 31, v17
	s_delay_alu instid0(VALU_DEP_2) | instskip(NEXT) | instid1(VALU_DEP_2)
	v_div_fmas_f32 v20, v21, v20, v25
	v_lshlrev_b64 v[17:18], 2, v[17:18]
	s_delay_alu instid0(VALU_DEP_2) | instskip(NEXT) | instid1(VALU_DEP_2)
	v_div_fixup_f32 v19, v20, v19, 1.0
	v_add_co_u32 v17, vcc_lo, s12, v17
	s_delay_alu instid0(VALU_DEP_3)
	v_add_co_ci_u32_e32 v18, vcc_lo, s13, v18, vcc_lo
	global_store_b32 v[17:18], v19, off
.LBB98_6:
	s_or_b32 exec_lo, exec_lo, s2
	v_or_b32_e32 v27, 1, v26
	s_waitcnt vmcnt(0)
	v_cmp_lt_f32_e32 vcc_lo, v12, v13
	v_or_b32_e32 v28, 2, v26
	v_or_b32_e32 v29, 3, v26
	;; [unrolled: 1-line block ×4, first 2 shown]
	v_dual_cndmask_b32 v17, v26, v27 :: v_dual_cndmask_b32 v18, v12, v13
	v_or_b32_e32 v32, 6, v26
	v_or_b32_e32 v33, 7, v26
	;; [unrolled: 1-line block ×4, first 2 shown]
	v_cmp_lt_f32_e32 vcc_lo, v18, v14
	v_or_b32_e32 v36, 10, v26
	v_or_b32_e32 v37, 11, v26
	;; [unrolled: 1-line block ×4, first 2 shown]
	v_dual_cndmask_b32 v17, v17, v28 :: v_dual_cndmask_b32 v18, v18, v14
	v_or_b32_e32 v40, 14, v26
	v_or_b32_e32 v41, 15, v26
	s_delay_alu instid0(VALU_DEP_3) | instskip(NEXT) | instid1(VALU_DEP_4)
	v_cmp_lt_f32_e32 vcc_lo, v18, v15
	v_dual_cndmask_b32 v17, v17, v29 :: v_dual_cndmask_b32 v18, v18, v15
	s_delay_alu instid0(VALU_DEP_1) | instskip(NEXT) | instid1(VALU_DEP_2)
	v_cmp_lt_f32_e32 vcc_lo, v18, v8
	v_dual_cndmask_b32 v17, v17, v30 :: v_dual_cndmask_b32 v18, v18, v8
	s_delay_alu instid0(VALU_DEP_1) | instskip(NEXT) | instid1(VALU_DEP_2)
	;; [unrolled: 3-line block ×13, first 2 shown]
	v_mov_b32_dpp v19, v17 quad_perm:[1,0,3,2] row_mask:0xf bank_mask:0xf
	v_mov_b32_dpp v20, v18 quad_perm:[1,0,3,2] row_mask:0xf bank_mask:0xf
	s_delay_alu instid0(VALU_DEP_2) | instskip(NEXT) | instid1(VALU_DEP_2)
	v_cmp_lt_i32_e32 vcc_lo, v19, v17
	v_cmp_eq_f32_e64 s2, v18, v20
	v_cmp_lt_f32_e64 s3, v18, v20
	s_delay_alu instid0(VALU_DEP_2)
	s_and_b32 s2, s2, vcc_lo
	s_delay_alu instid0(VALU_DEP_1) | instid1(SALU_CYCLE_1)
	s_or_b32 vcc_lo, s3, s2
	v_dual_cndmask_b32 v18, v18, v20 :: v_dual_cndmask_b32 v17, v17, v19
	s_delay_alu instid0(VALU_DEP_1) | instskip(NEXT) | instid1(VALU_DEP_2)
	v_mov_b32_dpp v19, v18 quad_perm:[2,3,0,1] row_mask:0xf bank_mask:0xf
	v_mov_b32_dpp v20, v17 quad_perm:[2,3,0,1] row_mask:0xf bank_mask:0xf
	s_delay_alu instid0(VALU_DEP_2) | instskip(NEXT) | instid1(VALU_DEP_2)
	v_cmp_eq_f32_e32 vcc_lo, v18, v19
	v_cmp_lt_i32_e64 s2, v20, v17
	v_cmp_lt_f32_e64 s3, v18, v19
	s_delay_alu instid0(VALU_DEP_2)
	s_and_b32 s2, vcc_lo, s2
	s_delay_alu instid0(VALU_DEP_1) | instid1(SALU_CYCLE_1)
	s_or_b32 vcc_lo, s3, s2
	v_dual_cndmask_b32 v18, v18, v19 :: v_dual_cndmask_b32 v17, v17, v20
	s_delay_alu instid0(VALU_DEP_1) | instskip(NEXT) | instid1(VALU_DEP_2)
	v_mov_b32_dpp v19, v18 row_xmask:7 row_mask:0xf bank_mask:0xf
	v_mov_b32_dpp v20, v17 row_xmask:7 row_mask:0xf bank_mask:0xf
	s_delay_alu instid0(VALU_DEP_2) | instskip(NEXT) | instid1(VALU_DEP_2)
	v_cmp_eq_f32_e32 vcc_lo, v18, v19
	v_cmp_lt_i32_e64 s2, v20, v17
	v_cmp_lt_f32_e64 s3, v18, v19
	s_delay_alu instid0(VALU_DEP_2)
	s_and_b32 s2, vcc_lo, s2
	s_delay_alu instid0(VALU_DEP_1) | instid1(SALU_CYCLE_1)
	s_or_b32 vcc_lo, s3, s2
	v_dual_cndmask_b32 v18, v18, v19 :: v_dual_cndmask_b32 v17, v17, v20
	s_delay_alu instid0(VALU_DEP_1) | instskip(NEXT) | instid1(VALU_DEP_2)
	v_mov_b32_dpp v19, v18 row_xmask:15 row_mask:0xf bank_mask:0xf
	v_mov_b32_dpp v20, v17 row_xmask:15 row_mask:0xf bank_mask:0xf
	s_delay_alu instid0(VALU_DEP_2) | instskip(NEXT) | instid1(VALU_DEP_2)
	v_cmp_eq_f32_e32 vcc_lo, v18, v19
	v_cmp_lt_i32_e64 s2, v20, v17
	v_cmp_lt_f32_e64 s3, v18, v19
	s_delay_alu instid0(VALU_DEP_2)
	s_and_b32 s2, vcc_lo, s2
	s_delay_alu instid0(VALU_DEP_1) | instid1(SALU_CYCLE_1)
	s_or_b32 vcc_lo, s3, s2
	s_mov_b32 s2, 0x76543210
	v_dual_cndmask_b32 v19, v18, v19 :: v_dual_cndmask_b32 v18, v17, v20
	s_delay_alu instid0(VALU_DEP_1) | instskip(NEXT) | instid1(VALU_DEP_2)
	v_permlanex16_b32 v17, v19, s2, 0xfedcba98 op_sel:[1,1]
	v_permlanex16_b32 v20, v18, s2, 0xfedcba98 op_sel:[1,1]
	s_delay_alu instid0(VALU_DEP_2) | instskip(NEXT) | instid1(VALU_DEP_2)
	v_cmp_eq_f32_e32 vcc_lo, v19, v17
	v_cmp_lt_i32_e64 s2, v20, v18
	v_cmp_lt_f32_e64 s3, v19, v17
	s_delay_alu instid0(VALU_DEP_2) | instskip(SKIP_1) | instid1(VALU_DEP_2)
	s_and_b32 s2, vcc_lo, s2
	v_cmp_eq_u32_e32 vcc_lo, 0, v24
	s_or_b32 s2, s3, s2
	s_waitcnt lgkmcnt(0)
	s_cmp_gt_i32 s4, 0
	v_cndmask_b32_e64 v25, v19, v17, s2
	s_cselect_b32 s3, -1, 0
	s_cmp_lt_i32 s4, 1
	s_cbranch_scc1 .LBB98_18
; %bb.7:
	s_load_b128 s[8:11], s[0:1], 0x20
	v_mul_lo_u32 v17, v23, s7
	v_mul_lo_u32 v19, v23, s14
	;; [unrolled: 1-line block ×3, first 2 shown]
	v_cndmask_b32_e64 v43, v18, v20, s2
	v_mov_b32_e32 v22, 0
	s_and_saveexec_b32 s2, vcc_lo
	s_cbranch_execz .LBB98_9
; %bb.8:
	v_sub_f32_e32 v50, v25, v25
	v_cmp_le_i32_e64 s0, s5, v43
	v_cmp_gt_i32_e64 s1, s6, v43
	v_subrev_nc_u32_e32 v51, s5, v43
	v_ashrrev_i32_e32 v22, 31, v21
	v_mul_f32_e32 v18, 0x3fb8aa3b, v50
	s_delay_alu instid0(VALU_DEP_4) | instskip(NEXT) | instid1(SALU_CYCLE_1)
	s_and_b32 s0, s0, s1
	s_and_b32 s0, s17, s0
	s_delay_alu instid0(VALU_DEP_1) | instskip(SKIP_2) | instid1(VALU_DEP_3)
	v_rndne_f32_e32 v46, v18
	v_fma_f32 v20, 0x3fb8aa3b, v50, -v18
	v_lshlrev_b64 v[48:49], 2, v[21:22]
	v_sub_f32_e32 v18, v18, v46
	s_delay_alu instid0(VALU_DEP_3) | instskip(NEXT) | instid1(VALU_DEP_1)
	v_fmamk_f32 v20, v50, 0x32a5705f, v20
	v_add_f32_e32 v20, v18, v20
	v_ashrrev_i32_e32 v18, 31, v17
	s_delay_alu instid0(VALU_DEP_2) | instskip(NEXT) | instid1(VALU_DEP_1)
	v_exp_f32_e32 v52, v20
	v_lshlrev_b64 v[44:45], 2, v[17:18]
	v_ashrrev_i32_e32 v20, 31, v19
	v_cvt_i32_f32_e32 v18, v46
	s_delay_alu instid0(VALU_DEP_2) | instskip(SKIP_2) | instid1(VALU_DEP_1)
	v_lshlrev_b64 v[46:47], 2, v[19:20]
	v_cndmask_b32_e64 v20, 0x200, v51, s0
	v_add_co_u32 v44, s0, s12, v44
	v_add_co_ci_u32_e64 v45, s0, s13, v45, s0
	s_delay_alu instid0(TRANS32_DEP_1) | instskip(SKIP_1) | instid1(VALU_DEP_1)
	v_ldexp_f32 v18, v52, v18
	v_cmp_ngt_f32_e64 s0, 0xc2ce8ed0, v50
	v_cndmask_b32_e64 v18, 0, v18, s0
	s_waitcnt lgkmcnt(0)
	v_add_co_u32 v46, s0, s8, v46
	s_delay_alu instid0(VALU_DEP_1) | instskip(SKIP_1) | instid1(VALU_DEP_1)
	v_add_co_ci_u32_e64 v47, s0, s9, v47, s0
	v_cmp_nlt_f32_e64 s0, 0x42b17218, v50
	v_cndmask_b32_e64 v22, 0x7f800000, v18, s0
	v_add_co_u32 v48, s0, s10, v48
	s_delay_alu instid0(VALU_DEP_1)
	v_add_co_ci_u32_e64 v49, s0, s11, v49, s0
	global_store_b32 v[46:47], v20, off
	global_store_b32 v[44:45], v22, off
	;; [unrolled: 1-line block ×3, first 2 shown]
.LBB98_9:
	s_or_b32 exec_lo, exec_lo, s2
	v_ashrrev_i32_e32 v20, 31, v43
	s_mov_b32 s1, exec_lo
	s_delay_alu instid0(VALU_DEP_1) | instskip(NEXT) | instid1(VALU_DEP_1)
	v_lshrrev_b32_e32 v18, 28, v20
	v_add_nc_u32_e32 v18, v43, v18
	s_delay_alu instid0(VALU_DEP_1) | instskip(NEXT) | instid1(VALU_DEP_1)
	v_ashrrev_i32_e32 v18, 4, v18
	v_lshrrev_b32_e32 v44, 27, v18
	s_delay_alu instid0(VALU_DEP_1) | instskip(NEXT) | instid1(VALU_DEP_1)
	v_add_nc_u32_e32 v44, v18, v44
	v_and_b32_e32 v44, 0xffffffe0, v44
	s_delay_alu instid0(VALU_DEP_1) | instskip(NEXT) | instid1(VALU_DEP_1)
	v_sub_nc_u32_e32 v44, v18, v44
	v_cmpx_eq_u32_e64 v24, v44
	s_cbranch_execz .LBB98_11
; %bb.10:
	v_lshrrev_b32_e32 v20, 23, v20
	v_lshlrev_b32_e32 v18, 4, v18
	s_delay_alu instid0(VALU_DEP_2) | instskip(NEXT) | instid1(VALU_DEP_2)
	v_add_nc_u32_e32 v20, v43, v20
	v_sub_nc_u32_e32 v18, v43, v18
	s_delay_alu instid0(VALU_DEP_2) | instskip(NEXT) | instid1(VALU_DEP_1)
	v_ashrrev_i32_e32 v20, 9, v20
	v_lshl_add_u32 v18, v20, 4, v18
	s_delay_alu instid0(VALU_DEP_1) | instskip(NEXT) | instid1(VALU_DEP_1)
	v_cmp_ne_u32_e64 s0, 15, v18
	v_cndmask_b32_e64 v3, 0xff800000, v3, s0
	v_cmp_ne_u32_e64 s0, 14, v18
	s_delay_alu instid0(VALU_DEP_1) | instskip(SKIP_1) | instid1(VALU_DEP_1)
	v_cndmask_b32_e64 v2, 0xff800000, v2, s0
	v_cmp_ne_u32_e64 s0, 13, v18
	v_cndmask_b32_e64 v1, 0xff800000, v1, s0
	v_cmp_ne_u32_e64 s0, 12, v18
	s_delay_alu instid0(VALU_DEP_1) | instskip(SKIP_1) | instid1(VALU_DEP_1)
	v_cndmask_b32_e64 v0, 0xff800000, v0, s0
	;; [unrolled: 5-line block ×7, first 2 shown]
	v_cmp_ne_u32_e64 s0, 1, v18
	v_cndmask_b32_e64 v13, 0xff800000, v13, s0
	v_cmp_ne_u32_e64 s0, 0, v18
	s_delay_alu instid0(VALU_DEP_1)
	v_cndmask_b32_e64 v12, 0xff800000, v12, s0
.LBB98_11:
	s_or_b32 exec_lo, exec_lo, s1
	s_cmp_eq_u32 s4, 1
	s_cbranch_scc1 .LBB98_18
; %bb.12:
	v_add_nc_u32_e32 v20, s16, v16
	v_add_nc_u32_e32 v16, 1, v21
	;; [unrolled: 1-line block ×3, first 2 shown]
	s_add_i32 s14, s4, -1
	s_mov_b32 s15, 0x76543210
	v_add3_u32 v42, v20, v42, s18
	v_add_nc_u32_e32 v20, 1, v17
	s_branch .LBB98_14
.LBB98_13:                              ;   in Loop: Header=BB98_14 Depth=1
	s_or_b32 exec_lo, exec_lo, s1
	v_add_nc_u32_e32 v42, s16, v42
	v_add_nc_u32_e32 v16, 1, v16
	;; [unrolled: 1-line block ×4, first 2 shown]
	s_add_i32 s14, s14, -1
	s_delay_alu instid0(SALU_CYCLE_1)
	s_cmp_eq_u32 s14, 0
	s_cbranch_scc1 .LBB98_18
.LBB98_14:                              ; =>This Inner Loop Header: Depth=1
	v_cmp_gt_f32_e64 s0, v13, v12
	s_delay_alu instid0(VALU_DEP_1) | instskip(SKIP_1) | instid1(VALU_DEP_2)
	v_cndmask_b32_e64 v19, v12, v13, s0
	v_cndmask_b32_e64 v17, v26, v27, s0
	v_cmp_gt_f32_e64 s0, v14, v19
	s_delay_alu instid0(VALU_DEP_1) | instskip(NEXT) | instid1(VALU_DEP_3)
	v_cndmask_b32_e64 v19, v19, v14, s0
	v_cndmask_b32_e64 v17, v17, v28, s0
	s_delay_alu instid0(VALU_DEP_2) | instskip(NEXT) | instid1(VALU_DEP_1)
	v_cmp_gt_f32_e64 s0, v15, v19
	v_cndmask_b32_e64 v19, v19, v15, s0
	s_delay_alu instid0(VALU_DEP_3) | instskip(NEXT) | instid1(VALU_DEP_2)
	v_cndmask_b32_e64 v17, v17, v29, s0
	v_cmp_gt_f32_e64 s0, v8, v19
	s_delay_alu instid0(VALU_DEP_1) | instskip(NEXT) | instid1(VALU_DEP_3)
	v_cndmask_b32_e64 v19, v19, v8, s0
	v_cndmask_b32_e64 v17, v17, v30, s0
	s_delay_alu instid0(VALU_DEP_2) | instskip(NEXT) | instid1(VALU_DEP_1)
	v_cmp_gt_f32_e64 s0, v9, v19
	v_cndmask_b32_e64 v19, v19, v9, s0
	s_delay_alu instid0(VALU_DEP_3) | instskip(NEXT) | instid1(VALU_DEP_2)
	;; [unrolled: 9-line block ×6, first 2 shown]
	v_cndmask_b32_e64 v17, v17, v39, s0
	v_cmp_gt_f32_e64 s0, v2, v19
	s_delay_alu instid0(VALU_DEP_1) | instskip(NEXT) | instid1(VALU_DEP_3)
	v_cndmask_b32_e64 v19, v19, v2, s0
	v_cndmask_b32_e64 v17, v17, v40, s0
	s_delay_alu instid0(VALU_DEP_2) | instskip(NEXT) | instid1(VALU_DEP_1)
	v_cmp_gt_f32_e64 s0, v3, v19
	v_cndmask_b32_e64 v17, v17, v41, s0
	v_cndmask_b32_e64 v19, v19, v3, s0
	s_delay_alu instid0(VALU_DEP_2) | instskip(NEXT) | instid1(VALU_DEP_2)
	v_mov_b32_dpp v21, v17 quad_perm:[1,0,3,2] row_mask:0xf bank_mask:0xf
	v_mov_b32_dpp v43, v19 quad_perm:[1,0,3,2] row_mask:0xf bank_mask:0xf
	s_delay_alu instid0(VALU_DEP_2) | instskip(NEXT) | instid1(VALU_DEP_2)
	v_cmp_lt_i32_e64 s0, v21, v17
	v_cmp_eq_f32_e64 s1, v19, v43
	v_cmp_lt_f32_e64 s2, v19, v43
	s_delay_alu instid0(VALU_DEP_2)
	s_and_b32 s0, s1, s0
	s_delay_alu instid0(VALU_DEP_1) | instid1(SALU_CYCLE_1)
	s_or_b32 s0, s2, s0
	s_delay_alu instid0(SALU_CYCLE_1) | instskip(SKIP_1) | instid1(VALU_DEP_2)
	v_cndmask_b32_e64 v19, v19, v43, s0
	v_cndmask_b32_e64 v17, v17, v21, s0
	v_mov_b32_dpp v21, v19 quad_perm:[2,3,0,1] row_mask:0xf bank_mask:0xf
	s_delay_alu instid0(VALU_DEP_2) | instskip(NEXT) | instid1(VALU_DEP_2)
	v_mov_b32_dpp v43, v17 quad_perm:[2,3,0,1] row_mask:0xf bank_mask:0xf
	v_cmp_eq_f32_e64 s0, v19, v21
	s_delay_alu instid0(VALU_DEP_2) | instskip(SKIP_1) | instid1(VALU_DEP_2)
	v_cmp_lt_i32_e64 s1, v43, v17
	v_cmp_lt_f32_e64 s2, v19, v21
	s_and_b32 s0, s0, s1
	s_delay_alu instid0(VALU_DEP_1) | instid1(SALU_CYCLE_1)
	s_or_b32 s0, s2, s0
	s_delay_alu instid0(SALU_CYCLE_1) | instskip(SKIP_1) | instid1(VALU_DEP_2)
	v_cndmask_b32_e64 v19, v19, v21, s0
	v_cndmask_b32_e64 v17, v17, v43, s0
	v_mov_b32_dpp v21, v19 row_xmask:7 row_mask:0xf bank_mask:0xf
	s_delay_alu instid0(VALU_DEP_2) | instskip(NEXT) | instid1(VALU_DEP_2)
	v_mov_b32_dpp v43, v17 row_xmask:7 row_mask:0xf bank_mask:0xf
	v_cmp_eq_f32_e64 s0, v19, v21
	s_delay_alu instid0(VALU_DEP_2) | instskip(SKIP_1) | instid1(VALU_DEP_2)
	v_cmp_lt_i32_e64 s1, v43, v17
	v_cmp_lt_f32_e64 s2, v19, v21
	s_and_b32 s0, s0, s1
	s_delay_alu instid0(VALU_DEP_1) | instid1(SALU_CYCLE_1)
	s_or_b32 s0, s2, s0
	s_delay_alu instid0(SALU_CYCLE_1) | instskip(SKIP_1) | instid1(VALU_DEP_2)
	v_cndmask_b32_e64 v19, v19, v21, s0
	v_cndmask_b32_e64 v21, v17, v43, s0
	v_mov_b32_dpp v17, v19 row_xmask:15 row_mask:0xf bank_mask:0xf
	s_delay_alu instid0(VALU_DEP_2) | instskip(NEXT) | instid1(VALU_DEP_2)
	v_mov_b32_dpp v43, v21 row_xmask:15 row_mask:0xf bank_mask:0xf
	v_cmp_eq_f32_e64 s0, v19, v17
	s_delay_alu instid0(VALU_DEP_2) | instskip(SKIP_1) | instid1(VALU_DEP_2)
	v_cmp_lt_i32_e64 s1, v43, v21
	v_cmp_lt_f32_e64 s2, v19, v17
	s_and_b32 s0, s0, s1
	s_delay_alu instid0(VALU_DEP_1) | instid1(SALU_CYCLE_1)
	s_or_b32 s0, s2, s0
	s_delay_alu instid0(SALU_CYCLE_1) | instskip(SKIP_1) | instid1(VALU_DEP_2)
	v_cndmask_b32_e64 v17, v19, v17, s0
	v_cndmask_b32_e64 v21, v21, v43, s0
	v_permlanex16_b32 v19, v17, s15, 0xfedcba98 op_sel:[1,1]
	s_delay_alu instid0(VALU_DEP_2) | instskip(NEXT) | instid1(VALU_DEP_2)
	v_permlanex16_b32 v43, v21, s15, 0xfedcba98 op_sel:[1,1]
	v_cmp_eq_f32_e64 s0, v17, v19
	s_delay_alu instid0(VALU_DEP_2) | instskip(SKIP_1) | instid1(VALU_DEP_2)
	v_cmp_lt_i32_e64 s1, v43, v21
	v_cmp_lt_f32_e64 s2, v17, v19
	s_and_b32 s0, s0, s1
	s_delay_alu instid0(VALU_DEP_1) | instid1(SALU_CYCLE_1)
	s_or_b32 s0, s2, s0
	s_delay_alu instid0(SALU_CYCLE_1)
	v_cndmask_b32_e64 v43, v21, v43, s0
	s_and_saveexec_b32 s2, vcc_lo
	s_cbranch_execz .LBB98_16
; %bb.15:                               ;   in Loop: Header=BB98_14 Depth=1
	v_cndmask_b32_e64 v17, v17, v19, s0
	s_delay_alu instid0(VALU_DEP_2) | instskip(SKIP_4) | instid1(VALU_DEP_4)
	v_cmp_le_i32_e64 s0, s5, v43
	v_cmp_gt_i32_e64 s1, s6, v43
	v_ashrrev_i32_e32 v21, 31, v20
	v_subrev_nc_u32_e32 v51, s5, v43
	v_sub_f32_e32 v50, v17, v25
	s_and_b32 s0, s0, s1
	s_delay_alu instid0(SALU_CYCLE_1) | instskip(NEXT) | instid1(VALU_DEP_1)
	s_and_b32 s0, s17, s0
	v_mul_f32_e32 v17, 0x3fb8aa3b, v50
	s_delay_alu instid0(VALU_DEP_1) | instskip(SKIP_1) | instid1(VALU_DEP_2)
	v_fma_f32 v19, 0x3fb8aa3b, v50, -v17
	v_rndne_f32_e32 v44, v17
	v_fmac_f32_e32 v19, 0x32a5705f, v50
	s_delay_alu instid0(VALU_DEP_2) | instskip(SKIP_2) | instid1(VALU_DEP_3)
	v_sub_f32_e32 v17, v17, v44
	v_cvt_i32_f32_e32 v49, v44
	v_lshlrev_b64 v[44:45], 2, v[20:21]
	v_add_f32_e32 v17, v17, v19
	v_ashrrev_i32_e32 v19, 31, v18
	s_delay_alu instid0(VALU_DEP_2) | instskip(SKIP_1) | instid1(VALU_DEP_2)
	v_exp_f32_e32 v48, v17
	v_ashrrev_i32_e32 v17, 31, v16
	v_lshlrev_b64 v[46:47], 2, v[18:19]
	s_waitcnt_depctr 0xfff
	v_ldexp_f32 v19, v48, v49
	v_lshlrev_b64 v[48:49], 2, v[16:17]
	v_cndmask_b32_e64 v17, 0x200, v51, s0
	v_cmp_ngt_f32_e64 s0, 0xc2ce8ed0, v50
	s_delay_alu instid0(VALU_DEP_1) | instskip(SKIP_1) | instid1(VALU_DEP_1)
	v_cndmask_b32_e64 v19, 0, v19, s0
	v_add_co_u32 v44, s0, s12, v44
	v_add_co_ci_u32_e64 v45, s0, s13, v45, s0
	v_cmp_nlt_f32_e64 s0, 0x42b17218, v50
	s_delay_alu instid0(VALU_DEP_1) | instskip(SKIP_2) | instid1(VALU_DEP_1)
	v_cndmask_b32_e64 v19, 0x7f800000, v19, s0
	s_waitcnt lgkmcnt(0)
	v_add_co_u32 v46, s0, s8, v46
	v_add_co_ci_u32_e64 v47, s0, s9, v47, s0
	s_delay_alu instid0(VALU_DEP_3) | instskip(SKIP_1) | instid1(VALU_DEP_1)
	v_add_f32_e32 v22, v22, v19
	v_add_co_u32 v48, s0, s10, v48
	v_add_co_ci_u32_e64 v49, s0, s11, v49, s0
	global_store_b32 v[44:45], v19, off
	global_store_b32 v[46:47], v17, off
	;; [unrolled: 1-line block ×3, first 2 shown]
.LBB98_16:                              ;   in Loop: Header=BB98_14 Depth=1
	s_or_b32 exec_lo, exec_lo, s2
	s_delay_alu instid0(VALU_DEP_1) | instskip(SKIP_1) | instid1(VALU_DEP_1)
	v_ashrrev_i32_e32 v19, 31, v43
	s_mov_b32 s1, exec_lo
	v_lshrrev_b32_e32 v17, 28, v19
	s_delay_alu instid0(VALU_DEP_1) | instskip(NEXT) | instid1(VALU_DEP_1)
	v_add_nc_u32_e32 v17, v43, v17
	v_ashrrev_i32_e32 v17, 4, v17
	s_delay_alu instid0(VALU_DEP_1) | instskip(NEXT) | instid1(VALU_DEP_1)
	v_lshrrev_b32_e32 v21, 27, v17
	v_add_nc_u32_e32 v21, v17, v21
	s_delay_alu instid0(VALU_DEP_1) | instskip(NEXT) | instid1(VALU_DEP_1)
	v_and_b32_e32 v21, 0xffffffe0, v21
	v_sub_nc_u32_e32 v21, v17, v21
	s_delay_alu instid0(VALU_DEP_1)
	v_cmpx_eq_u32_e64 v24, v21
	s_cbranch_execz .LBB98_13
; %bb.17:                               ;   in Loop: Header=BB98_14 Depth=1
	v_lshrrev_b32_e32 v19, 23, v19
	v_lshlrev_b32_e32 v17, 4, v17
	s_delay_alu instid0(VALU_DEP_2) | instskip(NEXT) | instid1(VALU_DEP_2)
	v_add_nc_u32_e32 v19, v43, v19
	v_sub_nc_u32_e32 v17, v43, v17
	s_delay_alu instid0(VALU_DEP_2) | instskip(NEXT) | instid1(VALU_DEP_1)
	v_ashrrev_i32_e32 v19, 9, v19
	v_lshl_add_u32 v17, v19, 4, v17
	s_delay_alu instid0(VALU_DEP_1) | instskip(NEXT) | instid1(VALU_DEP_1)
	v_cmp_ne_u32_e64 s0, 15, v17
	v_cndmask_b32_e64 v3, 0xff800000, v3, s0
	v_cmp_ne_u32_e64 s0, 14, v17
	s_delay_alu instid0(VALU_DEP_1) | instskip(SKIP_1) | instid1(VALU_DEP_1)
	v_cndmask_b32_e64 v2, 0xff800000, v2, s0
	v_cmp_ne_u32_e64 s0, 13, v17
	v_cndmask_b32_e64 v1, 0xff800000, v1, s0
	v_cmp_ne_u32_e64 s0, 12, v17
	s_delay_alu instid0(VALU_DEP_1) | instskip(SKIP_1) | instid1(VALU_DEP_1)
	v_cndmask_b32_e64 v0, 0xff800000, v0, s0
	;; [unrolled: 5-line block ×7, first 2 shown]
	v_cmp_ne_u32_e64 s0, 1, v17
	v_cndmask_b32_e64 v13, 0xff800000, v13, s0
	v_cmp_ne_u32_e64 s0, 0, v17
	s_delay_alu instid0(VALU_DEP_1)
	v_cndmask_b32_e64 v12, 0xff800000, v12, s0
	s_branch .LBB98_13
.LBB98_18:
	s_delay_alu instid0(VALU_DEP_1) | instskip(SKIP_3) | instid1(VALU_DEP_4)
	v_sub_f32_e32 v15, v15, v25
	v_sub_f32_e32 v12, v12, v25
	;; [unrolled: 1-line block ×4, first 2 shown]
	v_dual_sub_f32 v2, v2, v25 :: v_dual_mul_f32 v27, 0x3fb8aa3b, v15
	s_delay_alu instid0(VALU_DEP_4) | instskip(SKIP_2) | instid1(VALU_DEP_4)
	v_dual_sub_f32 v13, v13, v25 :: v_dual_mul_f32 v16, 0x3fb8aa3b, v12
	v_cmp_ngt_f32_e32 vcc_lo, 0xc2ce8ed0, v12
	v_sub_f32_e32 v9, v9, v25
	v_rndne_f32_e32 v30, v27
	s_delay_alu instid0(VALU_DEP_4)
	v_mul_f32_e32 v17, 0x3fb8aa3b, v13
	v_fma_f32 v18, 0x3fb8aa3b, v12, -v16
	v_rndne_f32_e32 v19, v16
	v_sub_f32_e32 v11, v11, v25
	v_sub_f32_e32 v5, v5, v25
	v_rndne_f32_e32 v21, v17
	v_fmac_f32_e32 v18, 0x32a5705f, v12
	v_sub_f32_e32 v16, v16, v19
	v_fma_f32 v29, 0x3fb8aa3b, v15, -v27
	v_sub_f32_e32 v8, v8, v25
	v_fma_f32 v20, 0x3fb8aa3b, v13, -v17
	v_sub_f32_e32 v17, v17, v21
	v_cvt_i32_f32_e32 v19, v19
	v_dual_fmac_f32 v29, 0x32a5705f, v15 :: v_dual_add_f32 v16, v16, v18
	s_delay_alu instid0(VALU_DEP_4)
	v_fmac_f32_e32 v20, 0x32a5705f, v13
	v_cvt_i32_f32_e32 v21, v21
	v_sub_f32_e32 v4, v4, v25
	v_sub_f32_e32 v7, v7, v25
	v_exp_f32_e32 v16, v16
	v_sub_f32_e32 v1, v1, v25
	s_waitcnt_depctr 0xfff
	v_ldexp_f32 v16, v16, v19
	v_dual_sub_f32 v19, v27, v30 :: v_dual_sub_f32 v14, v14, v25
	v_add_f32_e32 v17, v17, v20
	s_delay_alu instid0(VALU_DEP_3) | instskip(SKIP_1) | instid1(VALU_DEP_4)
	v_cndmask_b32_e32 v16, 0, v16, vcc_lo
	v_cmp_ngt_f32_e32 vcc_lo, 0xc2ce8ed0, v13
	v_mul_f32_e32 v26, 0x3fb8aa3b, v14
	s_delay_alu instid0(VALU_DEP_4) | instskip(SKIP_1) | instid1(VALU_DEP_2)
	v_exp_f32_e32 v17, v17
	v_add_f32_e32 v19, v19, v29
	v_fma_f32 v18, 0x3fb8aa3b, v14, -v26
	v_rndne_f32_e32 v20, v26
	s_delay_alu instid0(VALU_DEP_3) | instskip(SKIP_2) | instid1(VALU_DEP_1)
	v_exp_f32_e32 v19, v19
	s_waitcnt_depctr 0xfff
	v_ldexp_f32 v17, v17, v21
	v_dual_mul_f32 v28, 0x3fb8aa3b, v8 :: v_dual_cndmask_b32 v17, 0, v17
	v_cmp_nlt_f32_e32 vcc_lo, 0x42b17218, v12
	v_cndmask_b32_e32 v12, 0x7f800000, v16, vcc_lo
	v_cmp_nlt_f32_e32 vcc_lo, 0x42b17218, v13
	v_sub_f32_e32 v26, v26, v20
	v_cvt_i32_f32_e32 v20, v20
	v_fma_f32 v16, 0x3fb8aa3b, v8, -v28
	v_cndmask_b32_e32 v13, 0x7f800000, v17, vcc_lo
	v_cmp_ngt_f32_e32 vcc_lo, 0xc2ce8ed0, v14
	v_fmac_f32_e32 v18, 0x32a5705f, v14
	s_delay_alu instid0(VALU_DEP_3) | instskip(NEXT) | instid1(VALU_DEP_2)
	v_add_f32_e32 v12, v12, v13
	v_add_f32_e32 v18, v26, v18
	s_delay_alu instid0(VALU_DEP_1) | instskip(SKIP_3) | instid1(VALU_DEP_2)
	v_exp_f32_e32 v18, v18
	s_waitcnt_depctr 0xfff
	v_ldexp_f32 v17, v18, v20
	v_rndne_f32_e32 v18, v28
	v_cndmask_b32_e32 v13, 0, v17, vcc_lo
	v_cvt_i32_f32_e32 v17, v30
	v_cmp_nlt_f32_e32 vcc_lo, 0x42b17218, v14
	s_delay_alu instid0(VALU_DEP_4) | instskip(NEXT) | instid1(VALU_DEP_3)
	v_sub_f32_e32 v20, v28, v18
	v_ldexp_f32 v14, v19, v17
	v_cndmask_b32_e32 v13, 0x7f800000, v13, vcc_lo
	v_cmp_ngt_f32_e32 vcc_lo, 0xc2ce8ed0, v15
	v_mul_f32_e32 v17, 0x3fb8aa3b, v9
	s_delay_alu instid0(VALU_DEP_3) | instskip(SKIP_1) | instid1(VALU_DEP_3)
	v_dual_add_f32 v12, v12, v13 :: v_dual_cndmask_b32 v13, 0, v14
	v_cmp_nlt_f32_e32 vcc_lo, 0x42b17218, v15
	v_rndne_f32_e32 v19, v17
	v_cvt_i32_f32_e32 v15, v18
	v_mul_f32_e32 v18, 0x3fb8aa3b, v10
	v_cndmask_b32_e32 v13, 0x7f800000, v13, vcc_lo
	v_cmp_ngt_f32_e32 vcc_lo, 0xc2ce8ed0, v8
	v_fmac_f32_e32 v16, 0x32a5705f, v8
	s_delay_alu instid0(VALU_DEP_3) | instskip(NEXT) | instid1(VALU_DEP_2)
	v_add_f32_e32 v12, v12, v13
	v_add_f32_e32 v16, v20, v16
	s_delay_alu instid0(VALU_DEP_1) | instskip(SKIP_1) | instid1(VALU_DEP_1)
	v_exp_f32_e32 v14, v16
	v_fma_f32 v16, 0x3fb8aa3b, v9, -v17
	v_dual_sub_f32 v17, v17, v19 :: v_dual_fmac_f32 v16, 0x32a5705f, v9
	s_waitcnt_depctr 0xfff
	v_ldexp_f32 v13, v14, v15
	v_add_f32_e32 v14, v17, v16
	v_fma_f32 v15, 0x3fb8aa3b, v10, -v18
	v_rndne_f32_e32 v16, v18
	s_delay_alu instid0(VALU_DEP_4) | instskip(NEXT) | instid1(VALU_DEP_4)
	v_cndmask_b32_e32 v13, 0, v13, vcc_lo
	v_exp_f32_e32 v14, v14
	s_delay_alu instid0(VALU_DEP_3) | instskip(NEXT) | instid1(VALU_DEP_3)
	v_fmac_f32_e32 v15, 0x32a5705f, v10
	v_sub_f32_e32 v17, v18, v16
	v_cmp_nlt_f32_e32 vcc_lo, 0x42b17218, v8
	v_cvt_i32_f32_e32 v16, v16
	s_delay_alu instid0(VALU_DEP_3) | instskip(SKIP_3) | instid1(VALU_DEP_4)
	v_dual_add_f32 v15, v17, v15 :: v_dual_cndmask_b32 v8, 0x7f800000, v13
	v_cvt_i32_f32_e32 v13, v19
	v_mul_f32_e32 v17, 0x3fb8aa3b, v11
	v_cmp_ngt_f32_e32 vcc_lo, 0xc2ce8ed0, v9
	v_add_f32_e32 v8, v12, v8
	s_delay_alu instid0(VALU_DEP_4) | instskip(SKIP_3) | instid1(VALU_DEP_3)
	v_ldexp_f32 v12, v14, v13
	v_exp_f32_e32 v13, v15
	v_fma_f32 v14, 0x3fb8aa3b, v11, -v17
	v_rndne_f32_e32 v15, v17
	v_cndmask_b32_e32 v12, 0, v12, vcc_lo
	v_cmp_nlt_f32_e32 vcc_lo, 0x42b17218, v9
	s_delay_alu instid0(VALU_DEP_3) | instskip(NEXT) | instid1(VALU_DEP_3)
	v_sub_f32_e32 v17, v17, v15
	v_cndmask_b32_e32 v9, 0x7f800000, v12, vcc_lo
	s_delay_alu instid0(TRANS32_DEP_1) | instskip(SKIP_3) | instid1(VALU_DEP_4)
	v_ldexp_f32 v12, v13, v16
	v_cmp_ngt_f32_e32 vcc_lo, 0xc2ce8ed0, v10
	v_fmac_f32_e32 v14, 0x32a5705f, v11
	v_mul_f32_e32 v16, 0x3fb8aa3b, v5
	v_dual_add_f32 v8, v8, v9 :: v_dual_cndmask_b32 v9, 0, v12
	s_delay_alu instid0(VALU_DEP_3) | instskip(SKIP_3) | instid1(VALU_DEP_4)
	v_add_f32_e32 v13, v17, v14
	v_cmp_nlt_f32_e32 vcc_lo, 0x42b17218, v10
	v_cvt_i32_f32_e32 v10, v15
	v_mul_f32_e32 v17, 0x3fb8aa3b, v7
	v_exp_f32_e32 v12, v13
	v_mul_f32_e32 v13, 0x3fb8aa3b, v4
	s_delay_alu instid0(VALU_DEP_1) | instskip(SKIP_3) | instid1(VALU_DEP_4)
	v_fma_f32 v14, 0x3fb8aa3b, v4, -v13
	v_rndne_f32_e32 v15, v13
	v_cndmask_b32_e32 v9, 0x7f800000, v9, vcc_lo
	v_cmp_ngt_f32_e32 vcc_lo, 0xc2ce8ed0, v11
	v_fmac_f32_e32 v14, 0x32a5705f, v4
	s_delay_alu instid0(VALU_DEP_3) | instskip(NEXT) | instid1(TRANS32_DEP_1)
	v_add_f32_e32 v8, v8, v9
	v_ldexp_f32 v9, v12, v10
	v_sub_f32_e32 v10, v13, v15
	v_fma_f32 v12, 0x3fb8aa3b, v5, -v16
	v_rndne_f32_e32 v13, v16
	v_cvt_i32_f32_e32 v15, v15
	v_cndmask_b32_e32 v9, 0, v9, vcc_lo
	v_cmp_nlt_f32_e32 vcc_lo, 0x42b17218, v11
	v_add_f32_e32 v10, v10, v14
	v_fmac_f32_e32 v12, 0x32a5705f, v5
	v_sub_f32_e32 v14, v16, v13
	v_cndmask_b32_e32 v9, 0x7f800000, v9, vcc_lo
	s_delay_alu instid0(VALU_DEP_4) | instskip(SKIP_1) | instid1(VALU_DEP_2)
	v_exp_f32_e32 v10, v10
	v_cmp_ngt_f32_e32 vcc_lo, 0xc2ce8ed0, v4
	v_dual_add_f32 v11, v14, v12 :: v_dual_add_f32 v8, v8, v9
	s_delay_alu instid0(VALU_DEP_1)
	v_exp_f32_e32 v11, v11
	s_waitcnt_depctr 0xfff
	v_ldexp_f32 v9, v10, v15
	v_cvt_i32_f32_e32 v10, v13
	v_fma_f32 v13, 0x3fb8aa3b, v7, -v17
	v_sub_f32_e32 v6, v6, v25
	v_rndne_f32_e32 v15, v17
	v_cndmask_b32_e32 v9, 0, v9, vcc_lo
	v_cmp_nlt_f32_e32 vcc_lo, 0x42b17218, v4
	v_fmac_f32_e32 v13, 0x32a5705f, v7
	v_mul_f32_e32 v16, 0x3fb8aa3b, v6
	v_ldexp_f32 v10, v11, v10
	v_cndmask_b32_e32 v4, 0x7f800000, v9, vcc_lo
	v_cmp_ngt_f32_e32 vcc_lo, 0xc2ce8ed0, v5
	s_delay_alu instid0(VALU_DEP_4) | instskip(SKIP_2) | instid1(VALU_DEP_3)
	v_fma_f32 v12, 0x3fb8aa3b, v6, -v16
	v_rndne_f32_e32 v14, v16
	v_cndmask_b32_e32 v10, 0, v10, vcc_lo
	v_fmac_f32_e32 v12, 0x32a5705f, v6
	s_delay_alu instid0(VALU_DEP_3) | instskip(SKIP_2) | instid1(VALU_DEP_3)
	v_sub_f32_e32 v16, v16, v14
	v_cmp_nlt_f32_e32 vcc_lo, 0x42b17218, v5
	v_cvt_i32_f32_e32 v9, v14
	v_dual_add_f32 v12, v16, v12 :: v_dual_cndmask_b32 v5, 0x7f800000, v10
	v_mul_f32_e32 v10, 0x3fb8aa3b, v2
	v_cmp_ngt_f32_e32 vcc_lo, 0xc2ce8ed0, v6
	s_delay_alu instid0(VALU_DEP_3) | instskip(SKIP_1) | instid1(VALU_DEP_1)
	v_exp_f32_e32 v11, v12
	v_sub_f32_e32 v12, v17, v15
	v_dual_add_f32 v12, v12, v13 :: v_dual_mul_f32 v13, 0x3fb8aa3b, v3
	v_add_f32_e32 v4, v8, v4
	s_waitcnt_depctr 0xfff
	v_ldexp_f32 v8, v11, v9
	v_fma_f32 v11, 0x3fb8aa3b, v2, -v10
	v_rndne_f32_e32 v14, v13
	v_sub_f32_e32 v0, v0, v25
	v_add_f32_e32 v4, v4, v5
	v_cvt_i32_f32_e32 v5, v15
	v_fmac_f32_e32 v11, 0x32a5705f, v2
	v_exp_f32_e32 v9, v12
	v_cndmask_b32_e32 v8, 0, v8, vcc_lo
	v_cmp_nlt_f32_e32 vcc_lo, 0x42b17218, v6
	v_rndne_f32_e32 v12, v10
	s_delay_alu instid0(VALU_DEP_3) | instskip(SKIP_2) | instid1(TRANS32_DEP_1)
	v_cndmask_b32_e32 v6, 0x7f800000, v8, vcc_lo
	v_mul_f32_e32 v8, 0x3fb8aa3b, v0
	v_cmp_ngt_f32_e32 vcc_lo, 0xc2ce8ed0, v7
	v_ldexp_f32 v5, v9, v5
	s_delay_alu instid0(VALU_DEP_4) | instskip(NEXT) | instid1(VALU_DEP_4)
	v_add_f32_e32 v4, v4, v6
	v_fma_f32 v6, 0x3fb8aa3b, v0, -v8
	v_rndne_f32_e32 v9, v8
	s_delay_alu instid0(VALU_DEP_4)
	v_cndmask_b32_e32 v5, 0, v5, vcc_lo
	v_cmp_nlt_f32_e32 vcc_lo, 0x42b17218, v7
	v_mul_f32_e32 v7, 0x3fb8aa3b, v1
	v_fmac_f32_e32 v6, 0x32a5705f, v0
	v_sub_f32_e32 v8, v8, v9
	v_cvt_i32_f32_e32 v9, v9
	s_delay_alu instid0(VALU_DEP_2) | instskip(SKIP_1) | instid1(VALU_DEP_2)
	v_dual_cndmask_b32 v5, 0x7f800000, v5 :: v_dual_add_f32 v6, v8, v6
	v_rndne_f32_e32 v8, v7
	v_add_f32_e32 v4, v4, v5
	v_fma_f32 v5, 0x3fb8aa3b, v1, -v7
	s_delay_alu instid0(VALU_DEP_4) | instskip(NEXT) | instid1(VALU_DEP_3)
	v_exp_f32_e32 v6, v6
	v_sub_f32_e32 v7, v7, v8
	v_cvt_i32_f32_e32 v8, v8
	s_delay_alu instid0(VALU_DEP_3) | instskip(NEXT) | instid1(VALU_DEP_1)
	v_fmac_f32_e32 v5, 0x32a5705f, v1
	v_add_f32_e32 v5, v7, v5
	v_sub_f32_e32 v7, v10, v12
	s_waitcnt_depctr 0xfff
	v_ldexp_f32 v6, v6, v9
	v_sub_f32_e32 v9, v13, v14
	v_cmp_ngt_f32_e32 vcc_lo, 0xc2ce8ed0, v0
	v_exp_f32_e32 v5, v5
	s_delay_alu instid0(VALU_DEP_3) | instskip(SKIP_2) | instid1(VALU_DEP_3)
	v_dual_add_f32 v7, v7, v11 :: v_dual_cndmask_b32 v6, 0, v6
	v_fma_f32 v10, 0x3fb8aa3b, v3, -v13
	v_cmp_nlt_f32_e32 vcc_lo, 0x42b17218, v0
	v_exp_f32_e32 v7, v7
	s_delay_alu instid0(VALU_DEP_2)
	v_fmac_f32_e32 v10, 0x32a5705f, v3
	s_waitcnt_depctr 0xfff
	v_ldexp_f32 v5, v5, v8
	v_cndmask_b32_e32 v0, 0x7f800000, v6, vcc_lo
	v_cmp_ngt_f32_e32 vcc_lo, 0xc2ce8ed0, v1
	v_cvt_i32_f32_e32 v6, v12
	s_delay_alu instid0(VALU_DEP_3) | instskip(SKIP_2) | instid1(VALU_DEP_3)
	v_dual_add_f32 v9, v9, v10 :: v_dual_add_f32 v0, v4, v0
	v_cndmask_b32_e32 v5, 0, v5, vcc_lo
	v_cmp_nlt_f32_e32 vcc_lo, 0x42b17218, v1
	v_exp_f32_e32 v8, v9
	v_ldexp_f32 v4, v7, v6
	v_cvt_i32_f32_e32 v6, v14
	v_cndmask_b32_e32 v1, 0x7f800000, v5, vcc_lo
	v_cmp_ngt_f32_e32 vcc_lo, 0xc2ce8ed0, v2
	s_delay_alu instid0(VALU_DEP_2) | instskip(SKIP_2) | instid1(TRANS32_DEP_1)
	v_add_f32_e32 v0, v0, v1
	v_cndmask_b32_e32 v4, 0, v4, vcc_lo
	v_cmp_nlt_f32_e32 vcc_lo, 0x42b17218, v2
	v_ldexp_f32 v5, v8, v6
	s_delay_alu instid0(VALU_DEP_3) | instskip(SKIP_1) | instid1(VALU_DEP_2)
	v_cndmask_b32_e32 v1, 0x7f800000, v4, vcc_lo
	v_cmp_ngt_f32_e32 vcc_lo, 0xc2ce8ed0, v3
	v_add_f32_e32 v0, v0, v1
	s_delay_alu instid0(VALU_DEP_4) | instskip(SKIP_1) | instid1(VALU_DEP_2)
	v_cndmask_b32_e32 v2, 0, v5, vcc_lo
	v_cmp_nlt_f32_e32 vcc_lo, 0x42b17218, v3
	v_cndmask_b32_e32 v1, 0x7f800000, v2, vcc_lo
	v_cmp_eq_u32_e32 vcc_lo, 0, v24
	s_delay_alu instid0(VALU_DEP_2) | instskip(NEXT) | instid1(VALU_DEP_1)
	v_add_f32_e32 v0, v0, v1
	v_mov_b32_dpp v1, v0 quad_perm:[1,0,3,2] row_mask:0xf bank_mask:0xf
	s_delay_alu instid0(VALU_DEP_1) | instskip(NEXT) | instid1(VALU_DEP_1)
	v_add_f32_e32 v0, v0, v1
	v_mov_b32_dpp v1, v0 quad_perm:[2,3,0,1] row_mask:0xf bank_mask:0xf
	s_delay_alu instid0(VALU_DEP_1) | instskip(NEXT) | instid1(VALU_DEP_1)
	v_add_f32_e32 v0, v0, v1
	v_mov_b32_dpp v1, v0 row_xmask:7 row_mask:0xf bank_mask:0xf
	s_delay_alu instid0(VALU_DEP_1) | instskip(NEXT) | instid1(VALU_DEP_1)
	v_add_f32_e32 v0, v0, v1
	v_mov_b32_dpp v1, v0 row_xmask:15 row_mask:0xf bank_mask:0xf
	s_and_b32 exec_lo, exec_lo, vcc_lo
	s_cbranch_execz .LBB98_23
; %bb.19:
	s_delay_alu instid0(VALU_DEP_1)
	v_add_f32_e32 v0, v0, v1
	s_mov_b32 s0, 0x76543210
	s_delay_alu instid0(VALU_DEP_1) | instid1(SALU_CYCLE_1)
	v_permlanex16_b32 v1, v0, s0, 0xfedcba98 op_sel:[1,1]
	s_delay_alu instid0(VALU_DEP_1) | instskip(NEXT) | instid1(VALU_DEP_1)
	v_add_f32_e32 v0, v0, v1
	v_add_f32_e32 v0, v22, v0
	s_delay_alu instid0(VALU_DEP_1)
	v_cmp_neq_f32_e32 vcc_lo, 0, v0
	s_and_b32 exec_lo, exec_lo, vcc_lo
	s_cbranch_execz .LBB98_23
; %bb.20:
	s_and_not1_b32 vcc_lo, exec_lo, s3
	s_cbranch_vccnz .LBB98_23
; %bb.21:
	v_div_scale_f32 v2, null, v0, v0, 1.0
	v_div_scale_f32 v4, vcc_lo, 1.0, v0, 1.0
	s_delay_alu instid0(VALU_DEP_2) | instskip(SKIP_2) | instid1(VALU_DEP_1)
	v_rcp_f32_e32 v3, v2
	s_waitcnt_depctr 0xfff
	v_fma_f32 v1, -v2, v3, 1.0
	v_fmac_f32_e32 v3, v1, v3
	v_mul_lo_u32 v1, v23, s7
	s_delay_alu instid0(VALU_DEP_2) | instskip(NEXT) | instid1(VALU_DEP_1)
	v_mul_f32_e32 v5, v4, v3
	v_fma_f32 v6, -v2, v5, v4
	s_delay_alu instid0(VALU_DEP_1) | instskip(NEXT) | instid1(VALU_DEP_1)
	v_fmac_f32_e32 v5, v6, v3
	v_fma_f32 v4, -v2, v5, v4
	v_ashrrev_i32_e32 v2, 31, v1
	s_delay_alu instid0(VALU_DEP_2) | instskip(NEXT) | instid1(VALU_DEP_2)
	v_div_fmas_f32 v5, v4, v3, v5
	v_lshlrev_b64 v[3:4], 2, v[1:2]
	s_delay_alu instid0(VALU_DEP_2) | instskip(NEXT) | instid1(VALU_DEP_2)
	v_div_fixup_f32 v2, v5, v0, 1.0
	v_add_co_u32 v0, vcc_lo, s12, v3
	s_delay_alu instid0(VALU_DEP_3)
	v_add_co_ci_u32_e32 v1, vcc_lo, s13, v4, vcc_lo
.LBB98_22:                              ; =>This Inner Loop Header: Depth=1
	global_load_b32 v3, v[0:1], off
	s_add_i32 s4, s4, -1
	s_delay_alu instid0(SALU_CYCLE_1)
	s_cmp_lg_u32 s4, 0
	s_waitcnt vmcnt(0)
	v_mul_f32_e32 v3, v2, v3
	global_store_b32 v[0:1], v3, off
	v_add_co_u32 v0, vcc_lo, v0, 4
	v_add_co_ci_u32_e32 v1, vcc_lo, 0, v1, vcc_lo
	s_cbranch_scc1 .LBB98_22
.LBB98_23:
	s_nop 0
	s_sendmsg sendmsg(MSG_DEALLOC_VGPRS)
	s_endpgm
	.section	.rodata,"a",@progbits
	.p2align	6, 0x0
	.amdhsa_kernel _ZN4vllm3moe17topkGatingSoftmaxIfLi16ELi512ELi2ELi64ELb0ELi4ELNS0_23SharedExpertScoringFuncE1EEEvPKT_PKbPfiPiS9_iiiiii
		.amdhsa_group_segment_fixed_size 0
		.amdhsa_private_segment_fixed_size 0
		.amdhsa_kernarg_size 72
		.amdhsa_user_sgpr_count 15
		.amdhsa_user_sgpr_dispatch_ptr 0
		.amdhsa_user_sgpr_queue_ptr 0
		.amdhsa_user_sgpr_kernarg_segment_ptr 1
		.amdhsa_user_sgpr_dispatch_id 0
		.amdhsa_user_sgpr_private_segment_size 0
		.amdhsa_wavefront_size32 1
		.amdhsa_uses_dynamic_stack 0
		.amdhsa_enable_private_segment 0
		.amdhsa_system_sgpr_workgroup_id_x 1
		.amdhsa_system_sgpr_workgroup_id_y 0
		.amdhsa_system_sgpr_workgroup_id_z 0
		.amdhsa_system_sgpr_workgroup_info 0
		.amdhsa_system_vgpr_workitem_id 1
		.amdhsa_next_free_vgpr 53
		.amdhsa_next_free_sgpr 19
		.amdhsa_reserve_vcc 1
		.amdhsa_float_round_mode_32 0
		.amdhsa_float_round_mode_16_64 0
		.amdhsa_float_denorm_mode_32 3
		.amdhsa_float_denorm_mode_16_64 3
		.amdhsa_dx10_clamp 1
		.amdhsa_ieee_mode 1
		.amdhsa_fp16_overflow 0
		.amdhsa_workgroup_processor_mode 1
		.amdhsa_memory_ordered 1
		.amdhsa_forward_progress 0
		.amdhsa_shared_vgpr_count 0
		.amdhsa_exception_fp_ieee_invalid_op 0
		.amdhsa_exception_fp_denorm_src 0
		.amdhsa_exception_fp_ieee_div_zero 0
		.amdhsa_exception_fp_ieee_overflow 0
		.amdhsa_exception_fp_ieee_underflow 0
		.amdhsa_exception_fp_ieee_inexact 0
		.amdhsa_exception_int_div_zero 0
	.end_amdhsa_kernel
	.section	.text._ZN4vllm3moe17topkGatingSoftmaxIfLi16ELi512ELi2ELi64ELb0ELi4ELNS0_23SharedExpertScoringFuncE1EEEvPKT_PKbPfiPiS9_iiiiii,"axG",@progbits,_ZN4vllm3moe17topkGatingSoftmaxIfLi16ELi512ELi2ELi64ELb0ELi4ELNS0_23SharedExpertScoringFuncE1EEEvPKT_PKbPfiPiS9_iiiiii,comdat
.Lfunc_end98:
	.size	_ZN4vllm3moe17topkGatingSoftmaxIfLi16ELi512ELi2ELi64ELb0ELi4ELNS0_23SharedExpertScoringFuncE1EEEvPKT_PKbPfiPiS9_iiiiii, .Lfunc_end98-_ZN4vllm3moe17topkGatingSoftmaxIfLi16ELi512ELi2ELi64ELb0ELi4ELNS0_23SharedExpertScoringFuncE1EEEvPKT_PKbPfiPiS9_iiiiii
                                        ; -- End function
	.section	.AMDGPU.csdata,"",@progbits
; Kernel info:
; codeLenInByte = 5792
; NumSgprs: 21
; NumVgprs: 53
; ScratchSize: 0
; MemoryBound: 0
; FloatMode: 240
; IeeeMode: 1
; LDSByteSize: 0 bytes/workgroup (compile time only)
; SGPRBlocks: 2
; VGPRBlocks: 6
; NumSGPRsForWavesPerEU: 21
; NumVGPRsForWavesPerEU: 53
; Occupancy: 16
; WaveLimiterHint : 0
; COMPUTE_PGM_RSRC2:SCRATCH_EN: 0
; COMPUTE_PGM_RSRC2:USER_SGPR: 15
; COMPUTE_PGM_RSRC2:TRAP_HANDLER: 0
; COMPUTE_PGM_RSRC2:TGID_X_EN: 1
; COMPUTE_PGM_RSRC2:TGID_Y_EN: 0
; COMPUTE_PGM_RSRC2:TGID_Z_EN: 0
; COMPUTE_PGM_RSRC2:TIDIG_COMP_CNT: 1
	.section	.text._ZN4vllm3moe17topkGatingSoftmaxIfLi16ELi512ELi2ELi64ELb1ELi8ELNS0_23SharedExpertScoringFuncE1EEEvPKT_PKbPfiPiS9_iiiiii,"axG",@progbits,_ZN4vllm3moe17topkGatingSoftmaxIfLi16ELi512ELi2ELi64ELb1ELi8ELNS0_23SharedExpertScoringFuncE1EEEvPKT_PKbPfiPiS9_iiiiii,comdat
	.protected	_ZN4vllm3moe17topkGatingSoftmaxIfLi16ELi512ELi2ELi64ELb1ELi8ELNS0_23SharedExpertScoringFuncE1EEEvPKT_PKbPfiPiS9_iiiiii ; -- Begin function _ZN4vllm3moe17topkGatingSoftmaxIfLi16ELi512ELi2ELi64ELb1ELi8ELNS0_23SharedExpertScoringFuncE1EEEvPKT_PKbPfiPiS9_iiiiii
	.globl	_ZN4vllm3moe17topkGatingSoftmaxIfLi16ELi512ELi2ELi64ELb1ELi8ELNS0_23SharedExpertScoringFuncE1EEEvPKT_PKbPfiPiS9_iiiiii
	.p2align	8
	.type	_ZN4vllm3moe17topkGatingSoftmaxIfLi16ELi512ELi2ELi64ELb1ELi8ELNS0_23SharedExpertScoringFuncE1EEEvPKT_PKbPfiPiS9_iiiiii,@function
_ZN4vllm3moe17topkGatingSoftmaxIfLi16ELi512ELi2ELi64ELb1ELi8ELNS0_23SharedExpertScoringFuncE1EEEvPKT_PKbPfiPiS9_iiiiii: ; @_ZN4vllm3moe17topkGatingSoftmaxIfLi16ELi512ELi2ELi64ELb1ELi8ELNS0_23SharedExpertScoringFuncE1EEEvPKT_PKbPfiPiS9_iiiiii
; %bb.0:
	s_load_b32 s16, s[0:1], 0x18
	v_and_b32_e32 v1, 0x3ff, v0
	v_bfe_u32 v16, v0, 10, 10
	s_lshl_b32 s18, s15, 1
	s_mov_b32 s2, exec_lo
	s_delay_alu instid0(VALU_DEP_2) | instskip(NEXT) | instid1(VALU_DEP_1)
	v_lshrrev_b32_e32 v41, 5, v1
	v_add3_u32 v23, s18, v16, v41
	s_waitcnt lgkmcnt(0)
	s_delay_alu instid0(VALU_DEP_1)
	v_cmpx_gt_i32_e64 s16, v23
	s_cbranch_execz .LBB99_22
; %bb.1:
	s_clause 0x1
	s_load_b128 s[4:7], s[0:1], 0x0
	s_load_b64 s[12:13], s[0:1], 0x10
	s_waitcnt lgkmcnt(0)
	s_cmp_eq_u64 s[6:7], 0
	s_cbranch_scc1 .LBB99_3
; %bb.2:
	v_ashrrev_i32_e32 v0, 31, v23
	v_add_co_u32 v2, vcc_lo, s6, v23
	s_delay_alu instid0(VALU_DEP_2) | instskip(SKIP_3) | instid1(VALU_DEP_1)
	v_add_co_ci_u32_e32 v3, vcc_lo, s7, v0, vcc_lo
	global_load_u8 v0, v[2:3], off
	s_waitcnt vmcnt(0)
	v_and_b32_e32 v0, 1, v0
	v_cmp_eq_u32_e32 vcc_lo, 1, v0
	s_xor_b32 s2, vcc_lo, -1
	s_delay_alu instid0(SALU_CYCLE_1)
	s_or_not1_b32 s17, s2, exec_lo
	s_branch .LBB99_4
.LBB99_3:
	s_mov_b32 s17, -1
.LBB99_4:
	s_clause 0x1
	s_load_b64 s[14:15], s[0:1], 0x40
	s_load_b128 s[8:11], s[0:1], 0x30
	v_and_b32_e32 v24, 31, v1
	s_mov_b32 s2, exec_lo
	s_delay_alu instid0(VALU_DEP_1) | instskip(SKIP_2) | instid1(VALU_DEP_1)
	v_dual_mov_b32 v22, 0 :: v_dual_lshlrev_b32 v25, 4, v24
	s_waitcnt lgkmcnt(0)
	v_mul_lo_u32 v2, v23, s15
	v_ashrrev_i32_e32 v3, 31, v2
	s_delay_alu instid0(VALU_DEP_1) | instskip(SKIP_1) | instid1(VALU_DEP_2)
	v_lshlrev_b64 v[0:1], 2, v[2:3]
	v_lshlrev_b32_e32 v2, 6, v24
	v_add_co_u32 v17, vcc_lo, s4, v0
	s_delay_alu instid0(VALU_DEP_3) | instskip(NEXT) | instid1(VALU_DEP_2)
	v_add_co_ci_u32_e32 v18, vcc_lo, s5, v1, vcc_lo
	v_add_co_u32 v12, vcc_lo, v17, v2
	s_delay_alu instid0(VALU_DEP_2)
	v_add_co_ci_u32_e32 v13, vcc_lo, 0, v18, vcc_lo
	s_clause 0x3
	global_load_b128 v[0:3], v[12:13], off offset:48
	global_load_b128 v[4:7], v[12:13], off offset:32
	;; [unrolled: 1-line block ×3, first 2 shown]
	global_load_b128 v[12:15], v[12:13], off
	v_cmpx_gt_u32_e32 8, v24
	s_cbranch_execz .LBB99_6
; %bb.5:
	v_lshlrev_b32_e32 v19, 2, v24
	s_delay_alu instid0(VALU_DEP_1)
	v_add_co_u32 v17, vcc_lo, v17, v19
	v_add_co_ci_u32_e32 v18, vcc_lo, 0, v18, vcc_lo
	global_load_b32 v17, v[17:18], off offset:2048
	s_waitcnt vmcnt(0)
	v_mul_f32_e32 v18, 0xbfb8aa3b, v17
	v_cmp_nlt_f32_e32 vcc_lo, 0x42ce8ed0, v17
	s_delay_alu instid0(VALU_DEP_2) | instskip(SKIP_1) | instid1(VALU_DEP_1)
	v_fma_f32 v19, 0xbfb8aa3b, v17, -v18
	v_rndne_f32_e32 v20, v18
	v_dual_fmamk_f32 v19, v17, 0xb2a5705f, v19 :: v_dual_sub_f32 v18, v18, v20
	s_delay_alu instid0(VALU_DEP_1) | instskip(SKIP_1) | instid1(VALU_DEP_2)
	v_add_f32_e32 v18, v18, v19
	v_cvt_i32_f32_e32 v19, v20
	v_exp_f32_e32 v18, v18
	s_waitcnt_depctr 0xfff
	v_ldexp_f32 v18, v18, v19
	s_delay_alu instid0(VALU_DEP_1) | instskip(SKIP_1) | instid1(VALU_DEP_2)
	v_cndmask_b32_e32 v18, 0, v18, vcc_lo
	v_cmp_ngt_f32_e32 vcc_lo, 0xc2b17218, v17
	v_cndmask_b32_e32 v17, 0x7f800000, v18, vcc_lo
	s_delay_alu instid0(VALU_DEP_1) | instskip(NEXT) | instid1(VALU_DEP_1)
	v_add_f32_e32 v19, 1.0, v17
	v_div_scale_f32 v18, null, v19, v19, 1.0
	v_div_scale_f32 v21, vcc_lo, 1.0, v19, 1.0
	s_delay_alu instid0(VALU_DEP_2) | instskip(SKIP_2) | instid1(VALU_DEP_1)
	v_rcp_f32_e32 v20, v18
	s_waitcnt_depctr 0xfff
	v_fma_f32 v17, -v18, v20, 1.0
	v_fmac_f32_e32 v20, v17, v20
	v_mul_lo_u32 v17, v23, s11
	s_delay_alu instid0(VALU_DEP_2) | instskip(NEXT) | instid1(VALU_DEP_2)
	v_mul_f32_e32 v26, v21, v20
	v_add3_u32 v17, v17, s8, v24
	s_delay_alu instid0(VALU_DEP_2) | instskip(NEXT) | instid1(VALU_DEP_1)
	v_fma_f32 v27, -v18, v26, v21
	v_fmac_f32_e32 v26, v27, v20
	s_delay_alu instid0(VALU_DEP_1) | instskip(NEXT) | instid1(VALU_DEP_4)
	v_fma_f32 v21, -v18, v26, v21
	v_ashrrev_i32_e32 v18, 31, v17
	s_delay_alu instid0(VALU_DEP_2) | instskip(NEXT) | instid1(VALU_DEP_2)
	v_div_fmas_f32 v20, v21, v20, v26
	v_lshlrev_b64 v[17:18], 2, v[17:18]
	s_delay_alu instid0(VALU_DEP_2) | instskip(NEXT) | instid1(VALU_DEP_2)
	v_div_fixup_f32 v19, v20, v19, 1.0
	v_add_co_u32 v17, vcc_lo, s12, v17
	s_delay_alu instid0(VALU_DEP_3)
	v_add_co_ci_u32_e32 v18, vcc_lo, s13, v18, vcc_lo
	global_store_b32 v[17:18], v19, off
.LBB99_6:
	s_or_b32 exec_lo, exec_lo, s2
	v_or_b32_e32 v26, 1, v25
	s_waitcnt vmcnt(0)
	v_cmp_lt_f32_e32 vcc_lo, v12, v13
	v_or_b32_e32 v27, 2, v25
	v_or_b32_e32 v28, 3, v25
	;; [unrolled: 1-line block ×4, first 2 shown]
	v_dual_cndmask_b32 v17, v25, v26 :: v_dual_cndmask_b32 v18, v12, v13
	v_or_b32_e32 v31, 6, v25
	v_or_b32_e32 v32, 7, v25
	;; [unrolled: 1-line block ×4, first 2 shown]
	v_cmp_lt_f32_e32 vcc_lo, v18, v14
	v_or_b32_e32 v35, 10, v25
	v_or_b32_e32 v36, 11, v25
	v_or_b32_e32 v37, 12, v25
	v_or_b32_e32 v38, 13, v25
	v_dual_cndmask_b32 v17, v17, v27 :: v_dual_cndmask_b32 v18, v18, v14
	v_or_b32_e32 v39, 14, v25
	v_or_b32_e32 v40, 15, v25
	s_delay_alu instid0(VALU_DEP_3) | instskip(NEXT) | instid1(VALU_DEP_4)
	v_cmp_lt_f32_e32 vcc_lo, v18, v15
	v_dual_cndmask_b32 v17, v17, v28 :: v_dual_cndmask_b32 v18, v18, v15
	s_delay_alu instid0(VALU_DEP_1) | instskip(NEXT) | instid1(VALU_DEP_2)
	v_cmp_lt_f32_e32 vcc_lo, v18, v8
	v_dual_cndmask_b32 v17, v17, v29 :: v_dual_cndmask_b32 v18, v18, v8
	s_delay_alu instid0(VALU_DEP_1) | instskip(NEXT) | instid1(VALU_DEP_2)
	;; [unrolled: 3-line block ×13, first 2 shown]
	v_mov_b32_dpp v19, v17 quad_perm:[1,0,3,2] row_mask:0xf bank_mask:0xf
	v_mov_b32_dpp v20, v18 quad_perm:[1,0,3,2] row_mask:0xf bank_mask:0xf
	s_delay_alu instid0(VALU_DEP_2) | instskip(NEXT) | instid1(VALU_DEP_2)
	v_cmp_lt_i32_e32 vcc_lo, v19, v17
	v_cmp_eq_f32_e64 s2, v18, v20
	v_cmp_lt_f32_e64 s3, v18, v20
	s_delay_alu instid0(VALU_DEP_2)
	s_and_b32 s2, s2, vcc_lo
	s_delay_alu instid0(VALU_DEP_1) | instid1(SALU_CYCLE_1)
	s_or_b32 vcc_lo, s3, s2
	v_dual_cndmask_b32 v18, v18, v20 :: v_dual_cndmask_b32 v17, v17, v19
	s_delay_alu instid0(VALU_DEP_1) | instskip(NEXT) | instid1(VALU_DEP_2)
	v_mov_b32_dpp v19, v18 quad_perm:[2,3,0,1] row_mask:0xf bank_mask:0xf
	v_mov_b32_dpp v20, v17 quad_perm:[2,3,0,1] row_mask:0xf bank_mask:0xf
	s_delay_alu instid0(VALU_DEP_2) | instskip(NEXT) | instid1(VALU_DEP_2)
	v_cmp_eq_f32_e32 vcc_lo, v18, v19
	v_cmp_lt_i32_e64 s2, v20, v17
	v_cmp_lt_f32_e64 s3, v18, v19
	s_delay_alu instid0(VALU_DEP_2)
	s_and_b32 s2, vcc_lo, s2
	s_delay_alu instid0(VALU_DEP_1) | instid1(SALU_CYCLE_1)
	s_or_b32 vcc_lo, s3, s2
	v_dual_cndmask_b32 v18, v18, v19 :: v_dual_cndmask_b32 v19, v17, v20
	s_delay_alu instid0(VALU_DEP_1) | instskip(NEXT) | instid1(VALU_DEP_2)
	v_mov_b32_dpp v17, v18 row_xmask:7 row_mask:0xf bank_mask:0xf
	v_mov_b32_dpp v20, v19 row_xmask:7 row_mask:0xf bank_mask:0xf
	s_delay_alu instid0(VALU_DEP_2) | instskip(NEXT) | instid1(VALU_DEP_2)
	v_cmp_eq_f32_e32 vcc_lo, v18, v17
	v_cmp_lt_i32_e64 s2, v20, v19
	v_cmp_lt_f32_e64 s3, v18, v17
	s_delay_alu instid0(VALU_DEP_2)
	s_and_b32 s2, vcc_lo, s2
	s_delay_alu instid0(VALU_DEP_1) | instid1(SALU_CYCLE_1)
	s_or_b32 vcc_lo, s3, s2
	s_cmp_gt_i32 s8, 0
	v_dual_cndmask_b32 v17, v18, v17 :: v_dual_cndmask_b32 v18, v19, v20
	v_cmp_eq_u32_e32 vcc_lo, 0, v24
	s_cselect_b32 s15, -1, 0
	s_cmp_lt_i32 s8, 1
	s_delay_alu instid0(VALU_DEP_2) | instskip(SKIP_1) | instid1(VALU_DEP_2)
	v_mov_b32_dpp v20, v17 row_xmask:15 row_mask:0xf bank_mask:0xf
	v_mov_b32_dpp v19, v18 row_xmask:15 row_mask:0xf bank_mask:0xf
	v_cmp_lt_f32_e64 s2, v17, v20
	v_cmp_eq_f32_e64 s3, v17, v20
	s_delay_alu instid0(VALU_DEP_3)
	v_cmp_lt_i32_e64 s4, v19, v18
	s_cbranch_scc1 .LBB99_18
; %bb.7:
	s_delay_alu instid0(VALU_DEP_1)
	s_and_b32 s3, s3, s4
	s_load_b128 s[4:7], s[0:1], 0x20
	s_or_b32 s2, s2, s3
	v_mul_lo_u32 v21, v23, s8
	v_cndmask_b32_e64 v20, v17, v20, s2
	v_cndmask_b32_e64 v18, v18, v19, s2
	s_mov_b32 s2, 0x76543210
	v_mul_lo_u32 v17, v23, s11
	v_mul_lo_u32 v19, v23, s14
	v_permlanex16_b32 v22, v20, s2, 0xfedcba98 op_sel:[1,1]
	v_permlanex16_b32 v42, v18, s2, 0xfedcba98 op_sel:[1,1]
	s_delay_alu instid0(VALU_DEP_2) | instskip(NEXT) | instid1(VALU_DEP_2)
	v_cmp_eq_f32_e64 s0, v20, v22
	v_cmp_lt_i32_e64 s1, v42, v18
	v_cmp_lt_f32_e64 s2, v20, v22
	s_delay_alu instid0(VALU_DEP_2)
	s_and_b32 s0, s0, s1
	s_delay_alu instid0(VALU_DEP_1) | instid1(SALU_CYCLE_1)
	s_or_b32 s0, s2, s0
	s_delay_alu instid0(SALU_CYCLE_1)
	v_cndmask_b32_e64 v43, v18, v42, s0
	v_cndmask_b32_e64 v42, v20, v22, s0
	v_mov_b32_e32 v22, 0
	s_and_saveexec_b32 s2, vcc_lo
	s_cbranch_execz .LBB99_9
; %bb.8:
	s_delay_alu instid0(VALU_DEP_2)
	v_sub_f32_e32 v50, v42, v42
	v_cmp_le_i32_e64 s0, s9, v43
	v_cmp_gt_i32_e64 s1, s10, v43
	v_subrev_nc_u32_e32 v51, s9, v43
	v_ashrrev_i32_e32 v22, 31, v21
	v_mul_f32_e32 v18, 0x3fb8aa3b, v50
	s_delay_alu instid0(VALU_DEP_4) | instskip(NEXT) | instid1(SALU_CYCLE_1)
	s_and_b32 s0, s0, s1
	s_and_b32 s0, s17, s0
	s_delay_alu instid0(VALU_DEP_1) | instskip(SKIP_2) | instid1(VALU_DEP_3)
	v_rndne_f32_e32 v46, v18
	v_fma_f32 v20, 0x3fb8aa3b, v50, -v18
	v_lshlrev_b64 v[48:49], 2, v[21:22]
	v_sub_f32_e32 v18, v18, v46
	s_delay_alu instid0(VALU_DEP_3) | instskip(NEXT) | instid1(VALU_DEP_1)
	v_fmamk_f32 v20, v50, 0x32a5705f, v20
	v_add_f32_e32 v20, v18, v20
	v_ashrrev_i32_e32 v18, 31, v17
	s_delay_alu instid0(VALU_DEP_2) | instskip(NEXT) | instid1(VALU_DEP_1)
	v_exp_f32_e32 v52, v20
	v_lshlrev_b64 v[44:45], 2, v[17:18]
	v_ashrrev_i32_e32 v20, 31, v19
	v_cvt_i32_f32_e32 v18, v46
	s_delay_alu instid0(VALU_DEP_2) | instskip(SKIP_2) | instid1(VALU_DEP_1)
	v_lshlrev_b64 v[46:47], 2, v[19:20]
	v_cndmask_b32_e64 v20, 0x200, v51, s0
	v_add_co_u32 v44, s0, s12, v44
	v_add_co_ci_u32_e64 v45, s0, s13, v45, s0
	s_delay_alu instid0(TRANS32_DEP_1) | instskip(SKIP_1) | instid1(VALU_DEP_1)
	v_ldexp_f32 v18, v52, v18
	v_cmp_ngt_f32_e64 s0, 0xc2ce8ed0, v50
	v_cndmask_b32_e64 v18, 0, v18, s0
	s_waitcnt lgkmcnt(0)
	v_add_co_u32 v46, s0, s4, v46
	s_delay_alu instid0(VALU_DEP_1) | instskip(SKIP_1) | instid1(VALU_DEP_1)
	v_add_co_ci_u32_e64 v47, s0, s5, v47, s0
	v_cmp_nlt_f32_e64 s0, 0x42b17218, v50
	v_cndmask_b32_e64 v22, 0x7f800000, v18, s0
	v_add_co_u32 v48, s0, s6, v48
	s_delay_alu instid0(VALU_DEP_1)
	v_add_co_ci_u32_e64 v49, s0, s7, v49, s0
	global_store_b32 v[46:47], v20, off
	global_store_b32 v[44:45], v22, off
	;; [unrolled: 1-line block ×3, first 2 shown]
.LBB99_9:
	s_or_b32 exec_lo, exec_lo, s2
	v_ashrrev_i32_e32 v20, 31, v43
	s_mov_b32 s1, exec_lo
	s_delay_alu instid0(VALU_DEP_1) | instskip(NEXT) | instid1(VALU_DEP_1)
	v_lshrrev_b32_e32 v18, 28, v20
	v_add_nc_u32_e32 v18, v43, v18
	s_delay_alu instid0(VALU_DEP_1) | instskip(NEXT) | instid1(VALU_DEP_1)
	v_ashrrev_i32_e32 v18, 4, v18
	v_lshrrev_b32_e32 v44, 27, v18
	s_delay_alu instid0(VALU_DEP_1) | instskip(NEXT) | instid1(VALU_DEP_1)
	v_add_nc_u32_e32 v44, v18, v44
	v_and_b32_e32 v44, 0xffffffe0, v44
	s_delay_alu instid0(VALU_DEP_1) | instskip(NEXT) | instid1(VALU_DEP_1)
	v_sub_nc_u32_e32 v44, v18, v44
	v_cmpx_eq_u32_e64 v24, v44
	s_cbranch_execz .LBB99_11
; %bb.10:
	v_lshrrev_b32_e32 v20, 23, v20
	v_lshlrev_b32_e32 v18, 4, v18
	s_delay_alu instid0(VALU_DEP_2) | instskip(NEXT) | instid1(VALU_DEP_2)
	v_add_nc_u32_e32 v20, v43, v20
	v_sub_nc_u32_e32 v18, v43, v18
	s_delay_alu instid0(VALU_DEP_2) | instskip(NEXT) | instid1(VALU_DEP_1)
	v_ashrrev_i32_e32 v20, 9, v20
	v_lshl_add_u32 v18, v20, 4, v18
	s_delay_alu instid0(VALU_DEP_1) | instskip(NEXT) | instid1(VALU_DEP_1)
	v_cmp_ne_u32_e64 s0, 15, v18
	v_cndmask_b32_e64 v3, 0xff800000, v3, s0
	v_cmp_ne_u32_e64 s0, 14, v18
	s_delay_alu instid0(VALU_DEP_1) | instskip(SKIP_1) | instid1(VALU_DEP_1)
	v_cndmask_b32_e64 v2, 0xff800000, v2, s0
	v_cmp_ne_u32_e64 s0, 13, v18
	v_cndmask_b32_e64 v1, 0xff800000, v1, s0
	v_cmp_ne_u32_e64 s0, 12, v18
	s_delay_alu instid0(VALU_DEP_1) | instskip(SKIP_1) | instid1(VALU_DEP_1)
	v_cndmask_b32_e64 v0, 0xff800000, v0, s0
	;; [unrolled: 5-line block ×7, first 2 shown]
	v_cmp_ne_u32_e64 s0, 1, v18
	v_cndmask_b32_e64 v13, 0xff800000, v13, s0
	v_cmp_ne_u32_e64 s0, 0, v18
	s_delay_alu instid0(VALU_DEP_1)
	v_cndmask_b32_e64 v12, 0xff800000, v12, s0
.LBB99_11:
	s_or_b32 exec_lo, exec_lo, s1
	s_cmp_eq_u32 s8, 1
	s_cbranch_scc1 .LBB99_18
; %bb.12:
	v_add_nc_u32_e32 v20, s16, v16
	v_add_nc_u32_e32 v16, 1, v21
	;; [unrolled: 1-line block ×3, first 2 shown]
	s_add_i32 s3, s8, -1
	s_mov_b32 s14, 0x76543210
	v_add3_u32 v41, v20, v41, s18
	v_add_nc_u32_e32 v20, 1, v17
	s_branch .LBB99_14
.LBB99_13:                              ;   in Loop: Header=BB99_14 Depth=1
	s_or_b32 exec_lo, exec_lo, s1
	v_add_nc_u32_e32 v41, s16, v41
	v_add_nc_u32_e32 v16, 1, v16
	;; [unrolled: 1-line block ×4, first 2 shown]
	s_add_i32 s3, s3, -1
	s_delay_alu instid0(SALU_CYCLE_1)
	s_cmp_eq_u32 s3, 0
	s_cbranch_scc1 .LBB99_18
.LBB99_14:                              ; =>This Inner Loop Header: Depth=1
	v_cmp_gt_f32_e64 s0, v13, v12
	s_delay_alu instid0(VALU_DEP_1) | instskip(SKIP_1) | instid1(VALU_DEP_2)
	v_cndmask_b32_e64 v19, v12, v13, s0
	v_cndmask_b32_e64 v17, v25, v26, s0
	v_cmp_gt_f32_e64 s0, v14, v19
	s_delay_alu instid0(VALU_DEP_1) | instskip(NEXT) | instid1(VALU_DEP_3)
	v_cndmask_b32_e64 v19, v19, v14, s0
	v_cndmask_b32_e64 v17, v17, v27, s0
	s_delay_alu instid0(VALU_DEP_2) | instskip(NEXT) | instid1(VALU_DEP_1)
	v_cmp_gt_f32_e64 s0, v15, v19
	v_cndmask_b32_e64 v19, v19, v15, s0
	s_delay_alu instid0(VALU_DEP_3) | instskip(NEXT) | instid1(VALU_DEP_2)
	v_cndmask_b32_e64 v17, v17, v28, s0
	v_cmp_gt_f32_e64 s0, v8, v19
	s_delay_alu instid0(VALU_DEP_1) | instskip(NEXT) | instid1(VALU_DEP_3)
	v_cndmask_b32_e64 v19, v19, v8, s0
	v_cndmask_b32_e64 v17, v17, v29, s0
	s_delay_alu instid0(VALU_DEP_2) | instskip(NEXT) | instid1(VALU_DEP_1)
	v_cmp_gt_f32_e64 s0, v9, v19
	v_cndmask_b32_e64 v19, v19, v9, s0
	s_delay_alu instid0(VALU_DEP_3) | instskip(NEXT) | instid1(VALU_DEP_2)
	;; [unrolled: 9-line block ×6, first 2 shown]
	v_cndmask_b32_e64 v17, v17, v38, s0
	v_cmp_gt_f32_e64 s0, v2, v19
	s_delay_alu instid0(VALU_DEP_1) | instskip(NEXT) | instid1(VALU_DEP_3)
	v_cndmask_b32_e64 v19, v19, v2, s0
	v_cndmask_b32_e64 v17, v17, v39, s0
	s_delay_alu instid0(VALU_DEP_2) | instskip(NEXT) | instid1(VALU_DEP_1)
	v_cmp_gt_f32_e64 s0, v3, v19
	v_cndmask_b32_e64 v17, v17, v40, s0
	v_cndmask_b32_e64 v19, v19, v3, s0
	s_delay_alu instid0(VALU_DEP_2) | instskip(NEXT) | instid1(VALU_DEP_2)
	v_mov_b32_dpp v21, v17 quad_perm:[1,0,3,2] row_mask:0xf bank_mask:0xf
	v_mov_b32_dpp v43, v19 quad_perm:[1,0,3,2] row_mask:0xf bank_mask:0xf
	s_delay_alu instid0(VALU_DEP_2) | instskip(NEXT) | instid1(VALU_DEP_2)
	v_cmp_lt_i32_e64 s0, v21, v17
	v_cmp_eq_f32_e64 s1, v19, v43
	v_cmp_lt_f32_e64 s2, v19, v43
	s_delay_alu instid0(VALU_DEP_2)
	s_and_b32 s0, s1, s0
	s_delay_alu instid0(VALU_DEP_1) | instid1(SALU_CYCLE_1)
	s_or_b32 s0, s2, s0
	s_delay_alu instid0(SALU_CYCLE_1) | instskip(SKIP_1) | instid1(VALU_DEP_2)
	v_cndmask_b32_e64 v19, v19, v43, s0
	v_cndmask_b32_e64 v17, v17, v21, s0
	v_mov_b32_dpp v21, v19 quad_perm:[2,3,0,1] row_mask:0xf bank_mask:0xf
	s_delay_alu instid0(VALU_DEP_2) | instskip(NEXT) | instid1(VALU_DEP_2)
	v_mov_b32_dpp v43, v17 quad_perm:[2,3,0,1] row_mask:0xf bank_mask:0xf
	v_cmp_eq_f32_e64 s0, v19, v21
	s_delay_alu instid0(VALU_DEP_2) | instskip(SKIP_1) | instid1(VALU_DEP_2)
	v_cmp_lt_i32_e64 s1, v43, v17
	v_cmp_lt_f32_e64 s2, v19, v21
	s_and_b32 s0, s0, s1
	s_delay_alu instid0(VALU_DEP_1) | instid1(SALU_CYCLE_1)
	s_or_b32 s0, s2, s0
	s_delay_alu instid0(SALU_CYCLE_1) | instskip(SKIP_1) | instid1(VALU_DEP_2)
	v_cndmask_b32_e64 v19, v19, v21, s0
	v_cndmask_b32_e64 v17, v17, v43, s0
	v_mov_b32_dpp v21, v19 row_xmask:7 row_mask:0xf bank_mask:0xf
	s_delay_alu instid0(VALU_DEP_2) | instskip(NEXT) | instid1(VALU_DEP_2)
	v_mov_b32_dpp v43, v17 row_xmask:7 row_mask:0xf bank_mask:0xf
	v_cmp_eq_f32_e64 s0, v19, v21
	s_delay_alu instid0(VALU_DEP_2) | instskip(SKIP_1) | instid1(VALU_DEP_2)
	v_cmp_lt_i32_e64 s1, v43, v17
	v_cmp_lt_f32_e64 s2, v19, v21
	s_and_b32 s0, s0, s1
	s_delay_alu instid0(VALU_DEP_1) | instid1(SALU_CYCLE_1)
	s_or_b32 s0, s2, s0
	s_delay_alu instid0(SALU_CYCLE_1) | instskip(SKIP_1) | instid1(VALU_DEP_2)
	v_cndmask_b32_e64 v19, v19, v21, s0
	v_cndmask_b32_e64 v21, v17, v43, s0
	v_mov_b32_dpp v17, v19 row_xmask:15 row_mask:0xf bank_mask:0xf
	s_delay_alu instid0(VALU_DEP_2) | instskip(NEXT) | instid1(VALU_DEP_2)
	v_mov_b32_dpp v43, v21 row_xmask:15 row_mask:0xf bank_mask:0xf
	v_cmp_eq_f32_e64 s0, v19, v17
	s_delay_alu instid0(VALU_DEP_2) | instskip(SKIP_1) | instid1(VALU_DEP_2)
	v_cmp_lt_i32_e64 s1, v43, v21
	v_cmp_lt_f32_e64 s2, v19, v17
	s_and_b32 s0, s0, s1
	s_delay_alu instid0(VALU_DEP_1) | instid1(SALU_CYCLE_1)
	s_or_b32 s0, s2, s0
	s_delay_alu instid0(SALU_CYCLE_1) | instskip(SKIP_1) | instid1(VALU_DEP_2)
	v_cndmask_b32_e64 v17, v19, v17, s0
	v_cndmask_b32_e64 v21, v21, v43, s0
	v_permlanex16_b32 v19, v17, s14, 0xfedcba98 op_sel:[1,1]
	s_delay_alu instid0(VALU_DEP_2) | instskip(NEXT) | instid1(VALU_DEP_2)
	v_permlanex16_b32 v43, v21, s14, 0xfedcba98 op_sel:[1,1]
	v_cmp_eq_f32_e64 s0, v17, v19
	s_delay_alu instid0(VALU_DEP_2) | instskip(SKIP_1) | instid1(VALU_DEP_2)
	v_cmp_lt_i32_e64 s1, v43, v21
	v_cmp_lt_f32_e64 s2, v17, v19
	s_and_b32 s0, s0, s1
	s_delay_alu instid0(VALU_DEP_1) | instid1(SALU_CYCLE_1)
	s_or_b32 s0, s2, s0
	s_delay_alu instid0(SALU_CYCLE_1)
	v_cndmask_b32_e64 v43, v21, v43, s0
	s_and_saveexec_b32 s2, vcc_lo
	s_cbranch_execz .LBB99_16
; %bb.15:                               ;   in Loop: Header=BB99_14 Depth=1
	v_cndmask_b32_e64 v17, v17, v19, s0
	s_delay_alu instid0(VALU_DEP_2) | instskip(SKIP_4) | instid1(VALU_DEP_4)
	v_cmp_le_i32_e64 s0, s9, v43
	v_cmp_gt_i32_e64 s1, s10, v43
	v_ashrrev_i32_e32 v21, 31, v20
	v_subrev_nc_u32_e32 v51, s9, v43
	v_sub_f32_e32 v50, v17, v42
	s_and_b32 s0, s0, s1
	s_delay_alu instid0(SALU_CYCLE_1) | instskip(NEXT) | instid1(VALU_DEP_1)
	s_and_b32 s0, s17, s0
	v_mul_f32_e32 v17, 0x3fb8aa3b, v50
	s_delay_alu instid0(VALU_DEP_1) | instskip(SKIP_1) | instid1(VALU_DEP_2)
	v_fma_f32 v19, 0x3fb8aa3b, v50, -v17
	v_rndne_f32_e32 v44, v17
	v_fmac_f32_e32 v19, 0x32a5705f, v50
	s_delay_alu instid0(VALU_DEP_2) | instskip(SKIP_2) | instid1(VALU_DEP_3)
	v_sub_f32_e32 v17, v17, v44
	v_cvt_i32_f32_e32 v49, v44
	v_lshlrev_b64 v[44:45], 2, v[20:21]
	v_add_f32_e32 v17, v17, v19
	v_ashrrev_i32_e32 v19, 31, v18
	s_delay_alu instid0(VALU_DEP_2) | instskip(SKIP_1) | instid1(VALU_DEP_2)
	v_exp_f32_e32 v48, v17
	v_ashrrev_i32_e32 v17, 31, v16
	v_lshlrev_b64 v[46:47], 2, v[18:19]
	s_waitcnt_depctr 0xfff
	v_ldexp_f32 v19, v48, v49
	v_lshlrev_b64 v[48:49], 2, v[16:17]
	v_cndmask_b32_e64 v17, 0x200, v51, s0
	v_cmp_ngt_f32_e64 s0, 0xc2ce8ed0, v50
	s_delay_alu instid0(VALU_DEP_1) | instskip(SKIP_1) | instid1(VALU_DEP_1)
	v_cndmask_b32_e64 v19, 0, v19, s0
	v_add_co_u32 v44, s0, s12, v44
	v_add_co_ci_u32_e64 v45, s0, s13, v45, s0
	v_cmp_nlt_f32_e64 s0, 0x42b17218, v50
	s_delay_alu instid0(VALU_DEP_1) | instskip(SKIP_2) | instid1(VALU_DEP_1)
	v_cndmask_b32_e64 v19, 0x7f800000, v19, s0
	s_waitcnt lgkmcnt(0)
	v_add_co_u32 v46, s0, s4, v46
	v_add_co_ci_u32_e64 v47, s0, s5, v47, s0
	s_delay_alu instid0(VALU_DEP_3) | instskip(SKIP_1) | instid1(VALU_DEP_1)
	v_add_f32_e32 v22, v22, v19
	v_add_co_u32 v48, s0, s6, v48
	v_add_co_ci_u32_e64 v49, s0, s7, v49, s0
	global_store_b32 v[44:45], v19, off
	global_store_b32 v[46:47], v17, off
	;; [unrolled: 1-line block ×3, first 2 shown]
.LBB99_16:                              ;   in Loop: Header=BB99_14 Depth=1
	s_or_b32 exec_lo, exec_lo, s2
	s_delay_alu instid0(VALU_DEP_1) | instskip(SKIP_1) | instid1(VALU_DEP_1)
	v_ashrrev_i32_e32 v19, 31, v43
	s_mov_b32 s1, exec_lo
	v_lshrrev_b32_e32 v17, 28, v19
	s_delay_alu instid0(VALU_DEP_1) | instskip(NEXT) | instid1(VALU_DEP_1)
	v_add_nc_u32_e32 v17, v43, v17
	v_ashrrev_i32_e32 v17, 4, v17
	s_delay_alu instid0(VALU_DEP_1) | instskip(NEXT) | instid1(VALU_DEP_1)
	v_lshrrev_b32_e32 v21, 27, v17
	v_add_nc_u32_e32 v21, v17, v21
	s_delay_alu instid0(VALU_DEP_1) | instskip(NEXT) | instid1(VALU_DEP_1)
	v_and_b32_e32 v21, 0xffffffe0, v21
	v_sub_nc_u32_e32 v21, v17, v21
	s_delay_alu instid0(VALU_DEP_1)
	v_cmpx_eq_u32_e64 v24, v21
	s_cbranch_execz .LBB99_13
; %bb.17:                               ;   in Loop: Header=BB99_14 Depth=1
	v_lshrrev_b32_e32 v19, 23, v19
	v_lshlrev_b32_e32 v17, 4, v17
	s_delay_alu instid0(VALU_DEP_2) | instskip(NEXT) | instid1(VALU_DEP_2)
	v_add_nc_u32_e32 v19, v43, v19
	v_sub_nc_u32_e32 v17, v43, v17
	s_delay_alu instid0(VALU_DEP_2) | instskip(NEXT) | instid1(VALU_DEP_1)
	v_ashrrev_i32_e32 v19, 9, v19
	v_lshl_add_u32 v17, v19, 4, v17
	s_delay_alu instid0(VALU_DEP_1) | instskip(NEXT) | instid1(VALU_DEP_1)
	v_cmp_ne_u32_e64 s0, 15, v17
	v_cndmask_b32_e64 v3, 0xff800000, v3, s0
	v_cmp_ne_u32_e64 s0, 14, v17
	s_delay_alu instid0(VALU_DEP_1) | instskip(SKIP_1) | instid1(VALU_DEP_1)
	v_cndmask_b32_e64 v2, 0xff800000, v2, s0
	v_cmp_ne_u32_e64 s0, 13, v17
	v_cndmask_b32_e64 v1, 0xff800000, v1, s0
	v_cmp_ne_u32_e64 s0, 12, v17
	s_delay_alu instid0(VALU_DEP_1) | instskip(SKIP_1) | instid1(VALU_DEP_1)
	v_cndmask_b32_e64 v0, 0xff800000, v0, s0
	;; [unrolled: 5-line block ×7, first 2 shown]
	v_cmp_ne_u32_e64 s0, 1, v17
	v_cndmask_b32_e64 v13, 0xff800000, v13, s0
	v_cmp_ne_u32_e64 s0, 0, v17
	s_delay_alu instid0(VALU_DEP_1)
	v_cndmask_b32_e64 v12, 0xff800000, v12, s0
	s_branch .LBB99_13
.LBB99_18:
	v_cmp_eq_u32_e32 vcc_lo, 0, v24
	v_cmp_neq_f32_e64 s0, 0, v22
	s_delay_alu instid0(VALU_DEP_1) | instskip(NEXT) | instid1(SALU_CYCLE_1)
	s_and_b32 s0, vcc_lo, s0
	s_and_b32 exec_lo, exec_lo, s0
	s_cbranch_execz .LBB99_22
; %bb.19:
	s_and_not1_b32 vcc_lo, exec_lo, s15
	s_cbranch_vccnz .LBB99_22
; %bb.20:
	v_div_scale_f32 v1, null, v22, v22, 1.0
	v_div_scale_f32 v3, vcc_lo, 1.0, v22, 1.0
	s_delay_alu instid0(VALU_DEP_2) | instskip(SKIP_2) | instid1(VALU_DEP_1)
	v_rcp_f32_e32 v2, v1
	s_waitcnt_depctr 0xfff
	v_fma_f32 v0, -v1, v2, 1.0
	v_fmac_f32_e32 v2, v0, v2
	v_mul_lo_u32 v0, v23, s11
	s_delay_alu instid0(VALU_DEP_2) | instskip(NEXT) | instid1(VALU_DEP_1)
	v_mul_f32_e32 v4, v3, v2
	v_fma_f32 v5, -v1, v4, v3
	s_delay_alu instid0(VALU_DEP_1) | instskip(NEXT) | instid1(VALU_DEP_1)
	v_fmac_f32_e32 v4, v5, v2
	v_fma_f32 v3, -v1, v4, v3
	v_ashrrev_i32_e32 v1, 31, v0
	s_delay_alu instid0(VALU_DEP_2) | instskip(NEXT) | instid1(VALU_DEP_2)
	v_div_fmas_f32 v2, v3, v2, v4
	v_lshlrev_b64 v[0:1], 2, v[0:1]
	s_delay_alu instid0(VALU_DEP_2) | instskip(NEXT) | instid1(VALU_DEP_2)
	v_div_fixup_f32 v2, v2, v22, 1.0
	v_add_co_u32 v0, vcc_lo, s12, v0
	s_delay_alu instid0(VALU_DEP_3)
	v_add_co_ci_u32_e32 v1, vcc_lo, s13, v1, vcc_lo
.LBB99_21:                              ; =>This Inner Loop Header: Depth=1
	global_load_b32 v3, v[0:1], off
	s_add_i32 s8, s8, -1
	s_delay_alu instid0(SALU_CYCLE_1)
	s_cmp_lg_u32 s8, 0
	s_waitcnt vmcnt(0)
	v_mul_f32_e32 v3, v2, v3
	global_store_b32 v[0:1], v3, off
	v_add_co_u32 v0, vcc_lo, v0, 4
	v_add_co_ci_u32_e32 v1, vcc_lo, 0, v1, vcc_lo
	s_cbranch_scc1 .LBB99_21
.LBB99_22:
	s_nop 0
	s_sendmsg sendmsg(MSG_DEALLOC_VGPRS)
	s_endpgm
	.section	.rodata,"a",@progbits
	.p2align	6, 0x0
	.amdhsa_kernel _ZN4vllm3moe17topkGatingSoftmaxIfLi16ELi512ELi2ELi64ELb1ELi8ELNS0_23SharedExpertScoringFuncE1EEEvPKT_PKbPfiPiS9_iiiiii
		.amdhsa_group_segment_fixed_size 0
		.amdhsa_private_segment_fixed_size 0
		.amdhsa_kernarg_size 72
		.amdhsa_user_sgpr_count 15
		.amdhsa_user_sgpr_dispatch_ptr 0
		.amdhsa_user_sgpr_queue_ptr 0
		.amdhsa_user_sgpr_kernarg_segment_ptr 1
		.amdhsa_user_sgpr_dispatch_id 0
		.amdhsa_user_sgpr_private_segment_size 0
		.amdhsa_wavefront_size32 1
		.amdhsa_uses_dynamic_stack 0
		.amdhsa_enable_private_segment 0
		.amdhsa_system_sgpr_workgroup_id_x 1
		.amdhsa_system_sgpr_workgroup_id_y 0
		.amdhsa_system_sgpr_workgroup_id_z 0
		.amdhsa_system_sgpr_workgroup_info 0
		.amdhsa_system_vgpr_workitem_id 1
		.amdhsa_next_free_vgpr 53
		.amdhsa_next_free_sgpr 19
		.amdhsa_reserve_vcc 1
		.amdhsa_float_round_mode_32 0
		.amdhsa_float_round_mode_16_64 0
		.amdhsa_float_denorm_mode_32 3
		.amdhsa_float_denorm_mode_16_64 3
		.amdhsa_dx10_clamp 1
		.amdhsa_ieee_mode 1
		.amdhsa_fp16_overflow 0
		.amdhsa_workgroup_processor_mode 1
		.amdhsa_memory_ordered 1
		.amdhsa_forward_progress 0
		.amdhsa_shared_vgpr_count 0
		.amdhsa_exception_fp_ieee_invalid_op 0
		.amdhsa_exception_fp_denorm_src 0
		.amdhsa_exception_fp_ieee_div_zero 0
		.amdhsa_exception_fp_ieee_overflow 0
		.amdhsa_exception_fp_ieee_underflow 0
		.amdhsa_exception_fp_ieee_inexact 0
		.amdhsa_exception_int_div_zero 0
	.end_amdhsa_kernel
	.section	.text._ZN4vllm3moe17topkGatingSoftmaxIfLi16ELi512ELi2ELi64ELb1ELi8ELNS0_23SharedExpertScoringFuncE1EEEvPKT_PKbPfiPiS9_iiiiii,"axG",@progbits,_ZN4vllm3moe17topkGatingSoftmaxIfLi16ELi512ELi2ELi64ELb1ELi8ELNS0_23SharedExpertScoringFuncE1EEEvPKT_PKbPfiPiS9_iiiiii,comdat
.Lfunc_end99:
	.size	_ZN4vllm3moe17topkGatingSoftmaxIfLi16ELi512ELi2ELi64ELb1ELi8ELNS0_23SharedExpertScoringFuncE1EEEvPKT_PKbPfiPiS9_iiiiii, .Lfunc_end99-_ZN4vllm3moe17topkGatingSoftmaxIfLi16ELi512ELi2ELi64ELb1ELi8ELNS0_23SharedExpertScoringFuncE1EEEvPKT_PKbPfiPiS9_iiiiii
                                        ; -- End function
	.section	.AMDGPU.csdata,"",@progbits
; Kernel info:
; codeLenInByte = 4048
; NumSgprs: 21
; NumVgprs: 53
; ScratchSize: 0
; MemoryBound: 0
; FloatMode: 240
; IeeeMode: 1
; LDSByteSize: 0 bytes/workgroup (compile time only)
; SGPRBlocks: 2
; VGPRBlocks: 6
; NumSGPRsForWavesPerEU: 21
; NumVGPRsForWavesPerEU: 53
; Occupancy: 16
; WaveLimiterHint : 0
; COMPUTE_PGM_RSRC2:SCRATCH_EN: 0
; COMPUTE_PGM_RSRC2:USER_SGPR: 15
; COMPUTE_PGM_RSRC2:TRAP_HANDLER: 0
; COMPUTE_PGM_RSRC2:TGID_X_EN: 1
; COMPUTE_PGM_RSRC2:TGID_Y_EN: 0
; COMPUTE_PGM_RSRC2:TGID_Z_EN: 0
; COMPUTE_PGM_RSRC2:TIDIG_COMP_CNT: 1
	.section	.text._ZN4vllm3moe17topkGatingSoftmaxIfLi16ELi512ELi2ELi64ELb0ELi8ELNS0_23SharedExpertScoringFuncE1EEEvPKT_PKbPfiPiS9_iiiiii,"axG",@progbits,_ZN4vllm3moe17topkGatingSoftmaxIfLi16ELi512ELi2ELi64ELb0ELi8ELNS0_23SharedExpertScoringFuncE1EEEvPKT_PKbPfiPiS9_iiiiii,comdat
	.protected	_ZN4vllm3moe17topkGatingSoftmaxIfLi16ELi512ELi2ELi64ELb0ELi8ELNS0_23SharedExpertScoringFuncE1EEEvPKT_PKbPfiPiS9_iiiiii ; -- Begin function _ZN4vllm3moe17topkGatingSoftmaxIfLi16ELi512ELi2ELi64ELb0ELi8ELNS0_23SharedExpertScoringFuncE1EEEvPKT_PKbPfiPiS9_iiiiii
	.globl	_ZN4vllm3moe17topkGatingSoftmaxIfLi16ELi512ELi2ELi64ELb0ELi8ELNS0_23SharedExpertScoringFuncE1EEEvPKT_PKbPfiPiS9_iiiiii
	.p2align	8
	.type	_ZN4vllm3moe17topkGatingSoftmaxIfLi16ELi512ELi2ELi64ELb0ELi8ELNS0_23SharedExpertScoringFuncE1EEEvPKT_PKbPfiPiS9_iiiiii,@function
_ZN4vllm3moe17topkGatingSoftmaxIfLi16ELi512ELi2ELi64ELb0ELi8ELNS0_23SharedExpertScoringFuncE1EEEvPKT_PKbPfiPiS9_iiiiii: ; @_ZN4vllm3moe17topkGatingSoftmaxIfLi16ELi512ELi2ELi64ELb0ELi8ELNS0_23SharedExpertScoringFuncE1EEEvPKT_PKbPfiPiS9_iiiiii
; %bb.0:
	s_load_b32 s16, s[0:1], 0x18
	v_and_b32_e32 v1, 0x3ff, v0
	v_bfe_u32 v16, v0, 10, 10
	s_lshl_b32 s18, s15, 1
	s_mov_b32 s2, exec_lo
	s_delay_alu instid0(VALU_DEP_2) | instskip(NEXT) | instid1(VALU_DEP_1)
	v_lshrrev_b32_e32 v42, 5, v1
	v_add3_u32 v23, s18, v16, v42
	s_waitcnt lgkmcnt(0)
	s_delay_alu instid0(VALU_DEP_1)
	v_cmpx_gt_i32_e64 s16, v23
	s_cbranch_execz .LBB100_23
; %bb.1:
	s_clause 0x1
	s_load_b128 s[4:7], s[0:1], 0x0
	s_load_b64 s[12:13], s[0:1], 0x10
	s_waitcnt lgkmcnt(0)
	s_cmp_eq_u64 s[6:7], 0
	s_cbranch_scc1 .LBB100_3
; %bb.2:
	v_ashrrev_i32_e32 v0, 31, v23
	v_add_co_u32 v2, vcc_lo, s6, v23
	s_delay_alu instid0(VALU_DEP_2) | instskip(SKIP_3) | instid1(VALU_DEP_1)
	v_add_co_ci_u32_e32 v3, vcc_lo, s7, v0, vcc_lo
	global_load_u8 v0, v[2:3], off
	s_waitcnt vmcnt(0)
	v_and_b32_e32 v0, 1, v0
	v_cmp_eq_u32_e32 vcc_lo, 1, v0
	s_xor_b32 s2, vcc_lo, -1
	s_delay_alu instid0(SALU_CYCLE_1)
	s_or_not1_b32 s17, s2, exec_lo
	s_branch .LBB100_4
.LBB100_3:
	s_mov_b32 s17, -1
.LBB100_4:
	s_load_b64 s[14:15], s[0:1], 0x40
	v_and_b32_e32 v24, 31, v1
	v_mov_b32_e32 v22, 0
	s_mov_b32 s2, exec_lo
	s_delay_alu instid0(VALU_DEP_2) | instskip(SKIP_2) | instid1(VALU_DEP_1)
	v_lshlrev_b32_e32 v26, 4, v24
	s_waitcnt lgkmcnt(0)
	v_mul_lo_u32 v2, v23, s15
	v_ashrrev_i32_e32 v3, 31, v2
	s_delay_alu instid0(VALU_DEP_1) | instskip(SKIP_1) | instid1(VALU_DEP_2)
	v_lshlrev_b64 v[0:1], 2, v[2:3]
	v_lshlrev_b32_e32 v2, 6, v24
	v_add_co_u32 v17, vcc_lo, s4, v0
	s_delay_alu instid0(VALU_DEP_3) | instskip(SKIP_1) | instid1(VALU_DEP_2)
	v_add_co_ci_u32_e32 v18, vcc_lo, s5, v1, vcc_lo
	s_load_b128 s[4:7], s[0:1], 0x30
	v_add_co_u32 v12, vcc_lo, v17, v2
	s_delay_alu instid0(VALU_DEP_2)
	v_add_co_ci_u32_e32 v13, vcc_lo, 0, v18, vcc_lo
	s_clause 0x3
	global_load_b128 v[0:3], v[12:13], off offset:48
	global_load_b128 v[4:7], v[12:13], off offset:32
	;; [unrolled: 1-line block ×3, first 2 shown]
	global_load_b128 v[12:15], v[12:13], off
	v_cmpx_gt_u32_e32 8, v24
	s_cbranch_execz .LBB100_6
; %bb.5:
	v_lshlrev_b32_e32 v19, 2, v24
	s_delay_alu instid0(VALU_DEP_1)
	v_add_co_u32 v17, vcc_lo, v17, v19
	v_add_co_ci_u32_e32 v18, vcc_lo, 0, v18, vcc_lo
	global_load_b32 v17, v[17:18], off offset:2048
	s_waitcnt vmcnt(0)
	v_mul_f32_e32 v18, 0xbfb8aa3b, v17
	v_cmp_nlt_f32_e32 vcc_lo, 0x42ce8ed0, v17
	s_delay_alu instid0(VALU_DEP_2) | instskip(SKIP_1) | instid1(VALU_DEP_1)
	v_fma_f32 v19, 0xbfb8aa3b, v17, -v18
	v_rndne_f32_e32 v20, v18
	v_dual_fmamk_f32 v19, v17, 0xb2a5705f, v19 :: v_dual_sub_f32 v18, v18, v20
	s_delay_alu instid0(VALU_DEP_1) | instskip(SKIP_1) | instid1(VALU_DEP_2)
	v_add_f32_e32 v18, v18, v19
	v_cvt_i32_f32_e32 v19, v20
	v_exp_f32_e32 v18, v18
	s_waitcnt_depctr 0xfff
	v_ldexp_f32 v18, v18, v19
	s_delay_alu instid0(VALU_DEP_1) | instskip(SKIP_1) | instid1(VALU_DEP_2)
	v_cndmask_b32_e32 v18, 0, v18, vcc_lo
	v_cmp_ngt_f32_e32 vcc_lo, 0xc2b17218, v17
	v_cndmask_b32_e32 v17, 0x7f800000, v18, vcc_lo
	s_delay_alu instid0(VALU_DEP_1) | instskip(NEXT) | instid1(VALU_DEP_1)
	v_add_f32_e32 v19, 1.0, v17
	v_div_scale_f32 v18, null, v19, v19, 1.0
	v_div_scale_f32 v21, vcc_lo, 1.0, v19, 1.0
	s_delay_alu instid0(VALU_DEP_2) | instskip(SKIP_2) | instid1(VALU_DEP_1)
	v_rcp_f32_e32 v20, v18
	s_waitcnt_depctr 0xfff
	v_fma_f32 v17, -v18, v20, 1.0
	v_fmac_f32_e32 v20, v17, v20
	s_waitcnt lgkmcnt(0)
	v_mul_lo_u32 v17, v23, s7
	s_delay_alu instid0(VALU_DEP_2) | instskip(NEXT) | instid1(VALU_DEP_2)
	v_mul_f32_e32 v25, v21, v20
	v_add3_u32 v17, v17, s4, v24
	s_delay_alu instid0(VALU_DEP_2) | instskip(NEXT) | instid1(VALU_DEP_1)
	v_fma_f32 v27, -v18, v25, v21
	v_fmac_f32_e32 v25, v27, v20
	s_delay_alu instid0(VALU_DEP_1) | instskip(NEXT) | instid1(VALU_DEP_4)
	v_fma_f32 v21, -v18, v25, v21
	v_ashrrev_i32_e32 v18, 31, v17
	s_delay_alu instid0(VALU_DEP_2) | instskip(NEXT) | instid1(VALU_DEP_2)
	v_div_fmas_f32 v20, v21, v20, v25
	v_lshlrev_b64 v[17:18], 2, v[17:18]
	s_delay_alu instid0(VALU_DEP_2) | instskip(NEXT) | instid1(VALU_DEP_2)
	v_div_fixup_f32 v19, v20, v19, 1.0
	v_add_co_u32 v17, vcc_lo, s12, v17
	s_delay_alu instid0(VALU_DEP_3)
	v_add_co_ci_u32_e32 v18, vcc_lo, s13, v18, vcc_lo
	global_store_b32 v[17:18], v19, off
.LBB100_6:
	s_or_b32 exec_lo, exec_lo, s2
	v_or_b32_e32 v27, 1, v26
	s_waitcnt vmcnt(0)
	v_cmp_lt_f32_e32 vcc_lo, v12, v13
	v_or_b32_e32 v28, 2, v26
	v_or_b32_e32 v29, 3, v26
	;; [unrolled: 1-line block ×4, first 2 shown]
	v_dual_cndmask_b32 v17, v26, v27 :: v_dual_cndmask_b32 v18, v12, v13
	v_or_b32_e32 v32, 6, v26
	v_or_b32_e32 v33, 7, v26
	;; [unrolled: 1-line block ×4, first 2 shown]
	v_cmp_lt_f32_e32 vcc_lo, v18, v14
	v_or_b32_e32 v36, 10, v26
	v_or_b32_e32 v37, 11, v26
	;; [unrolled: 1-line block ×4, first 2 shown]
	v_dual_cndmask_b32 v17, v17, v28 :: v_dual_cndmask_b32 v18, v18, v14
	v_or_b32_e32 v40, 14, v26
	v_or_b32_e32 v41, 15, v26
	s_delay_alu instid0(VALU_DEP_3) | instskip(NEXT) | instid1(VALU_DEP_4)
	v_cmp_lt_f32_e32 vcc_lo, v18, v15
	v_dual_cndmask_b32 v17, v17, v29 :: v_dual_cndmask_b32 v18, v18, v15
	s_delay_alu instid0(VALU_DEP_1) | instskip(NEXT) | instid1(VALU_DEP_2)
	v_cmp_lt_f32_e32 vcc_lo, v18, v8
	v_dual_cndmask_b32 v17, v17, v30 :: v_dual_cndmask_b32 v18, v18, v8
	s_delay_alu instid0(VALU_DEP_1) | instskip(NEXT) | instid1(VALU_DEP_2)
	;; [unrolled: 3-line block ×13, first 2 shown]
	v_mov_b32_dpp v19, v17 quad_perm:[1,0,3,2] row_mask:0xf bank_mask:0xf
	v_mov_b32_dpp v20, v18 quad_perm:[1,0,3,2] row_mask:0xf bank_mask:0xf
	s_delay_alu instid0(VALU_DEP_2) | instskip(NEXT) | instid1(VALU_DEP_2)
	v_cmp_lt_i32_e32 vcc_lo, v19, v17
	v_cmp_eq_f32_e64 s2, v18, v20
	v_cmp_lt_f32_e64 s3, v18, v20
	s_delay_alu instid0(VALU_DEP_2)
	s_and_b32 s2, s2, vcc_lo
	s_delay_alu instid0(VALU_DEP_1) | instid1(SALU_CYCLE_1)
	s_or_b32 vcc_lo, s3, s2
	v_dual_cndmask_b32 v18, v18, v20 :: v_dual_cndmask_b32 v17, v17, v19
	s_delay_alu instid0(VALU_DEP_1) | instskip(NEXT) | instid1(VALU_DEP_2)
	v_mov_b32_dpp v19, v18 quad_perm:[2,3,0,1] row_mask:0xf bank_mask:0xf
	v_mov_b32_dpp v20, v17 quad_perm:[2,3,0,1] row_mask:0xf bank_mask:0xf
	s_delay_alu instid0(VALU_DEP_2) | instskip(NEXT) | instid1(VALU_DEP_2)
	v_cmp_eq_f32_e32 vcc_lo, v18, v19
	v_cmp_lt_i32_e64 s2, v20, v17
	v_cmp_lt_f32_e64 s3, v18, v19
	s_delay_alu instid0(VALU_DEP_2)
	s_and_b32 s2, vcc_lo, s2
	s_delay_alu instid0(VALU_DEP_1) | instid1(SALU_CYCLE_1)
	s_or_b32 vcc_lo, s3, s2
	v_dual_cndmask_b32 v18, v18, v19 :: v_dual_cndmask_b32 v17, v17, v20
	s_delay_alu instid0(VALU_DEP_1) | instskip(NEXT) | instid1(VALU_DEP_2)
	v_mov_b32_dpp v19, v18 row_xmask:7 row_mask:0xf bank_mask:0xf
	v_mov_b32_dpp v20, v17 row_xmask:7 row_mask:0xf bank_mask:0xf
	s_delay_alu instid0(VALU_DEP_2) | instskip(NEXT) | instid1(VALU_DEP_2)
	v_cmp_eq_f32_e32 vcc_lo, v18, v19
	v_cmp_lt_i32_e64 s2, v20, v17
	v_cmp_lt_f32_e64 s3, v18, v19
	s_delay_alu instid0(VALU_DEP_2)
	s_and_b32 s2, vcc_lo, s2
	s_delay_alu instid0(VALU_DEP_1) | instid1(SALU_CYCLE_1)
	s_or_b32 vcc_lo, s3, s2
	v_dual_cndmask_b32 v18, v18, v19 :: v_dual_cndmask_b32 v17, v17, v20
	s_delay_alu instid0(VALU_DEP_1) | instskip(NEXT) | instid1(VALU_DEP_2)
	v_mov_b32_dpp v19, v18 row_xmask:15 row_mask:0xf bank_mask:0xf
	v_mov_b32_dpp v20, v17 row_xmask:15 row_mask:0xf bank_mask:0xf
	s_delay_alu instid0(VALU_DEP_2) | instskip(NEXT) | instid1(VALU_DEP_2)
	v_cmp_eq_f32_e32 vcc_lo, v18, v19
	v_cmp_lt_i32_e64 s2, v20, v17
	v_cmp_lt_f32_e64 s3, v18, v19
	s_delay_alu instid0(VALU_DEP_2)
	s_and_b32 s2, vcc_lo, s2
	s_delay_alu instid0(VALU_DEP_1) | instid1(SALU_CYCLE_1)
	s_or_b32 vcc_lo, s3, s2
	s_mov_b32 s2, 0x76543210
	v_dual_cndmask_b32 v19, v18, v19 :: v_dual_cndmask_b32 v18, v17, v20
	s_delay_alu instid0(VALU_DEP_1) | instskip(NEXT) | instid1(VALU_DEP_2)
	v_permlanex16_b32 v17, v19, s2, 0xfedcba98 op_sel:[1,1]
	v_permlanex16_b32 v20, v18, s2, 0xfedcba98 op_sel:[1,1]
	s_delay_alu instid0(VALU_DEP_2) | instskip(NEXT) | instid1(VALU_DEP_2)
	v_cmp_eq_f32_e32 vcc_lo, v19, v17
	v_cmp_lt_i32_e64 s2, v20, v18
	v_cmp_lt_f32_e64 s3, v19, v17
	s_delay_alu instid0(VALU_DEP_2) | instskip(SKIP_1) | instid1(VALU_DEP_2)
	s_and_b32 s2, vcc_lo, s2
	v_cmp_eq_u32_e32 vcc_lo, 0, v24
	s_or_b32 s2, s3, s2
	s_waitcnt lgkmcnt(0)
	s_cmp_gt_i32 s4, 0
	v_cndmask_b32_e64 v25, v19, v17, s2
	s_cselect_b32 s3, -1, 0
	s_cmp_lt_i32 s4, 1
	s_cbranch_scc1 .LBB100_18
; %bb.7:
	s_load_b128 s[8:11], s[0:1], 0x20
	v_mul_lo_u32 v17, v23, s7
	v_mul_lo_u32 v19, v23, s14
	;; [unrolled: 1-line block ×3, first 2 shown]
	v_cndmask_b32_e64 v43, v18, v20, s2
	v_mov_b32_e32 v22, 0
	s_and_saveexec_b32 s2, vcc_lo
	s_cbranch_execz .LBB100_9
; %bb.8:
	v_sub_f32_e32 v50, v25, v25
	v_cmp_le_i32_e64 s0, s5, v43
	v_cmp_gt_i32_e64 s1, s6, v43
	v_subrev_nc_u32_e32 v51, s5, v43
	v_ashrrev_i32_e32 v22, 31, v21
	v_mul_f32_e32 v18, 0x3fb8aa3b, v50
	s_delay_alu instid0(VALU_DEP_4) | instskip(NEXT) | instid1(SALU_CYCLE_1)
	s_and_b32 s0, s0, s1
	s_and_b32 s0, s17, s0
	s_delay_alu instid0(VALU_DEP_1) | instskip(SKIP_2) | instid1(VALU_DEP_3)
	v_rndne_f32_e32 v46, v18
	v_fma_f32 v20, 0x3fb8aa3b, v50, -v18
	v_lshlrev_b64 v[48:49], 2, v[21:22]
	v_sub_f32_e32 v18, v18, v46
	s_delay_alu instid0(VALU_DEP_3) | instskip(NEXT) | instid1(VALU_DEP_1)
	v_fmamk_f32 v20, v50, 0x32a5705f, v20
	v_add_f32_e32 v20, v18, v20
	v_ashrrev_i32_e32 v18, 31, v17
	s_delay_alu instid0(VALU_DEP_2) | instskip(NEXT) | instid1(VALU_DEP_1)
	v_exp_f32_e32 v52, v20
	v_lshlrev_b64 v[44:45], 2, v[17:18]
	v_ashrrev_i32_e32 v20, 31, v19
	v_cvt_i32_f32_e32 v18, v46
	s_delay_alu instid0(VALU_DEP_2) | instskip(SKIP_2) | instid1(VALU_DEP_1)
	v_lshlrev_b64 v[46:47], 2, v[19:20]
	v_cndmask_b32_e64 v20, 0x200, v51, s0
	v_add_co_u32 v44, s0, s12, v44
	v_add_co_ci_u32_e64 v45, s0, s13, v45, s0
	s_delay_alu instid0(TRANS32_DEP_1) | instskip(SKIP_1) | instid1(VALU_DEP_1)
	v_ldexp_f32 v18, v52, v18
	v_cmp_ngt_f32_e64 s0, 0xc2ce8ed0, v50
	v_cndmask_b32_e64 v18, 0, v18, s0
	s_waitcnt lgkmcnt(0)
	v_add_co_u32 v46, s0, s8, v46
	s_delay_alu instid0(VALU_DEP_1) | instskip(SKIP_1) | instid1(VALU_DEP_1)
	v_add_co_ci_u32_e64 v47, s0, s9, v47, s0
	v_cmp_nlt_f32_e64 s0, 0x42b17218, v50
	v_cndmask_b32_e64 v22, 0x7f800000, v18, s0
	v_add_co_u32 v48, s0, s10, v48
	s_delay_alu instid0(VALU_DEP_1)
	v_add_co_ci_u32_e64 v49, s0, s11, v49, s0
	global_store_b32 v[46:47], v20, off
	global_store_b32 v[44:45], v22, off
	;; [unrolled: 1-line block ×3, first 2 shown]
.LBB100_9:
	s_or_b32 exec_lo, exec_lo, s2
	v_ashrrev_i32_e32 v20, 31, v43
	s_mov_b32 s1, exec_lo
	s_delay_alu instid0(VALU_DEP_1) | instskip(NEXT) | instid1(VALU_DEP_1)
	v_lshrrev_b32_e32 v18, 28, v20
	v_add_nc_u32_e32 v18, v43, v18
	s_delay_alu instid0(VALU_DEP_1) | instskip(NEXT) | instid1(VALU_DEP_1)
	v_ashrrev_i32_e32 v18, 4, v18
	v_lshrrev_b32_e32 v44, 27, v18
	s_delay_alu instid0(VALU_DEP_1) | instskip(NEXT) | instid1(VALU_DEP_1)
	v_add_nc_u32_e32 v44, v18, v44
	v_and_b32_e32 v44, 0xffffffe0, v44
	s_delay_alu instid0(VALU_DEP_1) | instskip(NEXT) | instid1(VALU_DEP_1)
	v_sub_nc_u32_e32 v44, v18, v44
	v_cmpx_eq_u32_e64 v24, v44
	s_cbranch_execz .LBB100_11
; %bb.10:
	v_lshrrev_b32_e32 v20, 23, v20
	v_lshlrev_b32_e32 v18, 4, v18
	s_delay_alu instid0(VALU_DEP_2) | instskip(NEXT) | instid1(VALU_DEP_2)
	v_add_nc_u32_e32 v20, v43, v20
	v_sub_nc_u32_e32 v18, v43, v18
	s_delay_alu instid0(VALU_DEP_2) | instskip(NEXT) | instid1(VALU_DEP_1)
	v_ashrrev_i32_e32 v20, 9, v20
	v_lshl_add_u32 v18, v20, 4, v18
	s_delay_alu instid0(VALU_DEP_1) | instskip(NEXT) | instid1(VALU_DEP_1)
	v_cmp_ne_u32_e64 s0, 15, v18
	v_cndmask_b32_e64 v3, 0xff800000, v3, s0
	v_cmp_ne_u32_e64 s0, 14, v18
	s_delay_alu instid0(VALU_DEP_1) | instskip(SKIP_1) | instid1(VALU_DEP_1)
	v_cndmask_b32_e64 v2, 0xff800000, v2, s0
	v_cmp_ne_u32_e64 s0, 13, v18
	v_cndmask_b32_e64 v1, 0xff800000, v1, s0
	v_cmp_ne_u32_e64 s0, 12, v18
	s_delay_alu instid0(VALU_DEP_1) | instskip(SKIP_1) | instid1(VALU_DEP_1)
	v_cndmask_b32_e64 v0, 0xff800000, v0, s0
	;; [unrolled: 5-line block ×7, first 2 shown]
	v_cmp_ne_u32_e64 s0, 1, v18
	v_cndmask_b32_e64 v13, 0xff800000, v13, s0
	v_cmp_ne_u32_e64 s0, 0, v18
	s_delay_alu instid0(VALU_DEP_1)
	v_cndmask_b32_e64 v12, 0xff800000, v12, s0
.LBB100_11:
	s_or_b32 exec_lo, exec_lo, s1
	s_cmp_eq_u32 s4, 1
	s_cbranch_scc1 .LBB100_18
; %bb.12:
	v_add_nc_u32_e32 v20, s16, v16
	v_add_nc_u32_e32 v16, 1, v21
	;; [unrolled: 1-line block ×3, first 2 shown]
	s_add_i32 s14, s4, -1
	s_mov_b32 s15, 0x76543210
	v_add3_u32 v42, v20, v42, s18
	v_add_nc_u32_e32 v20, 1, v17
	s_branch .LBB100_14
.LBB100_13:                             ;   in Loop: Header=BB100_14 Depth=1
	s_or_b32 exec_lo, exec_lo, s1
	v_add_nc_u32_e32 v42, s16, v42
	v_add_nc_u32_e32 v16, 1, v16
	;; [unrolled: 1-line block ×4, first 2 shown]
	s_add_i32 s14, s14, -1
	s_delay_alu instid0(SALU_CYCLE_1)
	s_cmp_eq_u32 s14, 0
	s_cbranch_scc1 .LBB100_18
.LBB100_14:                             ; =>This Inner Loop Header: Depth=1
	v_cmp_gt_f32_e64 s0, v13, v12
	s_delay_alu instid0(VALU_DEP_1) | instskip(SKIP_1) | instid1(VALU_DEP_2)
	v_cndmask_b32_e64 v19, v12, v13, s0
	v_cndmask_b32_e64 v17, v26, v27, s0
	v_cmp_gt_f32_e64 s0, v14, v19
	s_delay_alu instid0(VALU_DEP_1) | instskip(NEXT) | instid1(VALU_DEP_3)
	v_cndmask_b32_e64 v19, v19, v14, s0
	v_cndmask_b32_e64 v17, v17, v28, s0
	s_delay_alu instid0(VALU_DEP_2) | instskip(NEXT) | instid1(VALU_DEP_1)
	v_cmp_gt_f32_e64 s0, v15, v19
	v_cndmask_b32_e64 v19, v19, v15, s0
	s_delay_alu instid0(VALU_DEP_3) | instskip(NEXT) | instid1(VALU_DEP_2)
	v_cndmask_b32_e64 v17, v17, v29, s0
	v_cmp_gt_f32_e64 s0, v8, v19
	s_delay_alu instid0(VALU_DEP_1) | instskip(NEXT) | instid1(VALU_DEP_3)
	v_cndmask_b32_e64 v19, v19, v8, s0
	v_cndmask_b32_e64 v17, v17, v30, s0
	s_delay_alu instid0(VALU_DEP_2) | instskip(NEXT) | instid1(VALU_DEP_1)
	v_cmp_gt_f32_e64 s0, v9, v19
	v_cndmask_b32_e64 v19, v19, v9, s0
	s_delay_alu instid0(VALU_DEP_3) | instskip(NEXT) | instid1(VALU_DEP_2)
	v_cndmask_b32_e64 v17, v17, v31, s0
	v_cmp_gt_f32_e64 s0, v10, v19
	s_delay_alu instid0(VALU_DEP_1) | instskip(NEXT) | instid1(VALU_DEP_3)
	v_cndmask_b32_e64 v19, v19, v10, s0
	v_cndmask_b32_e64 v17, v17, v32, s0
	s_delay_alu instid0(VALU_DEP_2) | instskip(NEXT) | instid1(VALU_DEP_1)
	v_cmp_gt_f32_e64 s0, v11, v19
	v_cndmask_b32_e64 v19, v19, v11, s0
	s_delay_alu instid0(VALU_DEP_3) | instskip(NEXT) | instid1(VALU_DEP_2)
	v_cndmask_b32_e64 v17, v17, v33, s0
	v_cmp_gt_f32_e64 s0, v4, v19
	s_delay_alu instid0(VALU_DEP_1) | instskip(NEXT) | instid1(VALU_DEP_3)
	v_cndmask_b32_e64 v19, v19, v4, s0
	v_cndmask_b32_e64 v17, v17, v34, s0
	s_delay_alu instid0(VALU_DEP_2) | instskip(NEXT) | instid1(VALU_DEP_1)
	v_cmp_gt_f32_e64 s0, v5, v19
	v_cndmask_b32_e64 v19, v19, v5, s0
	s_delay_alu instid0(VALU_DEP_3) | instskip(NEXT) | instid1(VALU_DEP_2)
	v_cndmask_b32_e64 v17, v17, v35, s0
	v_cmp_gt_f32_e64 s0, v6, v19
	s_delay_alu instid0(VALU_DEP_1) | instskip(NEXT) | instid1(VALU_DEP_3)
	v_cndmask_b32_e64 v19, v19, v6, s0
	v_cndmask_b32_e64 v17, v17, v36, s0
	s_delay_alu instid0(VALU_DEP_2) | instskip(NEXT) | instid1(VALU_DEP_1)
	v_cmp_gt_f32_e64 s0, v7, v19
	v_cndmask_b32_e64 v19, v19, v7, s0
	s_delay_alu instid0(VALU_DEP_3) | instskip(NEXT) | instid1(VALU_DEP_2)
	v_cndmask_b32_e64 v17, v17, v37, s0
	v_cmp_gt_f32_e64 s0, v0, v19
	s_delay_alu instid0(VALU_DEP_1) | instskip(NEXT) | instid1(VALU_DEP_3)
	v_cndmask_b32_e64 v19, v19, v0, s0
	v_cndmask_b32_e64 v17, v17, v38, s0
	s_delay_alu instid0(VALU_DEP_2) | instskip(NEXT) | instid1(VALU_DEP_1)
	v_cmp_gt_f32_e64 s0, v1, v19
	v_cndmask_b32_e64 v19, v19, v1, s0
	s_delay_alu instid0(VALU_DEP_3) | instskip(NEXT) | instid1(VALU_DEP_2)
	v_cndmask_b32_e64 v17, v17, v39, s0
	v_cmp_gt_f32_e64 s0, v2, v19
	s_delay_alu instid0(VALU_DEP_1) | instskip(NEXT) | instid1(VALU_DEP_3)
	v_cndmask_b32_e64 v19, v19, v2, s0
	v_cndmask_b32_e64 v17, v17, v40, s0
	s_delay_alu instid0(VALU_DEP_2) | instskip(NEXT) | instid1(VALU_DEP_1)
	v_cmp_gt_f32_e64 s0, v3, v19
	v_cndmask_b32_e64 v17, v17, v41, s0
	v_cndmask_b32_e64 v19, v19, v3, s0
	s_delay_alu instid0(VALU_DEP_2) | instskip(NEXT) | instid1(VALU_DEP_2)
	v_mov_b32_dpp v21, v17 quad_perm:[1,0,3,2] row_mask:0xf bank_mask:0xf
	v_mov_b32_dpp v43, v19 quad_perm:[1,0,3,2] row_mask:0xf bank_mask:0xf
	s_delay_alu instid0(VALU_DEP_2) | instskip(NEXT) | instid1(VALU_DEP_2)
	v_cmp_lt_i32_e64 s0, v21, v17
	v_cmp_eq_f32_e64 s1, v19, v43
	v_cmp_lt_f32_e64 s2, v19, v43
	s_delay_alu instid0(VALU_DEP_2)
	s_and_b32 s0, s1, s0
	s_delay_alu instid0(VALU_DEP_1) | instid1(SALU_CYCLE_1)
	s_or_b32 s0, s2, s0
	s_delay_alu instid0(SALU_CYCLE_1) | instskip(SKIP_1) | instid1(VALU_DEP_2)
	v_cndmask_b32_e64 v19, v19, v43, s0
	v_cndmask_b32_e64 v17, v17, v21, s0
	v_mov_b32_dpp v21, v19 quad_perm:[2,3,0,1] row_mask:0xf bank_mask:0xf
	s_delay_alu instid0(VALU_DEP_2) | instskip(NEXT) | instid1(VALU_DEP_2)
	v_mov_b32_dpp v43, v17 quad_perm:[2,3,0,1] row_mask:0xf bank_mask:0xf
	v_cmp_eq_f32_e64 s0, v19, v21
	s_delay_alu instid0(VALU_DEP_2) | instskip(SKIP_1) | instid1(VALU_DEP_2)
	v_cmp_lt_i32_e64 s1, v43, v17
	v_cmp_lt_f32_e64 s2, v19, v21
	s_and_b32 s0, s0, s1
	s_delay_alu instid0(VALU_DEP_1) | instid1(SALU_CYCLE_1)
	s_or_b32 s0, s2, s0
	s_delay_alu instid0(SALU_CYCLE_1) | instskip(SKIP_1) | instid1(VALU_DEP_2)
	v_cndmask_b32_e64 v19, v19, v21, s0
	v_cndmask_b32_e64 v17, v17, v43, s0
	v_mov_b32_dpp v21, v19 row_xmask:7 row_mask:0xf bank_mask:0xf
	s_delay_alu instid0(VALU_DEP_2) | instskip(NEXT) | instid1(VALU_DEP_2)
	v_mov_b32_dpp v43, v17 row_xmask:7 row_mask:0xf bank_mask:0xf
	v_cmp_eq_f32_e64 s0, v19, v21
	s_delay_alu instid0(VALU_DEP_2) | instskip(SKIP_1) | instid1(VALU_DEP_2)
	v_cmp_lt_i32_e64 s1, v43, v17
	v_cmp_lt_f32_e64 s2, v19, v21
	s_and_b32 s0, s0, s1
	s_delay_alu instid0(VALU_DEP_1) | instid1(SALU_CYCLE_1)
	s_or_b32 s0, s2, s0
	s_delay_alu instid0(SALU_CYCLE_1) | instskip(SKIP_1) | instid1(VALU_DEP_2)
	v_cndmask_b32_e64 v19, v19, v21, s0
	v_cndmask_b32_e64 v21, v17, v43, s0
	v_mov_b32_dpp v17, v19 row_xmask:15 row_mask:0xf bank_mask:0xf
	s_delay_alu instid0(VALU_DEP_2) | instskip(NEXT) | instid1(VALU_DEP_2)
	v_mov_b32_dpp v43, v21 row_xmask:15 row_mask:0xf bank_mask:0xf
	v_cmp_eq_f32_e64 s0, v19, v17
	s_delay_alu instid0(VALU_DEP_2) | instskip(SKIP_1) | instid1(VALU_DEP_2)
	v_cmp_lt_i32_e64 s1, v43, v21
	v_cmp_lt_f32_e64 s2, v19, v17
	s_and_b32 s0, s0, s1
	s_delay_alu instid0(VALU_DEP_1) | instid1(SALU_CYCLE_1)
	s_or_b32 s0, s2, s0
	s_delay_alu instid0(SALU_CYCLE_1) | instskip(SKIP_1) | instid1(VALU_DEP_2)
	v_cndmask_b32_e64 v17, v19, v17, s0
	v_cndmask_b32_e64 v21, v21, v43, s0
	v_permlanex16_b32 v19, v17, s15, 0xfedcba98 op_sel:[1,1]
	s_delay_alu instid0(VALU_DEP_2) | instskip(NEXT) | instid1(VALU_DEP_2)
	v_permlanex16_b32 v43, v21, s15, 0xfedcba98 op_sel:[1,1]
	v_cmp_eq_f32_e64 s0, v17, v19
	s_delay_alu instid0(VALU_DEP_2) | instskip(SKIP_1) | instid1(VALU_DEP_2)
	v_cmp_lt_i32_e64 s1, v43, v21
	v_cmp_lt_f32_e64 s2, v17, v19
	s_and_b32 s0, s0, s1
	s_delay_alu instid0(VALU_DEP_1) | instid1(SALU_CYCLE_1)
	s_or_b32 s0, s2, s0
	s_delay_alu instid0(SALU_CYCLE_1)
	v_cndmask_b32_e64 v43, v21, v43, s0
	s_and_saveexec_b32 s2, vcc_lo
	s_cbranch_execz .LBB100_16
; %bb.15:                               ;   in Loop: Header=BB100_14 Depth=1
	v_cndmask_b32_e64 v17, v17, v19, s0
	s_delay_alu instid0(VALU_DEP_2) | instskip(SKIP_4) | instid1(VALU_DEP_4)
	v_cmp_le_i32_e64 s0, s5, v43
	v_cmp_gt_i32_e64 s1, s6, v43
	v_ashrrev_i32_e32 v21, 31, v20
	v_subrev_nc_u32_e32 v51, s5, v43
	v_sub_f32_e32 v50, v17, v25
	s_and_b32 s0, s0, s1
	s_delay_alu instid0(SALU_CYCLE_1) | instskip(NEXT) | instid1(VALU_DEP_1)
	s_and_b32 s0, s17, s0
	v_mul_f32_e32 v17, 0x3fb8aa3b, v50
	s_delay_alu instid0(VALU_DEP_1) | instskip(SKIP_1) | instid1(VALU_DEP_2)
	v_fma_f32 v19, 0x3fb8aa3b, v50, -v17
	v_rndne_f32_e32 v44, v17
	v_fmac_f32_e32 v19, 0x32a5705f, v50
	s_delay_alu instid0(VALU_DEP_2) | instskip(SKIP_2) | instid1(VALU_DEP_3)
	v_sub_f32_e32 v17, v17, v44
	v_cvt_i32_f32_e32 v49, v44
	v_lshlrev_b64 v[44:45], 2, v[20:21]
	v_add_f32_e32 v17, v17, v19
	v_ashrrev_i32_e32 v19, 31, v18
	s_delay_alu instid0(VALU_DEP_2) | instskip(SKIP_1) | instid1(VALU_DEP_2)
	v_exp_f32_e32 v48, v17
	v_ashrrev_i32_e32 v17, 31, v16
	v_lshlrev_b64 v[46:47], 2, v[18:19]
	s_waitcnt_depctr 0xfff
	v_ldexp_f32 v19, v48, v49
	v_lshlrev_b64 v[48:49], 2, v[16:17]
	v_cndmask_b32_e64 v17, 0x200, v51, s0
	v_cmp_ngt_f32_e64 s0, 0xc2ce8ed0, v50
	s_delay_alu instid0(VALU_DEP_1) | instskip(SKIP_1) | instid1(VALU_DEP_1)
	v_cndmask_b32_e64 v19, 0, v19, s0
	v_add_co_u32 v44, s0, s12, v44
	v_add_co_ci_u32_e64 v45, s0, s13, v45, s0
	v_cmp_nlt_f32_e64 s0, 0x42b17218, v50
	s_delay_alu instid0(VALU_DEP_1) | instskip(SKIP_2) | instid1(VALU_DEP_1)
	v_cndmask_b32_e64 v19, 0x7f800000, v19, s0
	s_waitcnt lgkmcnt(0)
	v_add_co_u32 v46, s0, s8, v46
	v_add_co_ci_u32_e64 v47, s0, s9, v47, s0
	s_delay_alu instid0(VALU_DEP_3) | instskip(SKIP_1) | instid1(VALU_DEP_1)
	v_add_f32_e32 v22, v22, v19
	v_add_co_u32 v48, s0, s10, v48
	v_add_co_ci_u32_e64 v49, s0, s11, v49, s0
	global_store_b32 v[44:45], v19, off
	global_store_b32 v[46:47], v17, off
	;; [unrolled: 1-line block ×3, first 2 shown]
.LBB100_16:                             ;   in Loop: Header=BB100_14 Depth=1
	s_or_b32 exec_lo, exec_lo, s2
	s_delay_alu instid0(VALU_DEP_1) | instskip(SKIP_1) | instid1(VALU_DEP_1)
	v_ashrrev_i32_e32 v19, 31, v43
	s_mov_b32 s1, exec_lo
	v_lshrrev_b32_e32 v17, 28, v19
	s_delay_alu instid0(VALU_DEP_1) | instskip(NEXT) | instid1(VALU_DEP_1)
	v_add_nc_u32_e32 v17, v43, v17
	v_ashrrev_i32_e32 v17, 4, v17
	s_delay_alu instid0(VALU_DEP_1) | instskip(NEXT) | instid1(VALU_DEP_1)
	v_lshrrev_b32_e32 v21, 27, v17
	v_add_nc_u32_e32 v21, v17, v21
	s_delay_alu instid0(VALU_DEP_1) | instskip(NEXT) | instid1(VALU_DEP_1)
	v_and_b32_e32 v21, 0xffffffe0, v21
	v_sub_nc_u32_e32 v21, v17, v21
	s_delay_alu instid0(VALU_DEP_1)
	v_cmpx_eq_u32_e64 v24, v21
	s_cbranch_execz .LBB100_13
; %bb.17:                               ;   in Loop: Header=BB100_14 Depth=1
	v_lshrrev_b32_e32 v19, 23, v19
	v_lshlrev_b32_e32 v17, 4, v17
	s_delay_alu instid0(VALU_DEP_2) | instskip(NEXT) | instid1(VALU_DEP_2)
	v_add_nc_u32_e32 v19, v43, v19
	v_sub_nc_u32_e32 v17, v43, v17
	s_delay_alu instid0(VALU_DEP_2) | instskip(NEXT) | instid1(VALU_DEP_1)
	v_ashrrev_i32_e32 v19, 9, v19
	v_lshl_add_u32 v17, v19, 4, v17
	s_delay_alu instid0(VALU_DEP_1) | instskip(NEXT) | instid1(VALU_DEP_1)
	v_cmp_ne_u32_e64 s0, 15, v17
	v_cndmask_b32_e64 v3, 0xff800000, v3, s0
	v_cmp_ne_u32_e64 s0, 14, v17
	s_delay_alu instid0(VALU_DEP_1) | instskip(SKIP_1) | instid1(VALU_DEP_1)
	v_cndmask_b32_e64 v2, 0xff800000, v2, s0
	v_cmp_ne_u32_e64 s0, 13, v17
	v_cndmask_b32_e64 v1, 0xff800000, v1, s0
	v_cmp_ne_u32_e64 s0, 12, v17
	s_delay_alu instid0(VALU_DEP_1) | instskip(SKIP_1) | instid1(VALU_DEP_1)
	v_cndmask_b32_e64 v0, 0xff800000, v0, s0
	v_cmp_ne_u32_e64 s0, 11, v17
	v_cndmask_b32_e64 v7, 0xff800000, v7, s0
	v_cmp_ne_u32_e64 s0, 10, v17
	s_delay_alu instid0(VALU_DEP_1) | instskip(SKIP_1) | instid1(VALU_DEP_1)
	v_cndmask_b32_e64 v6, 0xff800000, v6, s0
	v_cmp_ne_u32_e64 s0, 9, v17
	v_cndmask_b32_e64 v5, 0xff800000, v5, s0
	v_cmp_ne_u32_e64 s0, 8, v17
	s_delay_alu instid0(VALU_DEP_1) | instskip(SKIP_1) | instid1(VALU_DEP_1)
	v_cndmask_b32_e64 v4, 0xff800000, v4, s0
	v_cmp_ne_u32_e64 s0, 7, v17
	v_cndmask_b32_e64 v11, 0xff800000, v11, s0
	v_cmp_ne_u32_e64 s0, 6, v17
	s_delay_alu instid0(VALU_DEP_1) | instskip(SKIP_1) | instid1(VALU_DEP_1)
	v_cndmask_b32_e64 v10, 0xff800000, v10, s0
	v_cmp_ne_u32_e64 s0, 5, v17
	v_cndmask_b32_e64 v9, 0xff800000, v9, s0
	v_cmp_ne_u32_e64 s0, 4, v17
	s_delay_alu instid0(VALU_DEP_1) | instskip(SKIP_1) | instid1(VALU_DEP_1)
	v_cndmask_b32_e64 v8, 0xff800000, v8, s0
	v_cmp_ne_u32_e64 s0, 3, v17
	v_cndmask_b32_e64 v15, 0xff800000, v15, s0
	v_cmp_ne_u32_e64 s0, 2, v17
	s_delay_alu instid0(VALU_DEP_1) | instskip(SKIP_1) | instid1(VALU_DEP_1)
	v_cndmask_b32_e64 v14, 0xff800000, v14, s0
	v_cmp_ne_u32_e64 s0, 1, v17
	v_cndmask_b32_e64 v13, 0xff800000, v13, s0
	v_cmp_ne_u32_e64 s0, 0, v17
	s_delay_alu instid0(VALU_DEP_1)
	v_cndmask_b32_e64 v12, 0xff800000, v12, s0
	s_branch .LBB100_13
.LBB100_18:
	s_delay_alu instid0(VALU_DEP_1) | instskip(SKIP_3) | instid1(VALU_DEP_4)
	v_sub_f32_e32 v15, v15, v25
	v_sub_f32_e32 v12, v12, v25
	v_sub_f32_e32 v10, v10, v25
	v_sub_f32_e32 v3, v3, v25
	v_dual_sub_f32 v2, v2, v25 :: v_dual_mul_f32 v27, 0x3fb8aa3b, v15
	s_delay_alu instid0(VALU_DEP_4) | instskip(SKIP_2) | instid1(VALU_DEP_4)
	v_dual_sub_f32 v13, v13, v25 :: v_dual_mul_f32 v16, 0x3fb8aa3b, v12
	v_cmp_ngt_f32_e32 vcc_lo, 0xc2ce8ed0, v12
	v_sub_f32_e32 v9, v9, v25
	v_rndne_f32_e32 v30, v27
	s_delay_alu instid0(VALU_DEP_4)
	v_mul_f32_e32 v17, 0x3fb8aa3b, v13
	v_fma_f32 v18, 0x3fb8aa3b, v12, -v16
	v_rndne_f32_e32 v19, v16
	v_sub_f32_e32 v11, v11, v25
	v_sub_f32_e32 v5, v5, v25
	v_rndne_f32_e32 v21, v17
	v_fmac_f32_e32 v18, 0x32a5705f, v12
	v_sub_f32_e32 v16, v16, v19
	v_fma_f32 v29, 0x3fb8aa3b, v15, -v27
	v_sub_f32_e32 v8, v8, v25
	v_fma_f32 v20, 0x3fb8aa3b, v13, -v17
	v_sub_f32_e32 v17, v17, v21
	v_cvt_i32_f32_e32 v19, v19
	v_dual_fmac_f32 v29, 0x32a5705f, v15 :: v_dual_add_f32 v16, v16, v18
	s_delay_alu instid0(VALU_DEP_4)
	v_fmac_f32_e32 v20, 0x32a5705f, v13
	v_cvt_i32_f32_e32 v21, v21
	v_sub_f32_e32 v4, v4, v25
	v_sub_f32_e32 v7, v7, v25
	v_exp_f32_e32 v16, v16
	v_sub_f32_e32 v1, v1, v25
	s_waitcnt_depctr 0xfff
	v_ldexp_f32 v16, v16, v19
	v_dual_sub_f32 v19, v27, v30 :: v_dual_sub_f32 v14, v14, v25
	v_add_f32_e32 v17, v17, v20
	s_delay_alu instid0(VALU_DEP_3) | instskip(SKIP_1) | instid1(VALU_DEP_4)
	v_cndmask_b32_e32 v16, 0, v16, vcc_lo
	v_cmp_ngt_f32_e32 vcc_lo, 0xc2ce8ed0, v13
	v_mul_f32_e32 v26, 0x3fb8aa3b, v14
	s_delay_alu instid0(VALU_DEP_4) | instskip(SKIP_1) | instid1(VALU_DEP_2)
	v_exp_f32_e32 v17, v17
	v_add_f32_e32 v19, v19, v29
	v_fma_f32 v18, 0x3fb8aa3b, v14, -v26
	v_rndne_f32_e32 v20, v26
	s_delay_alu instid0(VALU_DEP_3) | instskip(SKIP_2) | instid1(VALU_DEP_1)
	v_exp_f32_e32 v19, v19
	s_waitcnt_depctr 0xfff
	v_ldexp_f32 v17, v17, v21
	v_dual_mul_f32 v28, 0x3fb8aa3b, v8 :: v_dual_cndmask_b32 v17, 0, v17
	v_cmp_nlt_f32_e32 vcc_lo, 0x42b17218, v12
	v_cndmask_b32_e32 v12, 0x7f800000, v16, vcc_lo
	v_cmp_nlt_f32_e32 vcc_lo, 0x42b17218, v13
	v_sub_f32_e32 v26, v26, v20
	v_cvt_i32_f32_e32 v20, v20
	v_fma_f32 v16, 0x3fb8aa3b, v8, -v28
	v_cndmask_b32_e32 v13, 0x7f800000, v17, vcc_lo
	v_cmp_ngt_f32_e32 vcc_lo, 0xc2ce8ed0, v14
	v_fmac_f32_e32 v18, 0x32a5705f, v14
	s_delay_alu instid0(VALU_DEP_3) | instskip(NEXT) | instid1(VALU_DEP_2)
	v_add_f32_e32 v12, v12, v13
	v_add_f32_e32 v18, v26, v18
	s_delay_alu instid0(VALU_DEP_1) | instskip(SKIP_3) | instid1(VALU_DEP_2)
	v_exp_f32_e32 v18, v18
	s_waitcnt_depctr 0xfff
	v_ldexp_f32 v17, v18, v20
	v_rndne_f32_e32 v18, v28
	v_cndmask_b32_e32 v13, 0, v17, vcc_lo
	v_cvt_i32_f32_e32 v17, v30
	v_cmp_nlt_f32_e32 vcc_lo, 0x42b17218, v14
	s_delay_alu instid0(VALU_DEP_4) | instskip(NEXT) | instid1(VALU_DEP_3)
	v_sub_f32_e32 v20, v28, v18
	v_ldexp_f32 v14, v19, v17
	v_cndmask_b32_e32 v13, 0x7f800000, v13, vcc_lo
	v_cmp_ngt_f32_e32 vcc_lo, 0xc2ce8ed0, v15
	v_mul_f32_e32 v17, 0x3fb8aa3b, v9
	s_delay_alu instid0(VALU_DEP_3) | instskip(SKIP_1) | instid1(VALU_DEP_3)
	v_dual_add_f32 v12, v12, v13 :: v_dual_cndmask_b32 v13, 0, v14
	v_cmp_nlt_f32_e32 vcc_lo, 0x42b17218, v15
	v_rndne_f32_e32 v19, v17
	v_cvt_i32_f32_e32 v15, v18
	v_mul_f32_e32 v18, 0x3fb8aa3b, v10
	v_cndmask_b32_e32 v13, 0x7f800000, v13, vcc_lo
	v_cmp_ngt_f32_e32 vcc_lo, 0xc2ce8ed0, v8
	v_fmac_f32_e32 v16, 0x32a5705f, v8
	s_delay_alu instid0(VALU_DEP_3) | instskip(NEXT) | instid1(VALU_DEP_2)
	v_add_f32_e32 v12, v12, v13
	v_add_f32_e32 v16, v20, v16
	s_delay_alu instid0(VALU_DEP_1) | instskip(SKIP_1) | instid1(VALU_DEP_1)
	v_exp_f32_e32 v14, v16
	v_fma_f32 v16, 0x3fb8aa3b, v9, -v17
	v_dual_sub_f32 v17, v17, v19 :: v_dual_fmac_f32 v16, 0x32a5705f, v9
	s_waitcnt_depctr 0xfff
	v_ldexp_f32 v13, v14, v15
	v_add_f32_e32 v14, v17, v16
	v_fma_f32 v15, 0x3fb8aa3b, v10, -v18
	v_rndne_f32_e32 v16, v18
	s_delay_alu instid0(VALU_DEP_4) | instskip(NEXT) | instid1(VALU_DEP_4)
	v_cndmask_b32_e32 v13, 0, v13, vcc_lo
	v_exp_f32_e32 v14, v14
	s_delay_alu instid0(VALU_DEP_3) | instskip(NEXT) | instid1(VALU_DEP_3)
	v_fmac_f32_e32 v15, 0x32a5705f, v10
	v_sub_f32_e32 v17, v18, v16
	v_cmp_nlt_f32_e32 vcc_lo, 0x42b17218, v8
	v_cvt_i32_f32_e32 v16, v16
	s_delay_alu instid0(VALU_DEP_3) | instskip(SKIP_3) | instid1(VALU_DEP_4)
	v_dual_add_f32 v15, v17, v15 :: v_dual_cndmask_b32 v8, 0x7f800000, v13
	v_cvt_i32_f32_e32 v13, v19
	v_mul_f32_e32 v17, 0x3fb8aa3b, v11
	v_cmp_ngt_f32_e32 vcc_lo, 0xc2ce8ed0, v9
	v_add_f32_e32 v8, v12, v8
	s_delay_alu instid0(VALU_DEP_4) | instskip(SKIP_3) | instid1(VALU_DEP_3)
	v_ldexp_f32 v12, v14, v13
	v_exp_f32_e32 v13, v15
	v_fma_f32 v14, 0x3fb8aa3b, v11, -v17
	v_rndne_f32_e32 v15, v17
	v_cndmask_b32_e32 v12, 0, v12, vcc_lo
	v_cmp_nlt_f32_e32 vcc_lo, 0x42b17218, v9
	s_delay_alu instid0(VALU_DEP_3) | instskip(NEXT) | instid1(VALU_DEP_3)
	v_sub_f32_e32 v17, v17, v15
	v_cndmask_b32_e32 v9, 0x7f800000, v12, vcc_lo
	s_delay_alu instid0(TRANS32_DEP_1) | instskip(SKIP_3) | instid1(VALU_DEP_4)
	v_ldexp_f32 v12, v13, v16
	v_cmp_ngt_f32_e32 vcc_lo, 0xc2ce8ed0, v10
	v_fmac_f32_e32 v14, 0x32a5705f, v11
	v_mul_f32_e32 v16, 0x3fb8aa3b, v5
	v_dual_add_f32 v8, v8, v9 :: v_dual_cndmask_b32 v9, 0, v12
	s_delay_alu instid0(VALU_DEP_3) | instskip(SKIP_3) | instid1(VALU_DEP_4)
	v_add_f32_e32 v13, v17, v14
	v_cmp_nlt_f32_e32 vcc_lo, 0x42b17218, v10
	v_cvt_i32_f32_e32 v10, v15
	v_mul_f32_e32 v17, 0x3fb8aa3b, v7
	v_exp_f32_e32 v12, v13
	v_mul_f32_e32 v13, 0x3fb8aa3b, v4
	s_delay_alu instid0(VALU_DEP_1) | instskip(SKIP_3) | instid1(VALU_DEP_4)
	v_fma_f32 v14, 0x3fb8aa3b, v4, -v13
	v_rndne_f32_e32 v15, v13
	v_cndmask_b32_e32 v9, 0x7f800000, v9, vcc_lo
	v_cmp_ngt_f32_e32 vcc_lo, 0xc2ce8ed0, v11
	v_fmac_f32_e32 v14, 0x32a5705f, v4
	s_delay_alu instid0(VALU_DEP_3) | instskip(NEXT) | instid1(TRANS32_DEP_1)
	v_add_f32_e32 v8, v8, v9
	v_ldexp_f32 v9, v12, v10
	v_sub_f32_e32 v10, v13, v15
	v_fma_f32 v12, 0x3fb8aa3b, v5, -v16
	v_rndne_f32_e32 v13, v16
	v_cvt_i32_f32_e32 v15, v15
	v_cndmask_b32_e32 v9, 0, v9, vcc_lo
	v_cmp_nlt_f32_e32 vcc_lo, 0x42b17218, v11
	v_add_f32_e32 v10, v10, v14
	v_fmac_f32_e32 v12, 0x32a5705f, v5
	v_sub_f32_e32 v14, v16, v13
	v_cndmask_b32_e32 v9, 0x7f800000, v9, vcc_lo
	s_delay_alu instid0(VALU_DEP_4) | instskip(SKIP_1) | instid1(VALU_DEP_2)
	v_exp_f32_e32 v10, v10
	v_cmp_ngt_f32_e32 vcc_lo, 0xc2ce8ed0, v4
	v_dual_add_f32 v11, v14, v12 :: v_dual_add_f32 v8, v8, v9
	s_delay_alu instid0(VALU_DEP_1)
	v_exp_f32_e32 v11, v11
	s_waitcnt_depctr 0xfff
	v_ldexp_f32 v9, v10, v15
	v_cvt_i32_f32_e32 v10, v13
	v_fma_f32 v13, 0x3fb8aa3b, v7, -v17
	v_sub_f32_e32 v6, v6, v25
	v_rndne_f32_e32 v15, v17
	v_cndmask_b32_e32 v9, 0, v9, vcc_lo
	v_cmp_nlt_f32_e32 vcc_lo, 0x42b17218, v4
	v_fmac_f32_e32 v13, 0x32a5705f, v7
	v_mul_f32_e32 v16, 0x3fb8aa3b, v6
	v_ldexp_f32 v10, v11, v10
	v_cndmask_b32_e32 v4, 0x7f800000, v9, vcc_lo
	v_cmp_ngt_f32_e32 vcc_lo, 0xc2ce8ed0, v5
	s_delay_alu instid0(VALU_DEP_4) | instskip(SKIP_2) | instid1(VALU_DEP_3)
	v_fma_f32 v12, 0x3fb8aa3b, v6, -v16
	v_rndne_f32_e32 v14, v16
	v_cndmask_b32_e32 v10, 0, v10, vcc_lo
	v_fmac_f32_e32 v12, 0x32a5705f, v6
	s_delay_alu instid0(VALU_DEP_3) | instskip(SKIP_2) | instid1(VALU_DEP_3)
	v_sub_f32_e32 v16, v16, v14
	v_cmp_nlt_f32_e32 vcc_lo, 0x42b17218, v5
	v_cvt_i32_f32_e32 v9, v14
	v_dual_add_f32 v12, v16, v12 :: v_dual_cndmask_b32 v5, 0x7f800000, v10
	v_mul_f32_e32 v10, 0x3fb8aa3b, v2
	v_cmp_ngt_f32_e32 vcc_lo, 0xc2ce8ed0, v6
	s_delay_alu instid0(VALU_DEP_3) | instskip(SKIP_1) | instid1(VALU_DEP_1)
	v_exp_f32_e32 v11, v12
	v_sub_f32_e32 v12, v17, v15
	v_dual_add_f32 v12, v12, v13 :: v_dual_mul_f32 v13, 0x3fb8aa3b, v3
	v_add_f32_e32 v4, v8, v4
	s_waitcnt_depctr 0xfff
	v_ldexp_f32 v8, v11, v9
	v_fma_f32 v11, 0x3fb8aa3b, v2, -v10
	v_rndne_f32_e32 v14, v13
	v_sub_f32_e32 v0, v0, v25
	v_add_f32_e32 v4, v4, v5
	v_cvt_i32_f32_e32 v5, v15
	v_fmac_f32_e32 v11, 0x32a5705f, v2
	v_exp_f32_e32 v9, v12
	v_cndmask_b32_e32 v8, 0, v8, vcc_lo
	v_cmp_nlt_f32_e32 vcc_lo, 0x42b17218, v6
	v_rndne_f32_e32 v12, v10
	s_delay_alu instid0(VALU_DEP_3) | instskip(SKIP_2) | instid1(TRANS32_DEP_1)
	v_cndmask_b32_e32 v6, 0x7f800000, v8, vcc_lo
	v_mul_f32_e32 v8, 0x3fb8aa3b, v0
	v_cmp_ngt_f32_e32 vcc_lo, 0xc2ce8ed0, v7
	v_ldexp_f32 v5, v9, v5
	s_delay_alu instid0(VALU_DEP_4) | instskip(NEXT) | instid1(VALU_DEP_4)
	v_add_f32_e32 v4, v4, v6
	v_fma_f32 v6, 0x3fb8aa3b, v0, -v8
	v_rndne_f32_e32 v9, v8
	s_delay_alu instid0(VALU_DEP_4)
	v_cndmask_b32_e32 v5, 0, v5, vcc_lo
	v_cmp_nlt_f32_e32 vcc_lo, 0x42b17218, v7
	v_mul_f32_e32 v7, 0x3fb8aa3b, v1
	v_fmac_f32_e32 v6, 0x32a5705f, v0
	v_sub_f32_e32 v8, v8, v9
	v_cvt_i32_f32_e32 v9, v9
	s_delay_alu instid0(VALU_DEP_2) | instskip(SKIP_1) | instid1(VALU_DEP_2)
	v_dual_cndmask_b32 v5, 0x7f800000, v5 :: v_dual_add_f32 v6, v8, v6
	v_rndne_f32_e32 v8, v7
	v_add_f32_e32 v4, v4, v5
	v_fma_f32 v5, 0x3fb8aa3b, v1, -v7
	s_delay_alu instid0(VALU_DEP_4) | instskip(NEXT) | instid1(VALU_DEP_3)
	v_exp_f32_e32 v6, v6
	v_sub_f32_e32 v7, v7, v8
	v_cvt_i32_f32_e32 v8, v8
	s_delay_alu instid0(VALU_DEP_3) | instskip(NEXT) | instid1(VALU_DEP_1)
	v_fmac_f32_e32 v5, 0x32a5705f, v1
	v_add_f32_e32 v5, v7, v5
	v_sub_f32_e32 v7, v10, v12
	s_waitcnt_depctr 0xfff
	v_ldexp_f32 v6, v6, v9
	v_sub_f32_e32 v9, v13, v14
	v_cmp_ngt_f32_e32 vcc_lo, 0xc2ce8ed0, v0
	v_exp_f32_e32 v5, v5
	s_delay_alu instid0(VALU_DEP_3) | instskip(SKIP_2) | instid1(VALU_DEP_3)
	v_dual_add_f32 v7, v7, v11 :: v_dual_cndmask_b32 v6, 0, v6
	v_fma_f32 v10, 0x3fb8aa3b, v3, -v13
	v_cmp_nlt_f32_e32 vcc_lo, 0x42b17218, v0
	v_exp_f32_e32 v7, v7
	s_delay_alu instid0(VALU_DEP_2)
	v_fmac_f32_e32 v10, 0x32a5705f, v3
	s_waitcnt_depctr 0xfff
	v_ldexp_f32 v5, v5, v8
	v_cndmask_b32_e32 v0, 0x7f800000, v6, vcc_lo
	v_cmp_ngt_f32_e32 vcc_lo, 0xc2ce8ed0, v1
	v_cvt_i32_f32_e32 v6, v12
	s_delay_alu instid0(VALU_DEP_3) | instskip(SKIP_2) | instid1(VALU_DEP_3)
	v_dual_add_f32 v9, v9, v10 :: v_dual_add_f32 v0, v4, v0
	v_cndmask_b32_e32 v5, 0, v5, vcc_lo
	v_cmp_nlt_f32_e32 vcc_lo, 0x42b17218, v1
	v_exp_f32_e32 v8, v9
	v_ldexp_f32 v4, v7, v6
	v_cvt_i32_f32_e32 v6, v14
	v_cndmask_b32_e32 v1, 0x7f800000, v5, vcc_lo
	v_cmp_ngt_f32_e32 vcc_lo, 0xc2ce8ed0, v2
	s_delay_alu instid0(VALU_DEP_2) | instskip(SKIP_2) | instid1(TRANS32_DEP_1)
	v_add_f32_e32 v0, v0, v1
	v_cndmask_b32_e32 v4, 0, v4, vcc_lo
	v_cmp_nlt_f32_e32 vcc_lo, 0x42b17218, v2
	v_ldexp_f32 v5, v8, v6
	s_delay_alu instid0(VALU_DEP_3) | instskip(SKIP_1) | instid1(VALU_DEP_2)
	v_cndmask_b32_e32 v1, 0x7f800000, v4, vcc_lo
	v_cmp_ngt_f32_e32 vcc_lo, 0xc2ce8ed0, v3
	v_add_f32_e32 v0, v0, v1
	s_delay_alu instid0(VALU_DEP_4) | instskip(SKIP_1) | instid1(VALU_DEP_2)
	v_cndmask_b32_e32 v2, 0, v5, vcc_lo
	v_cmp_nlt_f32_e32 vcc_lo, 0x42b17218, v3
	v_cndmask_b32_e32 v1, 0x7f800000, v2, vcc_lo
	v_cmp_eq_u32_e32 vcc_lo, 0, v24
	s_delay_alu instid0(VALU_DEP_2) | instskip(NEXT) | instid1(VALU_DEP_1)
	v_add_f32_e32 v0, v0, v1
	v_mov_b32_dpp v1, v0 quad_perm:[1,0,3,2] row_mask:0xf bank_mask:0xf
	s_delay_alu instid0(VALU_DEP_1) | instskip(NEXT) | instid1(VALU_DEP_1)
	v_add_f32_e32 v0, v0, v1
	v_mov_b32_dpp v1, v0 quad_perm:[2,3,0,1] row_mask:0xf bank_mask:0xf
	s_delay_alu instid0(VALU_DEP_1) | instskip(NEXT) | instid1(VALU_DEP_1)
	v_add_f32_e32 v0, v0, v1
	v_mov_b32_dpp v1, v0 row_xmask:7 row_mask:0xf bank_mask:0xf
	s_delay_alu instid0(VALU_DEP_1) | instskip(NEXT) | instid1(VALU_DEP_1)
	v_add_f32_e32 v0, v0, v1
	v_mov_b32_dpp v1, v0 row_xmask:15 row_mask:0xf bank_mask:0xf
	s_and_b32 exec_lo, exec_lo, vcc_lo
	s_cbranch_execz .LBB100_23
; %bb.19:
	s_delay_alu instid0(VALU_DEP_1)
	v_add_f32_e32 v0, v0, v1
	s_mov_b32 s0, 0x76543210
	s_delay_alu instid0(VALU_DEP_1) | instid1(SALU_CYCLE_1)
	v_permlanex16_b32 v1, v0, s0, 0xfedcba98 op_sel:[1,1]
	s_delay_alu instid0(VALU_DEP_1) | instskip(NEXT) | instid1(VALU_DEP_1)
	v_add_f32_e32 v0, v0, v1
	v_add_f32_e32 v0, v22, v0
	s_delay_alu instid0(VALU_DEP_1)
	v_cmp_neq_f32_e32 vcc_lo, 0, v0
	s_and_b32 exec_lo, exec_lo, vcc_lo
	s_cbranch_execz .LBB100_23
; %bb.20:
	s_and_not1_b32 vcc_lo, exec_lo, s3
	s_cbranch_vccnz .LBB100_23
; %bb.21:
	v_div_scale_f32 v2, null, v0, v0, 1.0
	v_div_scale_f32 v4, vcc_lo, 1.0, v0, 1.0
	s_delay_alu instid0(VALU_DEP_2) | instskip(SKIP_2) | instid1(VALU_DEP_1)
	v_rcp_f32_e32 v3, v2
	s_waitcnt_depctr 0xfff
	v_fma_f32 v1, -v2, v3, 1.0
	v_fmac_f32_e32 v3, v1, v3
	v_mul_lo_u32 v1, v23, s7
	s_delay_alu instid0(VALU_DEP_2) | instskip(NEXT) | instid1(VALU_DEP_1)
	v_mul_f32_e32 v5, v4, v3
	v_fma_f32 v6, -v2, v5, v4
	s_delay_alu instid0(VALU_DEP_1) | instskip(NEXT) | instid1(VALU_DEP_1)
	v_fmac_f32_e32 v5, v6, v3
	v_fma_f32 v4, -v2, v5, v4
	v_ashrrev_i32_e32 v2, 31, v1
	s_delay_alu instid0(VALU_DEP_2) | instskip(NEXT) | instid1(VALU_DEP_2)
	v_div_fmas_f32 v5, v4, v3, v5
	v_lshlrev_b64 v[3:4], 2, v[1:2]
	s_delay_alu instid0(VALU_DEP_2) | instskip(NEXT) | instid1(VALU_DEP_2)
	v_div_fixup_f32 v2, v5, v0, 1.0
	v_add_co_u32 v0, vcc_lo, s12, v3
	s_delay_alu instid0(VALU_DEP_3)
	v_add_co_ci_u32_e32 v1, vcc_lo, s13, v4, vcc_lo
.LBB100_22:                             ; =>This Inner Loop Header: Depth=1
	global_load_b32 v3, v[0:1], off
	s_add_i32 s4, s4, -1
	s_delay_alu instid0(SALU_CYCLE_1)
	s_cmp_lg_u32 s4, 0
	s_waitcnt vmcnt(0)
	v_mul_f32_e32 v3, v2, v3
	global_store_b32 v[0:1], v3, off
	v_add_co_u32 v0, vcc_lo, v0, 4
	v_add_co_ci_u32_e32 v1, vcc_lo, 0, v1, vcc_lo
	s_cbranch_scc1 .LBB100_22
.LBB100_23:
	s_nop 0
	s_sendmsg sendmsg(MSG_DEALLOC_VGPRS)
	s_endpgm
	.section	.rodata,"a",@progbits
	.p2align	6, 0x0
	.amdhsa_kernel _ZN4vllm3moe17topkGatingSoftmaxIfLi16ELi512ELi2ELi64ELb0ELi8ELNS0_23SharedExpertScoringFuncE1EEEvPKT_PKbPfiPiS9_iiiiii
		.amdhsa_group_segment_fixed_size 0
		.amdhsa_private_segment_fixed_size 0
		.amdhsa_kernarg_size 72
		.amdhsa_user_sgpr_count 15
		.amdhsa_user_sgpr_dispatch_ptr 0
		.amdhsa_user_sgpr_queue_ptr 0
		.amdhsa_user_sgpr_kernarg_segment_ptr 1
		.amdhsa_user_sgpr_dispatch_id 0
		.amdhsa_user_sgpr_private_segment_size 0
		.amdhsa_wavefront_size32 1
		.amdhsa_uses_dynamic_stack 0
		.amdhsa_enable_private_segment 0
		.amdhsa_system_sgpr_workgroup_id_x 1
		.amdhsa_system_sgpr_workgroup_id_y 0
		.amdhsa_system_sgpr_workgroup_id_z 0
		.amdhsa_system_sgpr_workgroup_info 0
		.amdhsa_system_vgpr_workitem_id 1
		.amdhsa_next_free_vgpr 53
		.amdhsa_next_free_sgpr 19
		.amdhsa_reserve_vcc 1
		.amdhsa_float_round_mode_32 0
		.amdhsa_float_round_mode_16_64 0
		.amdhsa_float_denorm_mode_32 3
		.amdhsa_float_denorm_mode_16_64 3
		.amdhsa_dx10_clamp 1
		.amdhsa_ieee_mode 1
		.amdhsa_fp16_overflow 0
		.amdhsa_workgroup_processor_mode 1
		.amdhsa_memory_ordered 1
		.amdhsa_forward_progress 0
		.amdhsa_shared_vgpr_count 0
		.amdhsa_exception_fp_ieee_invalid_op 0
		.amdhsa_exception_fp_denorm_src 0
		.amdhsa_exception_fp_ieee_div_zero 0
		.amdhsa_exception_fp_ieee_overflow 0
		.amdhsa_exception_fp_ieee_underflow 0
		.amdhsa_exception_fp_ieee_inexact 0
		.amdhsa_exception_int_div_zero 0
	.end_amdhsa_kernel
	.section	.text._ZN4vllm3moe17topkGatingSoftmaxIfLi16ELi512ELi2ELi64ELb0ELi8ELNS0_23SharedExpertScoringFuncE1EEEvPKT_PKbPfiPiS9_iiiiii,"axG",@progbits,_ZN4vllm3moe17topkGatingSoftmaxIfLi16ELi512ELi2ELi64ELb0ELi8ELNS0_23SharedExpertScoringFuncE1EEEvPKT_PKbPfiPiS9_iiiiii,comdat
.Lfunc_end100:
	.size	_ZN4vllm3moe17topkGatingSoftmaxIfLi16ELi512ELi2ELi64ELb0ELi8ELNS0_23SharedExpertScoringFuncE1EEEvPKT_PKbPfiPiS9_iiiiii, .Lfunc_end100-_ZN4vllm3moe17topkGatingSoftmaxIfLi16ELi512ELi2ELi64ELb0ELi8ELNS0_23SharedExpertScoringFuncE1EEEvPKT_PKbPfiPiS9_iiiiii
                                        ; -- End function
	.section	.AMDGPU.csdata,"",@progbits
; Kernel info:
; codeLenInByte = 5792
; NumSgprs: 21
; NumVgprs: 53
; ScratchSize: 0
; MemoryBound: 0
; FloatMode: 240
; IeeeMode: 1
; LDSByteSize: 0 bytes/workgroup (compile time only)
; SGPRBlocks: 2
; VGPRBlocks: 6
; NumSGPRsForWavesPerEU: 21
; NumVGPRsForWavesPerEU: 53
; Occupancy: 16
; WaveLimiterHint : 0
; COMPUTE_PGM_RSRC2:SCRATCH_EN: 0
; COMPUTE_PGM_RSRC2:USER_SGPR: 15
; COMPUTE_PGM_RSRC2:TRAP_HANDLER: 0
; COMPUTE_PGM_RSRC2:TGID_X_EN: 1
; COMPUTE_PGM_RSRC2:TGID_Y_EN: 0
; COMPUTE_PGM_RSRC2:TGID_Z_EN: 0
; COMPUTE_PGM_RSRC2:TIDIG_COMP_CNT: 1
	.section	.text._ZN4vllm3moe10moeSoftmaxIfLi256EEEvPKT_PKbPfi,"axG",@progbits,_ZN4vllm3moe10moeSoftmaxIfLi256EEEvPKT_PKbPfi,comdat
	.protected	_ZN4vllm3moe10moeSoftmaxIfLi256EEEvPKT_PKbPfi ; -- Begin function _ZN4vllm3moe10moeSoftmaxIfLi256EEEvPKT_PKbPfi
	.globl	_ZN4vllm3moe10moeSoftmaxIfLi256EEEvPKT_PKbPfi
	.p2align	8
	.type	_ZN4vllm3moe10moeSoftmaxIfLi256EEEvPKT_PKbPfi,@function
_ZN4vllm3moe10moeSoftmaxIfLi256EEEvPKT_PKbPfi: ; @_ZN4vllm3moe10moeSoftmaxIfLi256EEEvPKT_PKbPfi
; %bb.0:
	s_load_b128 s[8:11], s[0:1], 0x0
	s_waitcnt lgkmcnt(0)
	s_cmp_eq_u64 s[10:11], 0
	s_cselect_b32 s2, -1, 0
	s_delay_alu instid0(SALU_CYCLE_1)
	s_and_b32 vcc_lo, exec_lo, s2
	s_cbranch_vccnz .LBB101_2
; %bb.1:
	v_mov_b32_e32 v1, s15
	global_load_u8 v1, v1, s[10:11]
	s_waitcnt vmcnt(0)
	v_and_b32_e32 v1, 1, v1
	s_delay_alu instid0(VALU_DEP_1)
	v_cmp_eq_u32_e32 vcc_lo, 1, v1
	s_xor_b32 s2, vcc_lo, -1
.LBB101_2:
	s_delay_alu instid0(SALU_CYCLE_1)
	s_and_not1_b32 vcc_lo, exec_lo, s2
	s_cbranch_vccnz .LBB101_26
; %bb.3:
	s_clause 0x1
	s_load_b32 s5, s[0:1], 0x18
	s_load_b64 s[6:7], s[0:1], 0x10
	v_mov_b32_e32 v5, 0xff7fffff
	s_waitcnt lgkmcnt(0)
	s_mul_i32 s15, s15, s5
	v_cmp_gt_i32_e64 s0, s5, v0
	v_add_nc_u32_e32 v1, s15, v0
	s_delay_alu instid0(VALU_DEP_1) | instskip(NEXT) | instid1(VALU_DEP_3)
	v_ashrrev_i32_e32 v2, 31, v1
	s_and_saveexec_b32 s2, s0
	s_cbranch_execz .LBB101_7
; %bb.4:
	s_delay_alu instid0(VALU_DEP_1) | instskip(SKIP_2) | instid1(VALU_DEP_2)
	v_lshlrev_b64 v[3:4], 2, v[1:2]
	v_dual_mov_b32 v5, 0xff7fffff :: v_dual_mov_b32 v6, v0
	s_mov_b32 s3, 0
	v_add_co_u32 v3, vcc_lo, s8, v3
	s_delay_alu instid0(VALU_DEP_3)
	v_add_co_ci_u32_e32 v4, vcc_lo, s9, v4, vcc_lo
.LBB101_5:                              ; =>This Inner Loop Header: Depth=1
	global_load_b32 v7, v[3:4], off
	v_dual_max_f32 v5, v5, v5 :: v_dual_add_nc_u32 v6, 0x100, v6
	v_add_co_u32 v3, vcc_lo, 0x400, v3
	v_add_co_ci_u32_e32 v4, vcc_lo, 0, v4, vcc_lo
	s_delay_alu instid0(VALU_DEP_3) | instskip(NEXT) | instid1(VALU_DEP_1)
	v_cmp_le_i32_e64 s1, s5, v6
	s_or_b32 s3, s1, s3
	s_waitcnt vmcnt(0)
	v_max_f32_e32 v7, v7, v7
	s_delay_alu instid0(VALU_DEP_1)
	v_max_f32_e32 v5, v7, v5
	s_and_not1_b32 exec_lo, exec_lo, s3
	s_cbranch_execnz .LBB101_5
; %bb.6:
	s_or_b32 exec_lo, exec_lo, s3
.LBB101_7:
	s_delay_alu instid0(SALU_CYCLE_1) | instskip(SKIP_2) | instid1(VALU_DEP_2)
	s_or_b32 exec_lo, exec_lo, s2
	v_mov_b32_dpp v3, v5 quad_perm:[1,0,3,2] row_mask:0xf bank_mask:0xf
	v_lshrrev_b32_e32 v7, 3, v0
	v_cmp_gt_f32_e32 vcc_lo, v5, v3
	v_cndmask_b32_e32 v3, v3, v5, vcc_lo
	v_mbcnt_lo_u32_b32 v5, -1, 0
	s_delay_alu instid0(VALU_DEP_2) | instskip(NEXT) | instid1(VALU_DEP_1)
	v_mov_b32_dpp v4, v3 quad_perm:[2,3,0,1] row_mask:0xf bank_mask:0xf
	v_cmp_gt_f32_e32 vcc_lo, v3, v4
	v_cndmask_b32_e32 v3, v4, v3, vcc_lo
	s_delay_alu instid0(VALU_DEP_1) | instskip(NEXT) | instid1(VALU_DEP_1)
	v_mov_b32_dpp v4, v3 row_ror:4 row_mask:0xf bank_mask:0xf
	v_cmp_gt_f32_e32 vcc_lo, v3, v4
	v_cndmask_b32_e32 v3, v4, v3, vcc_lo
	s_delay_alu instid0(VALU_DEP_1) | instskip(NEXT) | instid1(VALU_DEP_1)
	v_mov_b32_dpp v4, v3 row_ror:8 row_mask:0xf bank_mask:0xf
	v_cmp_gt_f32_e32 vcc_lo, v3, v4
	v_cndmask_b32_e32 v3, v4, v3, vcc_lo
	ds_swizzle_b32 v4, v3 offset:swizzle(BROADCAST,32,15)
	s_waitcnt lgkmcnt(0)
	v_cmp_gt_f32_e32 vcc_lo, v3, v4
	v_dual_cndmask_b32 v3, v4, v3 :: v_dual_mov_b32 v4, 0
	v_cmp_eq_u32_e32 vcc_lo, 0, v5
	ds_bpermute_b32 v3, v4, v3 offset:124
	s_and_saveexec_b32 s1, vcc_lo
	s_cbranch_execz .LBB101_9
; %bb.8:
	v_and_b32_e32 v4, 28, v7
	s_waitcnt lgkmcnt(0)
	ds_store_b32 v4, v3
.LBB101_9:
	s_or_b32 exec_lo, exec_lo, s1
	v_cmp_gt_u32_e64 s1, 32, v0
	v_and_b32_e32 v6, 7, v5
	s_waitcnt lgkmcnt(0)
	s_barrier
	buffer_gl0_inv
	s_and_saveexec_b32 s3, s1
	s_cbranch_execz .LBB101_11
; %bb.10:
	v_lshlrev_b32_e32 v3, 2, v6
	v_cmp_ne_u32_e64 s2, 7, v6
	ds_load_b32 v3, v3
	v_add_co_ci_u32_e64 v4, s2, 0, v5, s2
	v_cmp_gt_u32_e64 s2, 6, v6
	s_delay_alu instid0(VALU_DEP_2) | instskip(NEXT) | instid1(VALU_DEP_2)
	v_lshlrev_b32_e32 v4, 2, v4
	v_cndmask_b32_e64 v8, 0, 1, s2
	s_delay_alu instid0(VALU_DEP_1) | instskip(NEXT) | instid1(VALU_DEP_1)
	v_lshlrev_b32_e32 v8, 1, v8
	v_add_lshl_u32 v8, v8, v5, 2
	s_waitcnt lgkmcnt(0)
	ds_bpermute_b32 v4, v4, v3
	s_waitcnt lgkmcnt(0)
	v_cmp_lt_f32_e64 s2, v3, v4
	s_delay_alu instid0(VALU_DEP_1) | instskip(SKIP_3) | instid1(VALU_DEP_1)
	v_cndmask_b32_e64 v3, v3, v4, s2
	v_cmp_gt_u32_e64 s2, 4, v6
	ds_bpermute_b32 v4, v8, v3
	v_cndmask_b32_e64 v8, 0, 1, s2
	v_lshlrev_b32_e32 v8, 2, v8
	s_delay_alu instid0(VALU_DEP_1) | instskip(SKIP_2) | instid1(VALU_DEP_1)
	v_add_lshl_u32 v8, v8, v5, 2
	s_waitcnt lgkmcnt(0)
	v_cmp_lt_f32_e64 s2, v3, v4
	v_cndmask_b32_e64 v3, v3, v4, s2
	ds_bpermute_b32 v4, v8, v3
	s_waitcnt lgkmcnt(0)
	v_cmp_lt_f32_e64 s2, v3, v4
	s_delay_alu instid0(VALU_DEP_1)
	v_cndmask_b32_e64 v3, v3, v4, s2
.LBB101_11:
	s_or_b32 exec_lo, exec_lo, s3
	v_cmp_eq_u32_e64 s2, 0, v0
	s_delay_alu instid0(VALU_DEP_1)
	s_and_saveexec_b32 s3, s2
	s_cbranch_execz .LBB101_13
; %bb.12:
	v_mov_b32_e32 v4, 0
	ds_store_b32 v4, v3 offset:36
.LBB101_13:
	s_or_b32 exec_lo, exec_lo, s3
	v_mov_b32_e32 v8, 0
	s_waitcnt lgkmcnt(0)
	s_barrier
	buffer_gl0_inv
	s_and_saveexec_b32 s10, s0
	s_cbranch_execz .LBB101_17
; %bb.14:
	v_mov_b32_e32 v8, 0
	v_lshlrev_b64 v[3:4], 2, v[1:2]
	v_mov_b32_e32 v10, v0
	s_mov_b32 s11, 0
	ds_load_b32 v9, v8 offset:36
	v_add_co_u32 v3, s3, s8, v3
	s_delay_alu instid0(VALU_DEP_1)
	v_add_co_ci_u32_e64 v4, s3, s9, v4, s3
	s_set_inst_prefetch_distance 0x1
	.p2align	6
.LBB101_15:                             ; =>This Inner Loop Header: Depth=1
	global_load_b32 v11, v[3:4], off
	v_add_nc_u32_e32 v10, 0x100, v10
	s_delay_alu instid0(VALU_DEP_1) | instskip(NEXT) | instid1(VALU_DEP_1)
	v_cmp_le_i32_e64 s4, s5, v10
	s_or_b32 s11, s4, s11
	s_waitcnt vmcnt(0) lgkmcnt(0)
	v_sub_f32_e32 v11, v11, v9
	s_delay_alu instid0(VALU_DEP_1) | instskip(NEXT) | instid1(VALU_DEP_1)
	v_mul_f32_e32 v12, 0x3fb8aa3b, v11
	v_fma_f32 v13, 0x3fb8aa3b, v11, -v12
	v_rndne_f32_e32 v14, v12
	s_delay_alu instid0(VALU_DEP_1) | instskip(SKIP_1) | instid1(VALU_DEP_2)
	v_dual_sub_f32 v12, v12, v14 :: v_dual_fmac_f32 v13, 0x32a5705f, v11
	v_cmp_ngt_f32_e64 s3, 0xc2ce8ed0, v11
	v_add_f32_e32 v12, v12, v13
	v_cvt_i32_f32_e32 v13, v14
	s_delay_alu instid0(VALU_DEP_2) | instskip(SKIP_2) | instid1(VALU_DEP_1)
	v_exp_f32_e32 v12, v12
	s_waitcnt_depctr 0xfff
	v_ldexp_f32 v12, v12, v13
	v_cndmask_b32_e64 v12, 0, v12, s3
	v_cmp_nlt_f32_e64 s3, 0x42b17218, v11
	s_delay_alu instid0(VALU_DEP_1) | instskip(SKIP_1) | instid1(VALU_DEP_1)
	v_cndmask_b32_e64 v11, 0x7f800000, v12, s3
	v_add_co_u32 v3, s3, 0x400, v3
	v_add_co_ci_u32_e64 v4, s3, 0, v4, s3
	s_delay_alu instid0(VALU_DEP_3)
	v_add_f32_e32 v8, v8, v11
	s_and_not1_b32 exec_lo, exec_lo, s11
	s_cbranch_execnz .LBB101_15
; %bb.16:
	s_set_inst_prefetch_distance 0x2
	s_or_b32 exec_lo, exec_lo, s11
.LBB101_17:
	s_delay_alu instid0(SALU_CYCLE_1) | instskip(SKIP_1) | instid1(VALU_DEP_1)
	s_or_b32 exec_lo, exec_lo, s10
	v_mov_b32_dpp v4, v8 quad_perm:[1,0,3,2] row_mask:0xf bank_mask:0xf
	v_dual_mov_b32 v3, 0x7c :: v_dual_add_f32 v4, v8, v4
	s_delay_alu instid0(VALU_DEP_1) | instskip(NEXT) | instid1(VALU_DEP_1)
	v_mov_b32_dpp v8, v4 quad_perm:[2,3,0,1] row_mask:0xf bank_mask:0xf
	v_add_f32_e32 v4, v4, v8
	s_delay_alu instid0(VALU_DEP_1) | instskip(NEXT) | instid1(VALU_DEP_1)
	v_mov_b32_dpp v8, v4 row_ror:4 row_mask:0xf bank_mask:0xf
	v_add_f32_e32 v4, v4, v8
	s_delay_alu instid0(VALU_DEP_1) | instskip(NEXT) | instid1(VALU_DEP_1)
	v_mov_b32_dpp v8, v4 row_ror:8 row_mask:0xf bank_mask:0xf
	v_add_f32_e32 v4, v4, v8
	ds_swizzle_b32 v8, v4 offset:swizzle(BROADCAST,32,15)
	s_waitcnt lgkmcnt(0)
	v_add_f32_e32 v4, v4, v8
	ds_bpermute_b32 v3, v3, v4
	s_and_saveexec_b32 s3, vcc_lo
	s_cbranch_execz .LBB101_19
; %bb.18:
	v_and_b32_e32 v4, 28, v7
	s_waitcnt lgkmcnt(0)
	ds_store_b32 v4, v3
.LBB101_19:
	s_or_b32 exec_lo, exec_lo, s3
	s_waitcnt lgkmcnt(0)
	s_barrier
	buffer_gl0_inv
	s_and_saveexec_b32 s3, s1
	s_cbranch_execz .LBB101_21
; %bb.20:
	v_lshlrev_b32_e32 v3, 2, v6
	v_cmp_ne_u32_e32 vcc_lo, 7, v6
	ds_load_b32 v3, v3
	v_add_co_ci_u32_e32 v4, vcc_lo, 0, v5, vcc_lo
	v_cmp_gt_u32_e32 vcc_lo, 6, v6
	s_delay_alu instid0(VALU_DEP_2) | instskip(SKIP_2) | instid1(VALU_DEP_2)
	v_lshlrev_b32_e32 v4, 2, v4
	v_cndmask_b32_e64 v7, 0, 1, vcc_lo
	v_cmp_gt_u32_e32 vcc_lo, 4, v6
	v_lshlrev_b32_e32 v7, 1, v7
	v_cndmask_b32_e64 v6, 0, 1, vcc_lo
	s_delay_alu instid0(VALU_DEP_2) | instskip(NEXT) | instid1(VALU_DEP_2)
	v_add_lshl_u32 v7, v7, v5, 2
	v_lshlrev_b32_e32 v6, 2, v6
	s_waitcnt lgkmcnt(0)
	ds_bpermute_b32 v4, v4, v3
	s_waitcnt lgkmcnt(0)
	v_add_f32_e32 v3, v3, v4
	ds_bpermute_b32 v4, v7, v3
	s_waitcnt lgkmcnt(0)
	v_add_f32_e32 v3, v3, v4
	v_add_lshl_u32 v4, v6, v5, 2
	ds_bpermute_b32 v4, v4, v3
	s_waitcnt lgkmcnt(0)
	v_add_f32_e32 v3, v3, v4
.LBB101_21:
	s_or_b32 exec_lo, exec_lo, s3
	s_and_saveexec_b32 s1, s2
	s_cbranch_execz .LBB101_23
; %bb.22:
	s_delay_alu instid0(VALU_DEP_1) | instskip(SKIP_1) | instid1(VALU_DEP_2)
	v_div_scale_f32 v4, null, v3, v3, 1.0
	v_div_scale_f32 v7, vcc_lo, 1.0, v3, 1.0
	v_rcp_f32_e32 v5, v4
	s_waitcnt_depctr 0xfff
	v_fma_f32 v6, -v4, v5, 1.0
	s_delay_alu instid0(VALU_DEP_1) | instskip(NEXT) | instid1(VALU_DEP_1)
	v_fmac_f32_e32 v5, v6, v5
	v_mul_f32_e32 v6, v7, v5
	s_delay_alu instid0(VALU_DEP_1) | instskip(NEXT) | instid1(VALU_DEP_1)
	v_fma_f32 v8, -v4, v6, v7
	v_fmac_f32_e32 v6, v8, v5
	s_delay_alu instid0(VALU_DEP_1) | instskip(NEXT) | instid1(VALU_DEP_1)
	v_fma_f32 v4, -v4, v6, v7
	v_div_fmas_f32 v4, v4, v5, v6
	s_delay_alu instid0(VALU_DEP_1)
	v_div_fixup_f32 v3, v4, v3, 1.0
	v_mov_b32_e32 v4, 0
	ds_store_b32 v4, v3 offset:32
.LBB101_23:
	s_or_b32 exec_lo, exec_lo, s1
	s_waitcnt lgkmcnt(0)
	s_barrier
	buffer_gl0_inv
	s_and_saveexec_b32 s1, s0
	s_cbranch_execz .LBB101_26
; %bb.24:
	v_mov_b32_e32 v3, 0
	v_lshlrev_b64 v[5:6], 2, v[1:2]
	s_mov_b32 s1, 0
	ds_load_b64 v[3:4], v3 offset:32
	v_add_co_u32 v1, vcc_lo, s8, v5
	v_add_co_ci_u32_e32 v2, vcc_lo, s9, v6, vcc_lo
	v_add_co_u32 v5, vcc_lo, s6, v5
	v_add_co_ci_u32_e32 v6, vcc_lo, s7, v6, vcc_lo
	s_set_inst_prefetch_distance 0x1
	.p2align	6
.LBB101_25:                             ; =>This Inner Loop Header: Depth=1
	global_load_b32 v7, v[1:2], off
	v_add_co_u32 v1, vcc_lo, 0x400, v1
	v_add_co_ci_u32_e32 v2, vcc_lo, 0, v2, vcc_lo
	s_waitcnt vmcnt(0) lgkmcnt(0)
	v_sub_f32_e32 v7, v7, v4
	s_delay_alu instid0(VALU_DEP_1) | instskip(NEXT) | instid1(VALU_DEP_1)
	v_mul_f32_e32 v8, 0x3fb8aa3b, v7
	v_fma_f32 v9, 0x3fb8aa3b, v7, -v8
	v_rndne_f32_e32 v10, v8
	s_delay_alu instid0(VALU_DEP_1) | instskip(SKIP_1) | instid1(VALU_DEP_2)
	v_dual_sub_f32 v8, v8, v10 :: v_dual_fmac_f32 v9, 0x32a5705f, v7
	v_cmp_ngt_f32_e64 s0, 0xc2ce8ed0, v7
	v_add_f32_e32 v8, v8, v9
	v_cvt_i32_f32_e32 v9, v10
	s_delay_alu instid0(VALU_DEP_2) | instskip(SKIP_2) | instid1(VALU_DEP_1)
	v_exp_f32_e32 v8, v8
	s_waitcnt_depctr 0xfff
	v_ldexp_f32 v8, v8, v9
	v_cndmask_b32_e64 v8, 0, v8, s0
	v_cmp_nlt_f32_e64 s0, 0x42b17218, v7
	s_delay_alu instid0(VALU_DEP_1) | instskip(NEXT) | instid1(VALU_DEP_1)
	v_cndmask_b32_e64 v7, 0x7f800000, v8, s0
	v_dual_mul_f32 v7, v3, v7 :: v_dual_add_nc_u32 v0, 0x100, v0
	s_delay_alu instid0(VALU_DEP_1) | instskip(SKIP_2) | instid1(VALU_DEP_1)
	v_cmp_le_i32_e32 vcc_lo, s5, v0
	global_store_b32 v[5:6], v7, off
	v_add_co_u32 v5, s0, 0x400, v5
	v_add_co_ci_u32_e64 v6, s0, 0, v6, s0
	s_or_b32 s1, vcc_lo, s1
	s_delay_alu instid0(SALU_CYCLE_1)
	s_and_not1_b32 exec_lo, exec_lo, s1
	s_cbranch_execnz .LBB101_25
.LBB101_26:
	s_set_inst_prefetch_distance 0x2
	s_nop 0
	s_sendmsg sendmsg(MSG_DEALLOC_VGPRS)
	s_endpgm
	.section	.rodata,"a",@progbits
	.p2align	6, 0x0
	.amdhsa_kernel _ZN4vllm3moe10moeSoftmaxIfLi256EEEvPKT_PKbPfi
		.amdhsa_group_segment_fixed_size 40
		.amdhsa_private_segment_fixed_size 0
		.amdhsa_kernarg_size 28
		.amdhsa_user_sgpr_count 15
		.amdhsa_user_sgpr_dispatch_ptr 0
		.amdhsa_user_sgpr_queue_ptr 0
		.amdhsa_user_sgpr_kernarg_segment_ptr 1
		.amdhsa_user_sgpr_dispatch_id 0
		.amdhsa_user_sgpr_private_segment_size 0
		.amdhsa_wavefront_size32 1
		.amdhsa_uses_dynamic_stack 0
		.amdhsa_enable_private_segment 0
		.amdhsa_system_sgpr_workgroup_id_x 1
		.amdhsa_system_sgpr_workgroup_id_y 0
		.amdhsa_system_sgpr_workgroup_id_z 0
		.amdhsa_system_sgpr_workgroup_info 0
		.amdhsa_system_vgpr_workitem_id 0
		.amdhsa_next_free_vgpr 15
		.amdhsa_next_free_sgpr 16
		.amdhsa_reserve_vcc 1
		.amdhsa_float_round_mode_32 0
		.amdhsa_float_round_mode_16_64 0
		.amdhsa_float_denorm_mode_32 3
		.amdhsa_float_denorm_mode_16_64 3
		.amdhsa_dx10_clamp 1
		.amdhsa_ieee_mode 1
		.amdhsa_fp16_overflow 0
		.amdhsa_workgroup_processor_mode 1
		.amdhsa_memory_ordered 1
		.amdhsa_forward_progress 0
		.amdhsa_shared_vgpr_count 0
		.amdhsa_exception_fp_ieee_invalid_op 0
		.amdhsa_exception_fp_denorm_src 0
		.amdhsa_exception_fp_ieee_div_zero 0
		.amdhsa_exception_fp_ieee_overflow 0
		.amdhsa_exception_fp_ieee_underflow 0
		.amdhsa_exception_fp_ieee_inexact 0
		.amdhsa_exception_int_div_zero 0
	.end_amdhsa_kernel
	.section	.text._ZN4vllm3moe10moeSoftmaxIfLi256EEEvPKT_PKbPfi,"axG",@progbits,_ZN4vllm3moe10moeSoftmaxIfLi256EEEvPKT_PKbPfi,comdat
.Lfunc_end101:
	.size	_ZN4vllm3moe10moeSoftmaxIfLi256EEEvPKT_PKbPfi, .Lfunc_end101-_ZN4vllm3moe10moeSoftmaxIfLi256EEEvPKT_PKbPfi
                                        ; -- End function
	.section	.AMDGPU.csdata,"",@progbits
; Kernel info:
; codeLenInByte = 1696
; NumSgprs: 18
; NumVgprs: 15
; ScratchSize: 0
; MemoryBound: 0
; FloatMode: 240
; IeeeMode: 1
; LDSByteSize: 40 bytes/workgroup (compile time only)
; SGPRBlocks: 2
; VGPRBlocks: 1
; NumSGPRsForWavesPerEU: 18
; NumVGPRsForWavesPerEU: 15
; Occupancy: 16
; WaveLimiterHint : 0
; COMPUTE_PGM_RSRC2:SCRATCH_EN: 0
; COMPUTE_PGM_RSRC2:USER_SGPR: 15
; COMPUTE_PGM_RSRC2:TRAP_HANDLER: 0
; COMPUTE_PGM_RSRC2:TGID_X_EN: 1
; COMPUTE_PGM_RSRC2:TGID_Y_EN: 0
; COMPUTE_PGM_RSRC2:TGID_Z_EN: 0
; COMPUTE_PGM_RSRC2:TIDIG_COMP_CNT: 0
	.text
	.p2align	2                               ; -- Begin function __ockl_fprintf_append_string_n
	.type	__ockl_fprintf_append_string_n,@function
__ockl_fprintf_append_string_n:         ; @__ockl_fprintf_append_string_n
; %bb.0:
	s_waitcnt vmcnt(0) expcnt(0) lgkmcnt(0)
	v_dual_mov_b32 v8, v3 :: v_dual_mov_b32 v7, v2
	v_or_b32_e32 v2, 2, v0
	v_cmp_eq_u32_e32 vcc_lo, 0, v6
	v_mbcnt_lo_u32_b32 v33, -1, 0
	s_mov_b32 s11, 0
	s_mov_b32 s0, exec_lo
	v_cndmask_b32_e32 v0, v2, v0, vcc_lo
	v_cmpx_ne_u64_e32 0, v[7:8]
	s_xor_b32 s10, exec_lo, s0
	s_cbranch_execz .LBB102_86
; %bb.1:
	s_load_b64 s[2:3], s[8:9], 0x50
	v_dual_mov_b32 v11, 2 :: v_dual_and_b32 v6, 2, v0
	v_mov_b32_e32 v10, 0
	v_and_b32_e32 v0, -3, v0
	v_mov_b32_e32 v12, 1
	s_mov_b32 s12, 0
	s_branch .LBB102_3
.LBB102_2:                              ;   in Loop: Header=BB102_3 Depth=1
	s_or_b32 exec_lo, exec_lo, s1
	v_sub_co_u32 v4, vcc_lo, v4, v29
	v_sub_co_ci_u32_e32 v5, vcc_lo, v5, v30, vcc_lo
	v_add_co_u32 v7, s0, v7, v29
	s_delay_alu instid0(VALU_DEP_1) | instskip(NEXT) | instid1(VALU_DEP_3)
	v_add_co_ci_u32_e64 v8, s0, v8, v30, s0
	v_cmp_eq_u64_e32 vcc_lo, 0, v[4:5]
	s_or_b32 s12, vcc_lo, s12
	s_delay_alu instid0(SALU_CYCLE_1)
	s_and_not1_b32 exec_lo, exec_lo, s12
	s_cbranch_execz .LBB102_85
.LBB102_3:                              ; =>This Loop Header: Depth=1
                                        ;     Child Loop BB102_6 Depth 2
                                        ;     Child Loop BB102_14 Depth 2
	;; [unrolled: 1-line block ×11, first 2 shown]
	v_cmp_gt_u64_e32 vcc_lo, 56, v[4:5]
	s_mov_b32 s1, exec_lo
                                        ; implicit-def: $vgpr2_vgpr3
                                        ; implicit-def: $sgpr4
	v_dual_cndmask_b32 v30, 0, v5 :: v_dual_cndmask_b32 v29, 56, v4
	v_cmpx_gt_u64_e32 8, v[4:5]
	s_xor_b32 s1, exec_lo, s1
	s_cbranch_execz .LBB102_9
; %bb.4:                                ;   in Loop: Header=BB102_3 Depth=1
	s_waitcnt vmcnt(0)
	v_mov_b32_e32 v2, 0
	v_mov_b32_e32 v3, 0
	s_mov_b64 s[4:5], 0
	s_mov_b32 s6, exec_lo
	v_cmpx_ne_u64_e32 0, v[4:5]
	s_cbranch_execz .LBB102_8
; %bb.5:                                ;   in Loop: Header=BB102_3 Depth=1
	v_lshlrev_b64 v[13:14], 3, v[29:30]
	v_dual_mov_b32 v2, 0 :: v_dual_mov_b32 v15, v8
	v_dual_mov_b32 v3, 0 :: v_dual_mov_b32 v14, v7
	s_mov_b32 s7, 0
	.p2align	6
.LBB102_6:                              ;   Parent Loop BB102_3 Depth=1
                                        ; =>  This Inner Loop Header: Depth=2
	flat_load_u8 v9, v[14:15]
	v_mov_b32_e32 v17, s11
	v_add_co_u32 v14, vcc_lo, v14, 1
	v_add_co_ci_u32_e32 v15, vcc_lo, 0, v15, vcc_lo
	s_waitcnt vmcnt(0) lgkmcnt(0)
	v_and_b32_e32 v16, 0xffff, v9
	s_delay_alu instid0(VALU_DEP_1) | instskip(SKIP_3) | instid1(VALU_DEP_2)
	v_lshlrev_b64 v[16:17], s4, v[16:17]
	s_add_u32 s4, s4, 8
	s_addc_u32 s5, s5, 0
	v_cmp_eq_u32_e64 s0, s4, v13
	v_or_b32_e32 v3, v17, v3
	s_delay_alu instid0(VALU_DEP_3) | instskip(NEXT) | instid1(VALU_DEP_3)
	v_or_b32_e32 v2, v16, v2
	s_or_b32 s7, s0, s7
	s_delay_alu instid0(SALU_CYCLE_1)
	s_and_not1_b32 exec_lo, exec_lo, s7
	s_cbranch_execnz .LBB102_6
; %bb.7:                                ;   in Loop: Header=BB102_3 Depth=1
	s_or_b32 exec_lo, exec_lo, s7
.LBB102_8:                              ;   in Loop: Header=BB102_3 Depth=1
	s_delay_alu instid0(SALU_CYCLE_1)
	s_or_b32 exec_lo, exec_lo, s6
	s_mov_b32 s4, 0
.LBB102_9:                              ;   in Loop: Header=BB102_3 Depth=1
	s_or_saveexec_b32 s0, s1
	v_dual_mov_b32 v9, s4 :: v_dual_mov_b32 v26, v8
	v_mov_b32_e32 v25, v7
	s_xor_b32 exec_lo, exec_lo, s0
	s_cbranch_execz .LBB102_11
; %bb.10:                               ;   in Loop: Header=BB102_3 Depth=1
	s_waitcnt vmcnt(0)
	flat_load_b64 v[2:3], v[7:8]
	v_add_co_u32 v25, vcc_lo, v7, 8
	v_add_co_ci_u32_e32 v26, vcc_lo, 0, v8, vcc_lo
	s_waitcnt vmcnt(0) lgkmcnt(0)
	v_and_b32_e32 v9, 0xff, v3
	v_and_b32_e32 v13, 0xff00, v3
	;; [unrolled: 1-line block ×4, first 2 shown]
	v_or3_b32 v2, v2, 0, 0
	s_delay_alu instid0(VALU_DEP_4) | instskip(SKIP_1) | instid1(VALU_DEP_2)
	v_or_b32_e32 v13, v9, v13
	v_add_nc_u32_e32 v9, -8, v29
	v_or3_b32 v3, v13, v14, v3
.LBB102_11:                             ;   in Loop: Header=BB102_3 Depth=1
	s_or_b32 exec_lo, exec_lo, s0
                                        ; implicit-def: $vgpr13_vgpr14
                                        ; implicit-def: $sgpr1
	s_delay_alu instid0(SALU_CYCLE_1) | instskip(NEXT) | instid1(VALU_DEP_2)
	s_mov_b32 s0, exec_lo
	v_cmpx_gt_u32_e32 8, v9
	s_xor_b32 s6, exec_lo, s0
	s_cbranch_execz .LBB102_17
; %bb.12:                               ;   in Loop: Header=BB102_3 Depth=1
	v_mov_b32_e32 v13, 0
	v_mov_b32_e32 v14, 0
	s_mov_b32 s7, exec_lo
	v_cmpx_ne_u32_e32 0, v9
	s_cbranch_execz .LBB102_16
; %bb.13:                               ;   in Loop: Header=BB102_3 Depth=1
	v_mov_b32_e32 v13, 0
	v_mov_b32_e32 v14, 0
	s_mov_b64 s[0:1], 0
	s_mov_b32 s13, 0
	s_mov_b64 s[4:5], 0
	.p2align	6
.LBB102_14:                             ;   Parent Loop BB102_3 Depth=1
                                        ; =>  This Inner Loop Header: Depth=2
	s_delay_alu instid0(SALU_CYCLE_1)
	v_add_co_u32 v15, vcc_lo, v25, s4
	v_add_co_ci_u32_e32 v16, vcc_lo, s5, v26, vcc_lo
	s_add_u32 s4, s4, 1
	s_addc_u32 s5, s5, 0
	v_cmp_eq_u32_e32 vcc_lo, s4, v9
	flat_load_u8 v15, v[15:16]
	s_waitcnt vmcnt(0) lgkmcnt(0)
	v_dual_mov_b32 v16, s11 :: v_dual_and_b32 v15, 0xffff, v15
	s_delay_alu instid0(VALU_DEP_1) | instskip(SKIP_3) | instid1(VALU_DEP_1)
	v_lshlrev_b64 v[15:16], s0, v[15:16]
	s_add_u32 s0, s0, 8
	s_addc_u32 s1, s1, 0
	s_or_b32 s13, vcc_lo, s13
	v_or_b32_e32 v14, v16, v14
	s_delay_alu instid0(VALU_DEP_2)
	v_or_b32_e32 v13, v15, v13
	s_and_not1_b32 exec_lo, exec_lo, s13
	s_cbranch_execnz .LBB102_14
; %bb.15:                               ;   in Loop: Header=BB102_3 Depth=1
	s_or_b32 exec_lo, exec_lo, s13
.LBB102_16:                             ;   in Loop: Header=BB102_3 Depth=1
	s_delay_alu instid0(SALU_CYCLE_1)
	s_or_b32 exec_lo, exec_lo, s7
	s_mov_b32 s1, 0
                                        ; implicit-def: $vgpr9
.LBB102_17:                             ;   in Loop: Header=BB102_3 Depth=1
	s_or_saveexec_b32 s0, s6
	v_mov_b32_e32 v17, s1
	s_xor_b32 exec_lo, exec_lo, s0
	s_cbranch_execz .LBB102_19
; %bb.18:                               ;   in Loop: Header=BB102_3 Depth=1
	flat_load_b64 v[13:14], v[25:26]
	v_add_co_u32 v25, vcc_lo, v25, 8
	v_add_nc_u32_e32 v17, -8, v9
	v_add_co_ci_u32_e32 v26, vcc_lo, 0, v26, vcc_lo
	s_waitcnt vmcnt(0) lgkmcnt(0)
	v_and_b32_e32 v15, 0xff, v14
	v_and_b32_e32 v16, 0xff00, v14
	;; [unrolled: 1-line block ×4, first 2 shown]
	v_or3_b32 v13, v13, 0, 0
	s_delay_alu instid0(VALU_DEP_4) | instskip(NEXT) | instid1(VALU_DEP_1)
	v_or_b32_e32 v15, v15, v16
	v_or3_b32 v14, v15, v18, v14
.LBB102_19:                             ;   in Loop: Header=BB102_3 Depth=1
	s_or_b32 exec_lo, exec_lo, s0
                                        ; implicit-def: $sgpr1
	s_delay_alu instid0(SALU_CYCLE_1)
	s_mov_b32 s0, exec_lo
	v_cmpx_gt_u32_e32 8, v17
	s_xor_b32 s6, exec_lo, s0
	s_cbranch_execz .LBB102_25
; %bb.20:                               ;   in Loop: Header=BB102_3 Depth=1
	v_mov_b32_e32 v15, 0
	v_mov_b32_e32 v16, 0
	s_mov_b32 s7, exec_lo
	v_cmpx_ne_u32_e32 0, v17
	s_cbranch_execz .LBB102_24
; %bb.21:                               ;   in Loop: Header=BB102_3 Depth=1
	v_mov_b32_e32 v15, 0
	v_mov_b32_e32 v16, 0
	s_mov_b64 s[0:1], 0
	s_mov_b32 s13, 0
	s_mov_b64 s[4:5], 0
	.p2align	6
.LBB102_22:                             ;   Parent Loop BB102_3 Depth=1
                                        ; =>  This Inner Loop Header: Depth=2
	s_delay_alu instid0(SALU_CYCLE_1)
	v_add_co_u32 v18, vcc_lo, v25, s4
	v_add_co_ci_u32_e32 v19, vcc_lo, s5, v26, vcc_lo
	s_add_u32 s4, s4, 1
	s_addc_u32 s5, s5, 0
	v_cmp_eq_u32_e32 vcc_lo, s4, v17
	flat_load_u8 v9, v[18:19]
	s_waitcnt vmcnt(0) lgkmcnt(0)
	v_dual_mov_b32 v19, s11 :: v_dual_and_b32 v18, 0xffff, v9
	s_delay_alu instid0(VALU_DEP_1) | instskip(SKIP_3) | instid1(VALU_DEP_1)
	v_lshlrev_b64 v[18:19], s0, v[18:19]
	s_add_u32 s0, s0, 8
	s_addc_u32 s1, s1, 0
	s_or_b32 s13, vcc_lo, s13
	v_or_b32_e32 v16, v19, v16
	s_delay_alu instid0(VALU_DEP_2)
	v_or_b32_e32 v15, v18, v15
	s_and_not1_b32 exec_lo, exec_lo, s13
	s_cbranch_execnz .LBB102_22
; %bb.23:                               ;   in Loop: Header=BB102_3 Depth=1
	s_or_b32 exec_lo, exec_lo, s13
.LBB102_24:                             ;   in Loop: Header=BB102_3 Depth=1
	s_delay_alu instid0(SALU_CYCLE_1)
	s_or_b32 exec_lo, exec_lo, s7
	s_mov_b32 s1, 0
                                        ; implicit-def: $vgpr17
.LBB102_25:                             ;   in Loop: Header=BB102_3 Depth=1
	s_or_saveexec_b32 s0, s6
	v_mov_b32_e32 v9, s1
	s_xor_b32 exec_lo, exec_lo, s0
	s_cbranch_execz .LBB102_27
; %bb.26:                               ;   in Loop: Header=BB102_3 Depth=1
	flat_load_b64 v[15:16], v[25:26]
	v_add_co_u32 v25, vcc_lo, v25, 8
	v_add_co_ci_u32_e32 v26, vcc_lo, 0, v26, vcc_lo
	s_waitcnt vmcnt(0) lgkmcnt(0)
	v_and_b32_e32 v9, 0xff, v16
	v_and_b32_e32 v18, 0xff00, v16
	v_and_b32_e32 v19, 0xff0000, v16
	v_and_b32_e32 v16, 0xff000000, v16
	v_or3_b32 v15, v15, 0, 0
	s_delay_alu instid0(VALU_DEP_4) | instskip(SKIP_1) | instid1(VALU_DEP_2)
	v_or_b32_e32 v18, v9, v18
	v_add_nc_u32_e32 v9, -8, v17
	v_or3_b32 v16, v18, v19, v16
.LBB102_27:                             ;   in Loop: Header=BB102_3 Depth=1
	s_or_b32 exec_lo, exec_lo, s0
                                        ; implicit-def: $vgpr17_vgpr18
                                        ; implicit-def: $sgpr1
	s_delay_alu instid0(SALU_CYCLE_1) | instskip(NEXT) | instid1(VALU_DEP_1)
	s_mov_b32 s0, exec_lo
	v_cmpx_gt_u32_e32 8, v9
	s_xor_b32 s6, exec_lo, s0
	s_cbranch_execz .LBB102_33
; %bb.28:                               ;   in Loop: Header=BB102_3 Depth=1
	v_mov_b32_e32 v17, 0
	v_mov_b32_e32 v18, 0
	s_mov_b32 s7, exec_lo
	v_cmpx_ne_u32_e32 0, v9
	s_cbranch_execz .LBB102_32
; %bb.29:                               ;   in Loop: Header=BB102_3 Depth=1
	v_mov_b32_e32 v17, 0
	v_mov_b32_e32 v18, 0
	s_mov_b64 s[0:1], 0
	s_mov_b32 s13, 0
	s_mov_b64 s[4:5], 0
	.p2align	6
.LBB102_30:                             ;   Parent Loop BB102_3 Depth=1
                                        ; =>  This Inner Loop Header: Depth=2
	s_delay_alu instid0(SALU_CYCLE_1)
	v_add_co_u32 v19, vcc_lo, v25, s4
	v_add_co_ci_u32_e32 v20, vcc_lo, s5, v26, vcc_lo
	s_add_u32 s4, s4, 1
	s_addc_u32 s5, s5, 0
	v_cmp_eq_u32_e32 vcc_lo, s4, v9
	flat_load_u8 v19, v[19:20]
	s_waitcnt vmcnt(0) lgkmcnt(0)
	v_dual_mov_b32 v20, s11 :: v_dual_and_b32 v19, 0xffff, v19
	s_delay_alu instid0(VALU_DEP_1) | instskip(SKIP_3) | instid1(VALU_DEP_1)
	v_lshlrev_b64 v[19:20], s0, v[19:20]
	s_add_u32 s0, s0, 8
	s_addc_u32 s1, s1, 0
	s_or_b32 s13, vcc_lo, s13
	v_or_b32_e32 v18, v20, v18
	s_delay_alu instid0(VALU_DEP_2)
	v_or_b32_e32 v17, v19, v17
	s_and_not1_b32 exec_lo, exec_lo, s13
	s_cbranch_execnz .LBB102_30
; %bb.31:                               ;   in Loop: Header=BB102_3 Depth=1
	s_or_b32 exec_lo, exec_lo, s13
.LBB102_32:                             ;   in Loop: Header=BB102_3 Depth=1
	s_delay_alu instid0(SALU_CYCLE_1)
	s_or_b32 exec_lo, exec_lo, s7
	s_mov_b32 s1, 0
                                        ; implicit-def: $vgpr9
.LBB102_33:                             ;   in Loop: Header=BB102_3 Depth=1
	s_or_saveexec_b32 s0, s6
	v_mov_b32_e32 v21, s1
	s_xor_b32 exec_lo, exec_lo, s0
	s_cbranch_execz .LBB102_35
; %bb.34:                               ;   in Loop: Header=BB102_3 Depth=1
	flat_load_b64 v[17:18], v[25:26]
	v_add_co_u32 v25, vcc_lo, v25, 8
	v_add_nc_u32_e32 v21, -8, v9
	v_add_co_ci_u32_e32 v26, vcc_lo, 0, v26, vcc_lo
	s_waitcnt vmcnt(0) lgkmcnt(0)
	v_and_b32_e32 v19, 0xff, v18
	v_and_b32_e32 v20, 0xff00, v18
	;; [unrolled: 1-line block ×4, first 2 shown]
	v_or3_b32 v17, v17, 0, 0
	s_delay_alu instid0(VALU_DEP_4) | instskip(NEXT) | instid1(VALU_DEP_1)
	v_or_b32_e32 v19, v19, v20
	v_or3_b32 v18, v19, v22, v18
.LBB102_35:                             ;   in Loop: Header=BB102_3 Depth=1
	s_or_b32 exec_lo, exec_lo, s0
                                        ; implicit-def: $sgpr1
	s_delay_alu instid0(SALU_CYCLE_1)
	s_mov_b32 s0, exec_lo
	v_cmpx_gt_u32_e32 8, v21
	s_xor_b32 s6, exec_lo, s0
	s_cbranch_execz .LBB102_41
; %bb.36:                               ;   in Loop: Header=BB102_3 Depth=1
	v_mov_b32_e32 v19, 0
	v_mov_b32_e32 v20, 0
	s_mov_b32 s7, exec_lo
	v_cmpx_ne_u32_e32 0, v21
	s_cbranch_execz .LBB102_40
; %bb.37:                               ;   in Loop: Header=BB102_3 Depth=1
	v_mov_b32_e32 v19, 0
	v_mov_b32_e32 v20, 0
	s_mov_b64 s[0:1], 0
	s_mov_b32 s13, 0
	s_mov_b64 s[4:5], 0
	.p2align	6
.LBB102_38:                             ;   Parent Loop BB102_3 Depth=1
                                        ; =>  This Inner Loop Header: Depth=2
	s_delay_alu instid0(SALU_CYCLE_1)
	v_add_co_u32 v22, vcc_lo, v25, s4
	v_add_co_ci_u32_e32 v23, vcc_lo, s5, v26, vcc_lo
	s_add_u32 s4, s4, 1
	s_addc_u32 s5, s5, 0
	v_cmp_eq_u32_e32 vcc_lo, s4, v21
	flat_load_u8 v9, v[22:23]
	s_waitcnt vmcnt(0) lgkmcnt(0)
	v_dual_mov_b32 v23, s11 :: v_dual_and_b32 v22, 0xffff, v9
	s_delay_alu instid0(VALU_DEP_1) | instskip(SKIP_3) | instid1(VALU_DEP_1)
	v_lshlrev_b64 v[22:23], s0, v[22:23]
	s_add_u32 s0, s0, 8
	s_addc_u32 s1, s1, 0
	s_or_b32 s13, vcc_lo, s13
	v_or_b32_e32 v20, v23, v20
	s_delay_alu instid0(VALU_DEP_2)
	v_or_b32_e32 v19, v22, v19
	s_and_not1_b32 exec_lo, exec_lo, s13
	s_cbranch_execnz .LBB102_38
; %bb.39:                               ;   in Loop: Header=BB102_3 Depth=1
	s_or_b32 exec_lo, exec_lo, s13
.LBB102_40:                             ;   in Loop: Header=BB102_3 Depth=1
	s_delay_alu instid0(SALU_CYCLE_1)
	s_or_b32 exec_lo, exec_lo, s7
	s_mov_b32 s1, 0
                                        ; implicit-def: $vgpr21
.LBB102_41:                             ;   in Loop: Header=BB102_3 Depth=1
	s_or_saveexec_b32 s0, s6
	v_mov_b32_e32 v9, s1
	s_xor_b32 exec_lo, exec_lo, s0
	s_cbranch_execz .LBB102_43
; %bb.42:                               ;   in Loop: Header=BB102_3 Depth=1
	flat_load_b64 v[19:20], v[25:26]
	v_add_co_u32 v25, vcc_lo, v25, 8
	v_add_co_ci_u32_e32 v26, vcc_lo, 0, v26, vcc_lo
	s_waitcnt vmcnt(0) lgkmcnt(0)
	v_and_b32_e32 v9, 0xff, v20
	v_and_b32_e32 v22, 0xff00, v20
	;; [unrolled: 1-line block ×4, first 2 shown]
	v_or3_b32 v19, v19, 0, 0
	s_delay_alu instid0(VALU_DEP_4) | instskip(SKIP_1) | instid1(VALU_DEP_2)
	v_or_b32_e32 v22, v9, v22
	v_add_nc_u32_e32 v9, -8, v21
	v_or3_b32 v20, v22, v23, v20
.LBB102_43:                             ;   in Loop: Header=BB102_3 Depth=1
	s_or_b32 exec_lo, exec_lo, s0
                                        ; implicit-def: $vgpr21_vgpr22
                                        ; implicit-def: $sgpr1
	s_delay_alu instid0(SALU_CYCLE_1) | instskip(NEXT) | instid1(VALU_DEP_1)
	s_mov_b32 s0, exec_lo
	v_cmpx_gt_u32_e32 8, v9
	s_xor_b32 s6, exec_lo, s0
	s_cbranch_execz .LBB102_49
; %bb.44:                               ;   in Loop: Header=BB102_3 Depth=1
	v_mov_b32_e32 v21, 0
	v_mov_b32_e32 v22, 0
	s_mov_b32 s7, exec_lo
	v_cmpx_ne_u32_e32 0, v9
	s_cbranch_execz .LBB102_48
; %bb.45:                               ;   in Loop: Header=BB102_3 Depth=1
	v_mov_b32_e32 v21, 0
	v_mov_b32_e32 v22, 0
	s_mov_b64 s[0:1], 0
	s_mov_b32 s13, 0
	s_mov_b64 s[4:5], 0
	.p2align	6
.LBB102_46:                             ;   Parent Loop BB102_3 Depth=1
                                        ; =>  This Inner Loop Header: Depth=2
	s_delay_alu instid0(SALU_CYCLE_1)
	v_add_co_u32 v23, vcc_lo, v25, s4
	v_add_co_ci_u32_e32 v24, vcc_lo, s5, v26, vcc_lo
	s_add_u32 s4, s4, 1
	s_addc_u32 s5, s5, 0
	v_cmp_eq_u32_e32 vcc_lo, s4, v9
	flat_load_u8 v23, v[23:24]
	s_waitcnt vmcnt(0) lgkmcnt(0)
	v_dual_mov_b32 v24, s11 :: v_dual_and_b32 v23, 0xffff, v23
	s_delay_alu instid0(VALU_DEP_1) | instskip(SKIP_3) | instid1(VALU_DEP_1)
	v_lshlrev_b64 v[23:24], s0, v[23:24]
	s_add_u32 s0, s0, 8
	s_addc_u32 s1, s1, 0
	s_or_b32 s13, vcc_lo, s13
	v_or_b32_e32 v22, v24, v22
	s_delay_alu instid0(VALU_DEP_2)
	v_or_b32_e32 v21, v23, v21
	s_and_not1_b32 exec_lo, exec_lo, s13
	s_cbranch_execnz .LBB102_46
; %bb.47:                               ;   in Loop: Header=BB102_3 Depth=1
	s_or_b32 exec_lo, exec_lo, s13
.LBB102_48:                             ;   in Loop: Header=BB102_3 Depth=1
	s_delay_alu instid0(SALU_CYCLE_1)
	s_or_b32 exec_lo, exec_lo, s7
	s_mov_b32 s1, 0
                                        ; implicit-def: $vgpr9
.LBB102_49:                             ;   in Loop: Header=BB102_3 Depth=1
	s_or_saveexec_b32 s0, s6
	v_mov_b32_e32 v27, s1
	s_xor_b32 exec_lo, exec_lo, s0
	s_cbranch_execz .LBB102_51
; %bb.50:                               ;   in Loop: Header=BB102_3 Depth=1
	flat_load_b64 v[21:22], v[25:26]
	v_add_co_u32 v25, vcc_lo, v25, 8
	v_add_nc_u32_e32 v27, -8, v9
	v_add_co_ci_u32_e32 v26, vcc_lo, 0, v26, vcc_lo
	s_waitcnt vmcnt(0) lgkmcnt(0)
	v_and_b32_e32 v23, 0xff, v22
	v_and_b32_e32 v24, 0xff00, v22
	;; [unrolled: 1-line block ×4, first 2 shown]
	v_or3_b32 v21, v21, 0, 0
	s_delay_alu instid0(VALU_DEP_4) | instskip(NEXT) | instid1(VALU_DEP_1)
	v_or_b32_e32 v23, v23, v24
	v_or3_b32 v22, v23, v28, v22
.LBB102_51:                             ;   in Loop: Header=BB102_3 Depth=1
	s_or_b32 exec_lo, exec_lo, s0
	s_delay_alu instid0(SALU_CYCLE_1)
	s_mov_b32 s0, exec_lo
	v_cmpx_gt_u32_e32 8, v27
	s_xor_b32 s4, exec_lo, s0
	s_cbranch_execz .LBB102_57
; %bb.52:                               ;   in Loop: Header=BB102_3 Depth=1
	v_mov_b32_e32 v23, 0
	v_mov_b32_e32 v24, 0
	s_mov_b32 s5, exec_lo
	v_cmpx_ne_u32_e32 0, v27
	s_cbranch_execz .LBB102_56
; %bb.53:                               ;   in Loop: Header=BB102_3 Depth=1
	v_mov_b32_e32 v23, 0
	v_mov_b32_e32 v24, 0
	s_mov_b64 s[0:1], 0
	s_mov_b32 s6, 0
	.p2align	6
.LBB102_54:                             ;   Parent Loop BB102_3 Depth=1
                                        ; =>  This Inner Loop Header: Depth=2
	flat_load_u8 v9, v[25:26]
	v_dual_mov_b32 v32, s11 :: v_dual_add_nc_u32 v27, -1, v27
	v_add_co_u32 v25, vcc_lo, v25, 1
	v_add_co_ci_u32_e32 v26, vcc_lo, 0, v26, vcc_lo
	s_delay_alu instid0(VALU_DEP_3) | instskip(SKIP_2) | instid1(VALU_DEP_1)
	v_cmp_eq_u32_e32 vcc_lo, 0, v27
	s_waitcnt vmcnt(0) lgkmcnt(0)
	v_and_b32_e32 v31, 0xffff, v9
	v_lshlrev_b64 v[31:32], s0, v[31:32]
	s_add_u32 s0, s0, 8
	s_addc_u32 s1, s1, 0
	s_or_b32 s6, vcc_lo, s6
	s_delay_alu instid0(VALU_DEP_1) | instskip(NEXT) | instid1(VALU_DEP_2)
	v_or_b32_e32 v24, v32, v24
	v_or_b32_e32 v23, v31, v23
	s_and_not1_b32 exec_lo, exec_lo, s6
	s_cbranch_execnz .LBB102_54
; %bb.55:                               ;   in Loop: Header=BB102_3 Depth=1
	s_or_b32 exec_lo, exec_lo, s6
.LBB102_56:                             ;   in Loop: Header=BB102_3 Depth=1
	s_delay_alu instid0(SALU_CYCLE_1)
	s_or_b32 exec_lo, exec_lo, s5
                                        ; implicit-def: $vgpr25_vgpr26
.LBB102_57:                             ;   in Loop: Header=BB102_3 Depth=1
	s_and_not1_saveexec_b32 s0, s4
	s_cbranch_execz .LBB102_59
; %bb.58:                               ;   in Loop: Header=BB102_3 Depth=1
	flat_load_b64 v[23:24], v[25:26]
	s_waitcnt vmcnt(0) lgkmcnt(0)
	v_and_b32_e32 v9, 0xff, v24
	v_and_b32_e32 v25, 0xff00, v24
	v_and_b32_e32 v26, 0xff0000, v24
	v_and_b32_e32 v24, 0xff000000, v24
	v_or3_b32 v23, v23, 0, 0
	s_delay_alu instid0(VALU_DEP_4) | instskip(NEXT) | instid1(VALU_DEP_1)
	v_or_b32_e32 v9, v9, v25
	v_or3_b32 v24, v9, v26, v24
.LBB102_59:                             ;   in Loop: Header=BB102_3 Depth=1
	s_or_b32 exec_lo, exec_lo, s0
	v_readfirstlane_b32 s0, v33
	v_mov_b32_e32 v31, 0
	v_mov_b32_e32 v32, 0
	s_delay_alu instid0(VALU_DEP_3) | instskip(NEXT) | instid1(VALU_DEP_1)
	v_cmp_eq_u32_e64 s0, s0, v33
	s_and_saveexec_b32 s1, s0
	s_cbranch_execz .LBB102_65
; %bb.60:                               ;   in Loop: Header=BB102_3 Depth=1
	s_waitcnt lgkmcnt(0)
	global_load_b64 v[27:28], v10, s[2:3] offset:24 glc
	s_waitcnt vmcnt(0)
	buffer_gl1_inv
	buffer_gl0_inv
	s_clause 0x1
	global_load_b64 v[25:26], v10, s[2:3] offset:40
	global_load_b64 v[31:32], v10, s[2:3]
	s_mov_b32 s4, exec_lo
	s_waitcnt vmcnt(1)
	v_and_b32_e32 v9, v26, v28
	v_and_b32_e32 v25, v25, v27
	s_delay_alu instid0(VALU_DEP_2) | instskip(NEXT) | instid1(VALU_DEP_2)
	v_mul_lo_u32 v9, v9, 24
	v_mul_hi_u32 v26, v25, 24
	v_mul_lo_u32 v25, v25, 24
	s_delay_alu instid0(VALU_DEP_2) | instskip(SKIP_1) | instid1(VALU_DEP_2)
	v_add_nc_u32_e32 v9, v26, v9
	s_waitcnt vmcnt(0)
	v_add_co_u32 v25, vcc_lo, v31, v25
	s_delay_alu instid0(VALU_DEP_2)
	v_add_co_ci_u32_e32 v26, vcc_lo, v32, v9, vcc_lo
	global_load_b64 v[25:26], v[25:26], off glc
	s_waitcnt vmcnt(0)
	global_atomic_cmpswap_b64 v[31:32], v10, v[25:28], s[2:3] offset:24 glc
	s_waitcnt vmcnt(0)
	buffer_gl1_inv
	buffer_gl0_inv
	v_cmpx_ne_u64_e64 v[31:32], v[27:28]
	s_cbranch_execz .LBB102_64
; %bb.61:                               ;   in Loop: Header=BB102_3 Depth=1
	s_mov_b32 s5, 0
	.p2align	6
.LBB102_62:                             ;   Parent Loop BB102_3 Depth=1
                                        ; =>  This Inner Loop Header: Depth=2
	s_sleep 1
	s_clause 0x1
	global_load_b64 v[25:26], v10, s[2:3] offset:40
	global_load_b64 v[34:35], v10, s[2:3]
	v_dual_mov_b32 v27, v31 :: v_dual_mov_b32 v28, v32
	s_waitcnt vmcnt(1)
	s_delay_alu instid0(VALU_DEP_1) | instskip(SKIP_1) | instid1(VALU_DEP_1)
	v_and_b32_e32 v9, v25, v27
	s_waitcnt vmcnt(0)
	v_mad_u64_u32 v[31:32], null, v9, 24, v[34:35]
	s_delay_alu instid0(VALU_DEP_1) | instskip(NEXT) | instid1(VALU_DEP_1)
	v_dual_mov_b32 v9, v32 :: v_dual_and_b32 v34, v26, v28
	v_mad_u64_u32 v[25:26], null, v34, 24, v[9:10]
	s_delay_alu instid0(VALU_DEP_1)
	v_mov_b32_e32 v32, v25
	global_load_b64 v[25:26], v[31:32], off glc
	s_waitcnt vmcnt(0)
	global_atomic_cmpswap_b64 v[31:32], v10, v[25:28], s[2:3] offset:24 glc
	s_waitcnt vmcnt(0)
	buffer_gl1_inv
	buffer_gl0_inv
	v_cmp_eq_u64_e32 vcc_lo, v[31:32], v[27:28]
	s_or_b32 s5, vcc_lo, s5
	s_delay_alu instid0(SALU_CYCLE_1)
	s_and_not1_b32 exec_lo, exec_lo, s5
	s_cbranch_execnz .LBB102_62
; %bb.63:                               ;   in Loop: Header=BB102_3 Depth=1
	s_or_b32 exec_lo, exec_lo, s5
.LBB102_64:                             ;   in Loop: Header=BB102_3 Depth=1
	s_delay_alu instid0(SALU_CYCLE_1)
	s_or_b32 exec_lo, exec_lo, s4
.LBB102_65:                             ;   in Loop: Header=BB102_3 Depth=1
	s_delay_alu instid0(SALU_CYCLE_1)
	s_or_b32 exec_lo, exec_lo, s1
	s_waitcnt lgkmcnt(0)
	s_clause 0x1
	global_load_b64 v[34:35], v10, s[2:3] offset:40
	global_load_b128 v[25:28], v10, s[2:3]
	v_readfirstlane_b32 s4, v31
	v_readfirstlane_b32 s5, v32
	s_mov_b32 s1, exec_lo
	s_waitcnt vmcnt(1)
	v_readfirstlane_b32 s6, v34
	v_readfirstlane_b32 s7, v35
	s_delay_alu instid0(VALU_DEP_1) | instskip(NEXT) | instid1(SALU_CYCLE_1)
	s_and_b64 s[6:7], s[4:5], s[6:7]
	s_mul_i32 s13, s7, 24
	s_mul_hi_u32 s14, s6, 24
	s_mul_i32 s15, s6, 24
	s_add_i32 s14, s14, s13
	s_waitcnt vmcnt(0)
	v_add_co_u32 v31, vcc_lo, v25, s15
	v_add_co_ci_u32_e32 v32, vcc_lo, s14, v26, vcc_lo
	s_and_saveexec_b32 s13, s0
	s_cbranch_execz .LBB102_67
; %bb.66:                               ;   in Loop: Header=BB102_3 Depth=1
	v_mov_b32_e32 v9, s1
	global_store_b128 v[31:32], v[9:12], off offset:8
.LBB102_67:                             ;   in Loop: Header=BB102_3 Depth=1
	s_or_b32 exec_lo, exec_lo, s13
	v_cmp_lt_u64_e32 vcc_lo, 56, v[4:5]
	v_or_b32_e32 v9, 0, v1
	v_or_b32_e32 v34, v0, v6
	v_lshl_add_u32 v35, v29, 2, 28
	s_lshl_b64 s[6:7], s[6:7], 12
	s_delay_alu instid0(SALU_CYCLE_1) | instskip(NEXT) | instid1(VALU_DEP_1)
	v_add_co_u32 v27, s1, v27, s6
	v_add_co_ci_u32_e64 v28, s1, s7, v28, s1
	v_dual_cndmask_b32 v1, v9, v1 :: v_dual_cndmask_b32 v0, v34, v0
	v_and_b32_e32 v9, 0x1e0, v35
	v_lshlrev_b32_e32 v34, 6, v33
	v_readfirstlane_b32 s6, v27
	v_readfirstlane_b32 s7, v28
	s_delay_alu instid0(VALU_DEP_4)
	v_and_or_b32 v0, 0xffffff1f, v0, v9
	s_clause 0x3
	global_store_b128 v34, v[0:3], s[6:7]
	global_store_b128 v34, v[13:16], s[6:7] offset:16
	global_store_b128 v34, v[17:20], s[6:7] offset:32
	;; [unrolled: 1-line block ×3, first 2 shown]
	s_and_saveexec_b32 s1, s0
	s_cbranch_execz .LBB102_75
; %bb.68:                               ;   in Loop: Header=BB102_3 Depth=1
	s_clause 0x1
	global_load_b64 v[17:18], v10, s[2:3] offset:32 glc
	global_load_b64 v[0:1], v10, s[2:3] offset:40
	v_dual_mov_b32 v15, s4 :: v_dual_mov_b32 v16, s5
	s_waitcnt vmcnt(0)
	v_readfirstlane_b32 s6, v0
	v_readfirstlane_b32 s7, v1
	s_delay_alu instid0(VALU_DEP_1) | instskip(NEXT) | instid1(SALU_CYCLE_1)
	s_and_b64 s[6:7], s[6:7], s[4:5]
	s_mul_i32 s7, s7, 24
	s_mul_hi_u32 s13, s6, 24
	s_mul_i32 s6, s6, 24
	s_add_i32 s13, s13, s7
	v_add_co_u32 v13, vcc_lo, v25, s6
	v_add_co_ci_u32_e32 v14, vcc_lo, s13, v26, vcc_lo
	s_mov_b32 s6, exec_lo
	global_store_b64 v[13:14], v[17:18], off
	s_waitcnt_vscnt null, 0x0
	global_atomic_cmpswap_b64 v[2:3], v10, v[15:18], s[2:3] offset:32 glc
	s_waitcnt vmcnt(0)
	v_cmpx_ne_u64_e64 v[2:3], v[17:18]
	s_cbranch_execz .LBB102_71
; %bb.69:                               ;   in Loop: Header=BB102_3 Depth=1
	s_mov_b32 s7, 0
.LBB102_70:                             ;   Parent Loop BB102_3 Depth=1
                                        ; =>  This Inner Loop Header: Depth=2
	v_dual_mov_b32 v0, s4 :: v_dual_mov_b32 v1, s5
	s_sleep 1
	global_store_b64 v[13:14], v[2:3], off
	s_waitcnt_vscnt null, 0x0
	global_atomic_cmpswap_b64 v[0:1], v10, v[0:3], s[2:3] offset:32 glc
	s_waitcnt vmcnt(0)
	v_cmp_eq_u64_e32 vcc_lo, v[0:1], v[2:3]
	v_dual_mov_b32 v3, v1 :: v_dual_mov_b32 v2, v0
	s_or_b32 s7, vcc_lo, s7
	s_delay_alu instid0(SALU_CYCLE_1)
	s_and_not1_b32 exec_lo, exec_lo, s7
	s_cbranch_execnz .LBB102_70
.LBB102_71:                             ;   in Loop: Header=BB102_3 Depth=1
	s_or_b32 exec_lo, exec_lo, s6
	global_load_b64 v[0:1], v10, s[2:3] offset:16
	s_mov_b32 s7, exec_lo
	s_mov_b32 s6, exec_lo
	v_mbcnt_lo_u32_b32 v2, s7, 0
	s_delay_alu instid0(VALU_DEP_1)
	v_cmpx_eq_u32_e32 0, v2
	s_cbranch_execz .LBB102_73
; %bb.72:                               ;   in Loop: Header=BB102_3 Depth=1
	s_bcnt1_i32_b32 s7, s7
	s_delay_alu instid0(SALU_CYCLE_1)
	v_mov_b32_e32 v9, s7
	s_waitcnt vmcnt(0)
	global_atomic_add_u64 v[0:1], v[9:10], off offset:8
.LBB102_73:                             ;   in Loop: Header=BB102_3 Depth=1
	s_or_b32 exec_lo, exec_lo, s6
	s_waitcnt vmcnt(0)
	global_load_b64 v[2:3], v[0:1], off offset:16
	s_waitcnt vmcnt(0)
	v_cmp_eq_u64_e32 vcc_lo, 0, v[2:3]
	s_cbranch_vccnz .LBB102_75
; %bb.74:                               ;   in Loop: Header=BB102_3 Depth=1
	global_load_b32 v9, v[0:1], off offset:24
	s_waitcnt vmcnt(0)
	v_and_b32_e32 v0, 0xffffff, v9
	s_waitcnt_vscnt null, 0x0
	global_store_b64 v[2:3], v[9:10], off
	v_readfirstlane_b32 m0, v0
	s_sendmsg sendmsg(MSG_INTERRUPT)
.LBB102_75:                             ;   in Loop: Header=BB102_3 Depth=1
	s_or_b32 exec_lo, exec_lo, s1
	v_add_co_u32 v0, vcc_lo, v27, v34
	v_add_co_ci_u32_e32 v1, vcc_lo, 0, v28, vcc_lo
	s_branch .LBB102_79
	.p2align	6
.LBB102_76:                             ;   in Loop: Header=BB102_79 Depth=2
	s_or_b32 exec_lo, exec_lo, s1
	s_delay_alu instid0(VALU_DEP_1) | instskip(NEXT) | instid1(VALU_DEP_1)
	v_readfirstlane_b32 s1, v2
	s_cmp_eq_u32 s1, 0
	s_cbranch_scc1 .LBB102_78
; %bb.77:                               ;   in Loop: Header=BB102_79 Depth=2
	s_sleep 1
	s_cbranch_execnz .LBB102_79
	s_branch .LBB102_81
	.p2align	6
.LBB102_78:                             ;   in Loop: Header=BB102_3 Depth=1
	s_branch .LBB102_81
.LBB102_79:                             ;   Parent Loop BB102_3 Depth=1
                                        ; =>  This Inner Loop Header: Depth=2
	v_mov_b32_e32 v2, 1
	s_and_saveexec_b32 s1, s0
	s_cbranch_execz .LBB102_76
; %bb.80:                               ;   in Loop: Header=BB102_79 Depth=2
	global_load_b32 v2, v[31:32], off offset:20 glc
	s_waitcnt vmcnt(0)
	buffer_gl1_inv
	buffer_gl0_inv
	v_and_b32_e32 v2, 1, v2
	s_branch .LBB102_76
.LBB102_81:                             ;   in Loop: Header=BB102_3 Depth=1
	global_load_b128 v[0:3], v[0:1], off
	s_and_saveexec_b32 s1, s0
	s_cbranch_execz .LBB102_2
; %bb.82:                               ;   in Loop: Header=BB102_3 Depth=1
	s_clause 0x2
	global_load_b64 v[2:3], v10, s[2:3] offset:40
	global_load_b64 v[17:18], v10, s[2:3] offset:24 glc
	global_load_b64 v[15:16], v10, s[2:3]
	s_waitcnt vmcnt(2)
	v_add_co_u32 v9, vcc_lo, v2, 1
	v_add_co_ci_u32_e32 v19, vcc_lo, 0, v3, vcc_lo
	s_delay_alu instid0(VALU_DEP_2) | instskip(NEXT) | instid1(VALU_DEP_2)
	v_add_co_u32 v13, vcc_lo, v9, s4
	v_add_co_ci_u32_e32 v14, vcc_lo, s5, v19, vcc_lo
	s_delay_alu instid0(VALU_DEP_1) | instskip(SKIP_1) | instid1(VALU_DEP_1)
	v_cmp_eq_u64_e32 vcc_lo, 0, v[13:14]
	v_dual_cndmask_b32 v14, v14, v19 :: v_dual_cndmask_b32 v13, v13, v9
	v_and_b32_e32 v3, v14, v3
	s_delay_alu instid0(VALU_DEP_2) | instskip(NEXT) | instid1(VALU_DEP_2)
	v_and_b32_e32 v2, v13, v2
	v_mul_lo_u32 v3, v3, 24
	s_delay_alu instid0(VALU_DEP_2) | instskip(SKIP_1) | instid1(VALU_DEP_2)
	v_mul_hi_u32 v9, v2, 24
	v_mul_lo_u32 v2, v2, 24
	v_add_nc_u32_e32 v3, v9, v3
	s_waitcnt vmcnt(0)
	s_delay_alu instid0(VALU_DEP_2) | instskip(SKIP_1) | instid1(VALU_DEP_3)
	v_add_co_u32 v2, vcc_lo, v15, v2
	v_mov_b32_e32 v15, v17
	v_add_co_ci_u32_e32 v3, vcc_lo, v16, v3, vcc_lo
	v_mov_b32_e32 v16, v18
	global_store_b64 v[2:3], v[17:18], off
	s_waitcnt_vscnt null, 0x0
	global_atomic_cmpswap_b64 v[15:16], v10, v[13:16], s[2:3] offset:24 glc
	s_waitcnt vmcnt(0)
	v_cmp_ne_u64_e32 vcc_lo, v[15:16], v[17:18]
	s_and_b32 exec_lo, exec_lo, vcc_lo
	s_cbranch_execz .LBB102_2
; %bb.83:                               ;   in Loop: Header=BB102_3 Depth=1
	s_mov_b32 s0, 0
.LBB102_84:                             ;   Parent Loop BB102_3 Depth=1
                                        ; =>  This Inner Loop Header: Depth=2
	s_sleep 1
	global_store_b64 v[2:3], v[15:16], off
	s_waitcnt_vscnt null, 0x0
	global_atomic_cmpswap_b64 v[17:18], v10, v[13:16], s[2:3] offset:24 glc
	s_waitcnt vmcnt(0)
	v_cmp_eq_u64_e32 vcc_lo, v[17:18], v[15:16]
	v_dual_mov_b32 v15, v17 :: v_dual_mov_b32 v16, v18
	s_or_b32 s0, vcc_lo, s0
	s_delay_alu instid0(SALU_CYCLE_1)
	s_and_not1_b32 exec_lo, exec_lo, s0
	s_cbranch_execnz .LBB102_84
	s_branch .LBB102_2
.LBB102_85:
	s_or_b32 exec_lo, exec_lo, s12
                                        ; implicit-def: $vgpr0
                                        ; implicit-def: $vgpr33
                                        ; implicit-def: $vgpr1
.LBB102_86:
	s_and_not1_saveexec_b32 s1, s10
	s_cbranch_execz .LBB102_108
; %bb.87:
	s_load_b64 s[2:3], s[8:9], 0x50
	v_readfirstlane_b32 s0, v33
	v_mov_b32_e32 v8, 0
	v_mov_b32_e32 v9, 0
	s_delay_alu instid0(VALU_DEP_3) | instskip(NEXT) | instid1(VALU_DEP_1)
	v_cmp_eq_u32_e64 s0, s0, v33
	s_and_saveexec_b32 s4, s0
	s_cbranch_execz .LBB102_93
; %bb.88:
	s_waitcnt vmcnt(0)
	v_mov_b32_e32 v2, 0
	s_mov_b32 s5, exec_lo
	s_waitcnt lgkmcnt(0)
	global_load_b64 v[5:6], v2, s[2:3] offset:24 glc
	s_waitcnt vmcnt(0)
	buffer_gl1_inv
	buffer_gl0_inv
	s_clause 0x1
	global_load_b64 v[3:4], v2, s[2:3] offset:40
	global_load_b64 v[7:8], v2, s[2:3]
	s_waitcnt vmcnt(1)
	v_and_b32_e32 v3, v3, v5
	v_and_b32_e32 v4, v4, v6
	s_delay_alu instid0(VALU_DEP_2) | instskip(NEXT) | instid1(VALU_DEP_2)
	v_mul_hi_u32 v9, v3, 24
	v_mul_lo_u32 v4, v4, 24
	v_mul_lo_u32 v3, v3, 24
	s_delay_alu instid0(VALU_DEP_2) | instskip(SKIP_1) | instid1(VALU_DEP_2)
	v_add_nc_u32_e32 v4, v9, v4
	s_waitcnt vmcnt(0)
	v_add_co_u32 v3, vcc_lo, v7, v3
	s_delay_alu instid0(VALU_DEP_2)
	v_add_co_ci_u32_e32 v4, vcc_lo, v8, v4, vcc_lo
	global_load_b64 v[3:4], v[3:4], off glc
	s_waitcnt vmcnt(0)
	global_atomic_cmpswap_b64 v[8:9], v2, v[3:6], s[2:3] offset:24 glc
	s_waitcnt vmcnt(0)
	buffer_gl1_inv
	buffer_gl0_inv
	v_cmpx_ne_u64_e64 v[8:9], v[5:6]
	s_cbranch_execz .LBB102_92
; %bb.89:
	s_mov_b32 s6, 0
	.p2align	6
.LBB102_90:                             ; =>This Inner Loop Header: Depth=1
	s_sleep 1
	s_clause 0x1
	global_load_b64 v[3:4], v2, s[2:3] offset:40
	global_load_b64 v[10:11], v2, s[2:3]
	v_dual_mov_b32 v5, v8 :: v_dual_mov_b32 v6, v9
	s_waitcnt vmcnt(1)
	s_delay_alu instid0(VALU_DEP_1) | instskip(NEXT) | instid1(VALU_DEP_2)
	v_and_b32_e32 v3, v3, v5
	v_and_b32_e32 v4, v4, v6
	s_waitcnt vmcnt(0)
	s_delay_alu instid0(VALU_DEP_2) | instskip(NEXT) | instid1(VALU_DEP_1)
	v_mad_u64_u32 v[7:8], null, v3, 24, v[10:11]
	v_mov_b32_e32 v3, v8
	s_delay_alu instid0(VALU_DEP_1)
	v_mad_u64_u32 v[8:9], null, v4, 24, v[3:4]
	global_load_b64 v[3:4], v[7:8], off glc
	s_waitcnt vmcnt(0)
	global_atomic_cmpswap_b64 v[8:9], v2, v[3:6], s[2:3] offset:24 glc
	s_waitcnt vmcnt(0)
	buffer_gl1_inv
	buffer_gl0_inv
	v_cmp_eq_u64_e32 vcc_lo, v[8:9], v[5:6]
	s_or_b32 s6, vcc_lo, s6
	s_delay_alu instid0(SALU_CYCLE_1)
	s_and_not1_b32 exec_lo, exec_lo, s6
	s_cbranch_execnz .LBB102_90
; %bb.91:
	s_or_b32 exec_lo, exec_lo, s6
.LBB102_92:
	s_delay_alu instid0(SALU_CYCLE_1)
	s_or_b32 exec_lo, exec_lo, s5
.LBB102_93:
	s_delay_alu instid0(SALU_CYCLE_1)
	s_or_b32 exec_lo, exec_lo, s4
	s_waitcnt vmcnt(0)
	v_mov_b32_e32 v2, 0
	v_readfirstlane_b32 s4, v8
	v_readfirstlane_b32 s5, v9
	s_mov_b32 s8, exec_lo
	s_waitcnt lgkmcnt(0)
	s_clause 0x1
	global_load_b64 v[10:11], v2, s[2:3] offset:40
	global_load_b128 v[4:7], v2, s[2:3]
	s_waitcnt vmcnt(1)
	v_readfirstlane_b32 s6, v10
	v_readfirstlane_b32 s7, v11
	s_delay_alu instid0(VALU_DEP_1) | instskip(NEXT) | instid1(SALU_CYCLE_1)
	s_and_b64 s[6:7], s[4:5], s[6:7]
	s_mul_i32 s9, s7, 24
	s_mul_hi_u32 s10, s6, 24
	s_mul_i32 s11, s6, 24
	s_add_i32 s10, s10, s9
	s_waitcnt vmcnt(0)
	v_add_co_u32 v8, vcc_lo, v4, s11
	v_add_co_ci_u32_e32 v9, vcc_lo, s10, v5, vcc_lo
	s_and_saveexec_b32 s9, s0
	s_cbranch_execz .LBB102_95
; %bb.94:
	v_dual_mov_b32 v10, s8 :: v_dual_mov_b32 v11, v2
	v_dual_mov_b32 v12, 2 :: v_dual_mov_b32 v13, 1
	global_store_b128 v[8:9], v[10:13], off offset:8
.LBB102_95:
	s_or_b32 exec_lo, exec_lo, s9
	s_lshl_b64 s[6:7], s[6:7], 12
	s_mov_b32 s8, 0
	v_add_co_u32 v6, vcc_lo, v6, s6
	v_add_co_ci_u32_e32 v7, vcc_lo, s7, v7, vcc_lo
	s_mov_b32 s11, s8
	s_mov_b32 s9, s8
	;; [unrolled: 1-line block ×3, first 2 shown]
	v_and_or_b32 v0, 0xffffff1f, v0, 32
	v_dual_mov_b32 v3, v2 :: v_dual_lshlrev_b32 v14, 6, v33
	v_readfirstlane_b32 s6, v6
	v_readfirstlane_b32 s7, v7
	v_dual_mov_b32 v13, s11 :: v_dual_mov_b32 v12, s10
	v_dual_mov_b32 v11, s9 :: v_dual_mov_b32 v10, s8
	s_clause 0x3
	global_store_b128 v14, v[0:3], s[6:7]
	global_store_b128 v14, v[10:13], s[6:7] offset:16
	global_store_b128 v14, v[10:13], s[6:7] offset:32
	;; [unrolled: 1-line block ×3, first 2 shown]
	s_and_saveexec_b32 s6, s0
	s_cbranch_execz .LBB102_102
; %bb.96:
	v_mov_b32_e32 v6, 0
	s_mov_b32 s7, exec_lo
	s_clause 0x1
	global_load_b64 v[12:13], v6, s[2:3] offset:32 glc
	global_load_b64 v[0:1], v6, s[2:3] offset:40
	v_dual_mov_b32 v11, s5 :: v_dual_mov_b32 v10, s4
	s_waitcnt vmcnt(0)
	v_and_b32_e32 v1, s5, v1
	v_and_b32_e32 v0, s4, v0
	s_delay_alu instid0(VALU_DEP_2) | instskip(NEXT) | instid1(VALU_DEP_2)
	v_mul_lo_u32 v1, v1, 24
	v_mul_hi_u32 v2, v0, 24
	v_mul_lo_u32 v0, v0, 24
	s_delay_alu instid0(VALU_DEP_2) | instskip(NEXT) | instid1(VALU_DEP_2)
	v_add_nc_u32_e32 v1, v2, v1
	v_add_co_u32 v4, vcc_lo, v4, v0
	s_delay_alu instid0(VALU_DEP_2)
	v_add_co_ci_u32_e32 v5, vcc_lo, v5, v1, vcc_lo
	global_store_b64 v[4:5], v[12:13], off
	s_waitcnt_vscnt null, 0x0
	global_atomic_cmpswap_b64 v[2:3], v6, v[10:13], s[2:3] offset:32 glc
	s_waitcnt vmcnt(0)
	v_cmpx_ne_u64_e64 v[2:3], v[12:13]
	s_cbranch_execz .LBB102_98
.LBB102_97:                             ; =>This Inner Loop Header: Depth=1
	v_dual_mov_b32 v0, s4 :: v_dual_mov_b32 v1, s5
	s_sleep 1
	global_store_b64 v[4:5], v[2:3], off
	s_waitcnt_vscnt null, 0x0
	global_atomic_cmpswap_b64 v[0:1], v6, v[0:3], s[2:3] offset:32 glc
	s_waitcnt vmcnt(0)
	v_cmp_eq_u64_e32 vcc_lo, v[0:1], v[2:3]
	v_dual_mov_b32 v3, v1 :: v_dual_mov_b32 v2, v0
	s_or_b32 s8, vcc_lo, s8
	s_delay_alu instid0(SALU_CYCLE_1)
	s_and_not1_b32 exec_lo, exec_lo, s8
	s_cbranch_execnz .LBB102_97
.LBB102_98:
	s_or_b32 exec_lo, exec_lo, s7
	v_mov_b32_e32 v3, 0
	s_mov_b32 s8, exec_lo
	s_mov_b32 s7, exec_lo
	v_mbcnt_lo_u32_b32 v2, s8, 0
	global_load_b64 v[0:1], v3, s[2:3] offset:16
	v_cmpx_eq_u32_e32 0, v2
	s_cbranch_execz .LBB102_100
; %bb.99:
	s_bcnt1_i32_b32 s8, s8
	s_delay_alu instid0(SALU_CYCLE_1)
	v_mov_b32_e32 v2, s8
	s_waitcnt vmcnt(0)
	global_atomic_add_u64 v[0:1], v[2:3], off offset:8
.LBB102_100:
	s_or_b32 exec_lo, exec_lo, s7
	s_waitcnt vmcnt(0)
	global_load_b64 v[2:3], v[0:1], off offset:16
	s_waitcnt vmcnt(0)
	v_cmp_eq_u64_e32 vcc_lo, 0, v[2:3]
	s_cbranch_vccnz .LBB102_102
; %bb.101:
	global_load_b32 v0, v[0:1], off offset:24
	s_waitcnt vmcnt(0)
	v_dual_mov_b32 v1, 0 :: v_dual_and_b32 v4, 0xffffff, v0
	s_waitcnt_vscnt null, 0x0
	global_store_b64 v[2:3], v[0:1], off
	v_readfirstlane_b32 m0, v4
	s_sendmsg sendmsg(MSG_INTERRUPT)
.LBB102_102:
	s_or_b32 exec_lo, exec_lo, s6
	s_branch .LBB102_106
	.p2align	6
.LBB102_103:                            ;   in Loop: Header=BB102_106 Depth=1
	s_or_b32 exec_lo, exec_lo, s6
	s_delay_alu instid0(VALU_DEP_1) | instskip(NEXT) | instid1(VALU_DEP_1)
	v_readfirstlane_b32 s6, v0
	s_cmp_eq_u32 s6, 0
	s_cbranch_scc1 .LBB102_105
; %bb.104:                              ;   in Loop: Header=BB102_106 Depth=1
	s_sleep 1
	s_cbranch_execnz .LBB102_106
	s_branch .LBB102_109
	.p2align	6
.LBB102_105:
	s_branch .LBB102_109
.LBB102_106:                            ; =>This Inner Loop Header: Depth=1
	v_mov_b32_e32 v0, 1
	s_and_saveexec_b32 s6, s0
	s_cbranch_execz .LBB102_103
; %bb.107:                              ;   in Loop: Header=BB102_106 Depth=1
	global_load_b32 v0, v[8:9], off offset:20 glc
	s_waitcnt vmcnt(0)
	buffer_gl1_inv
	buffer_gl0_inv
	v_and_b32_e32 v0, 1, v0
	s_branch .LBB102_103
.LBB102_108:
	s_or_b32 exec_lo, exec_lo, s1
	s_waitcnt vmcnt(0) lgkmcnt(0)
	s_setpc_b64 s[30:31]
.LBB102_109:
	s_and_saveexec_b32 s6, s0
	s_cbranch_execz .LBB102_113
; %bb.110:
	v_mov_b32_e32 v6, 0
	s_clause 0x2
	global_load_b64 v[2:3], v6, s[2:3] offset:40
	global_load_b64 v[7:8], v6, s[2:3] offset:24 glc
	global_load_b64 v[4:5], v6, s[2:3]
	s_waitcnt vmcnt(2)
	v_add_co_u32 v9, vcc_lo, v2, 1
	v_add_co_ci_u32_e32 v10, vcc_lo, 0, v3, vcc_lo
	s_delay_alu instid0(VALU_DEP_2) | instskip(NEXT) | instid1(VALU_DEP_2)
	v_add_co_u32 v0, vcc_lo, v9, s4
	v_add_co_ci_u32_e32 v1, vcc_lo, s5, v10, vcc_lo
	s_delay_alu instid0(VALU_DEP_1) | instskip(SKIP_1) | instid1(VALU_DEP_1)
	v_cmp_eq_u64_e32 vcc_lo, 0, v[0:1]
	v_dual_cndmask_b32 v1, v1, v10 :: v_dual_cndmask_b32 v0, v0, v9
	v_and_b32_e32 v3, v1, v3
	s_delay_alu instid0(VALU_DEP_2) | instskip(NEXT) | instid1(VALU_DEP_2)
	v_and_b32_e32 v2, v0, v2
	v_mul_lo_u32 v3, v3, 24
	s_delay_alu instid0(VALU_DEP_2) | instskip(SKIP_1) | instid1(VALU_DEP_2)
	v_mul_hi_u32 v9, v2, 24
	v_mul_lo_u32 v2, v2, 24
	v_add_nc_u32_e32 v3, v9, v3
	s_waitcnt vmcnt(0)
	s_delay_alu instid0(VALU_DEP_2) | instskip(SKIP_1) | instid1(VALU_DEP_3)
	v_add_co_u32 v4, vcc_lo, v4, v2
	v_mov_b32_e32 v2, v7
	v_add_co_ci_u32_e32 v5, vcc_lo, v5, v3, vcc_lo
	v_mov_b32_e32 v3, v8
	global_store_b64 v[4:5], v[7:8], off
	s_waitcnt_vscnt null, 0x0
	global_atomic_cmpswap_b64 v[2:3], v6, v[0:3], s[2:3] offset:24 glc
	s_waitcnt vmcnt(0)
	v_cmp_ne_u64_e32 vcc_lo, v[2:3], v[7:8]
	s_and_b32 exec_lo, exec_lo, vcc_lo
	s_cbranch_execz .LBB102_113
; %bb.111:
	s_mov_b32 s0, 0
.LBB102_112:                            ; =>This Inner Loop Header: Depth=1
	s_sleep 1
	global_store_b64 v[4:5], v[2:3], off
	s_waitcnt_vscnt null, 0x0
	global_atomic_cmpswap_b64 v[7:8], v6, v[0:3], s[2:3] offset:24 glc
	s_waitcnt vmcnt(0)
	v_cmp_eq_u64_e32 vcc_lo, v[7:8], v[2:3]
	v_dual_mov_b32 v2, v7 :: v_dual_mov_b32 v3, v8
	s_or_b32 s0, vcc_lo, s0
	s_delay_alu instid0(SALU_CYCLE_1)
	s_and_not1_b32 exec_lo, exec_lo, s0
	s_cbranch_execnz .LBB102_112
.LBB102_113:
	s_or_b32 exec_lo, exec_lo, s6
	s_delay_alu instid0(SALU_CYCLE_1)
	s_or_b32 exec_lo, exec_lo, s1
	s_waitcnt lgkmcnt(0)
	s_setpc_b64 s[30:31]
.Lfunc_end102:
	.size	__ockl_fprintf_append_string_n, .Lfunc_end102-__ockl_fprintf_append_string_n
                                        ; -- End function
	.section	.AMDGPU.csdata,"",@progbits
; Function info:
; codeLenInByte = 4740
; NumSgprs: 34
; NumVgprs: 36
; ScratchSize: 0
; MemoryBound: 0
	.text
	.p2align	2                               ; -- Begin function __assert_fail
	.type	__assert_fail,@function
__assert_fail:                          ; @__assert_fail
; %bb.0:
	s_waitcnt vmcnt(0) expcnt(0) lgkmcnt(0)
	s_mov_b32 s20, s33
	s_mov_b32 s33, s32
	s_xor_saveexec_b32 s0, -1
	scratch_store_b32 off, v38, s33 offset:48 ; 4-byte Folded Spill
	s_mov_b32 exec_lo, s0
	v_writelane_b32 v38, s30, 0
	s_add_i32 s32, s32, 64
	v_writelane_b32 v38, s31, 1
	s_getpc_b64 s[0:1]
	s_add_u32 s0, s0, __const.__assert_fail.fmt@rel32@lo+4
	s_addc_u32 s1, s1, __const.__assert_fail.fmt@rel32@hi+12
	s_getpc_b64 s[2:3]
	s_add_u32 s2, s2, __const.__assert_fail.fmt@rel32@lo+20
	s_addc_u32 s3, s3, __const.__assert_fail.fmt@rel32@hi+28
	v_mbcnt_lo_u32_b32 v33, -1, 0
	s_clause 0x1
	s_load_b128 s[4:7], s[0:1], 0x0
	s_load_b128 s[12:15], s[2:3], 0x0
	s_load_b64 s[2:3], s[8:9], 0x50
	v_mov_b32_e32 v14, 0xa2e
	v_mov_b32_e32 v0, 0
	v_dual_mov_b32 v2, 0 :: v_dual_mov_b32 v11, 0x73256020
	v_readfirstlane_b32 s0, v33
	v_dual_mov_b32 v12, 0x61662027 :: v_dual_mov_b32 v1, 0
	v_mov_b32_e32 v13, 0x64656c69
	s_delay_alu instid0(VALU_DEP_3)
	v_cmp_eq_u32_e64 s0, s0, v33
	s_waitcnt lgkmcnt(0)
	v_mov_b32_e32 v3, s4
	v_dual_mov_b32 v5, s6 :: v_dual_mov_b32 v4, s5
	v_dual_mov_b32 v7, s12 :: v_dual_mov_b32 v6, s7
	v_dual_mov_b32 v9, s14 :: v_dual_mov_b32 v10, s15
	v_mov_b32_e32 v8, s13
	s_clause 0x4
	scratch_store_b128 off, v[3:6], s33
	scratch_store_b128 off, v[7:10], s33 offset:16
	scratch_store_b8 off, v2, s33 offset:46
	scratch_store_b16 off, v14, s33 offset:44
	scratch_store_b96 off, v[11:13], s33 offset:32
	s_and_saveexec_b32 s1, s0
	s_cbranch_execz .LBB103_6
; %bb.1:
	global_load_b64 v[5:6], v2, s[2:3] offset:24 glc
	s_waitcnt vmcnt(0)
	buffer_gl1_inv
	buffer_gl0_inv
	s_clause 0x1
	global_load_b64 v[0:1], v2, s[2:3] offset:40
	global_load_b64 v[3:4], v2, s[2:3]
	s_mov_b32 s4, exec_lo
	s_waitcnt vmcnt(1)
	v_and_b32_e32 v1, v1, v6
	v_and_b32_e32 v0, v0, v5
	s_delay_alu instid0(VALU_DEP_2) | instskip(NEXT) | instid1(VALU_DEP_2)
	v_mul_lo_u32 v1, v1, 24
	v_mul_hi_u32 v7, v0, 24
	v_mul_lo_u32 v0, v0, 24
	s_delay_alu instid0(VALU_DEP_2) | instskip(SKIP_1) | instid1(VALU_DEP_2)
	v_add_nc_u32_e32 v1, v7, v1
	s_waitcnt vmcnt(0)
	v_add_co_u32 v0, vcc_lo, v3, v0
	s_delay_alu instid0(VALU_DEP_2)
	v_add_co_ci_u32_e32 v1, vcc_lo, v4, v1, vcc_lo
	global_load_b64 v[3:4], v[0:1], off glc
	s_waitcnt vmcnt(0)
	global_atomic_cmpswap_b64 v[0:1], v2, v[3:6], s[2:3] offset:24 glc
	s_waitcnt vmcnt(0)
	buffer_gl1_inv
	buffer_gl0_inv
	v_cmpx_ne_u64_e64 v[0:1], v[5:6]
	s_cbranch_execz .LBB103_5
; %bb.2:
	s_mov_b32 s5, 0
	.p2align	6
.LBB103_3:                              ; =>This Inner Loop Header: Depth=1
	s_sleep 1
	s_clause 0x1
	global_load_b64 v[3:4], v2, s[2:3] offset:40
	global_load_b64 v[7:8], v2, s[2:3]
	v_dual_mov_b32 v6, v1 :: v_dual_mov_b32 v5, v0
	s_waitcnt vmcnt(1)
	s_delay_alu instid0(VALU_DEP_1) | instskip(SKIP_1) | instid1(VALU_DEP_1)
	v_and_b32_e32 v3, v3, v5
	s_waitcnt vmcnt(0)
	v_mad_u64_u32 v[0:1], null, v3, 24, v[7:8]
	v_and_b32_e32 v7, v4, v6
	s_delay_alu instid0(VALU_DEP_1) | instskip(NEXT) | instid1(VALU_DEP_1)
	v_mad_u64_u32 v[3:4], null, v7, 24, v[1:2]
	v_mov_b32_e32 v1, v3
	global_load_b64 v[3:4], v[0:1], off glc
	s_waitcnt vmcnt(0)
	global_atomic_cmpswap_b64 v[0:1], v2, v[3:6], s[2:3] offset:24 glc
	s_waitcnt vmcnt(0)
	buffer_gl1_inv
	buffer_gl0_inv
	v_cmp_eq_u64_e32 vcc_lo, v[0:1], v[5:6]
	s_or_b32 s5, vcc_lo, s5
	s_delay_alu instid0(SALU_CYCLE_1)
	s_and_not1_b32 exec_lo, exec_lo, s5
	s_cbranch_execnz .LBB103_3
; %bb.4:
	s_or_b32 exec_lo, exec_lo, s5
.LBB103_5:
	s_delay_alu instid0(SALU_CYCLE_1)
	s_or_b32 exec_lo, exec_lo, s4
.LBB103_6:
	s_delay_alu instid0(SALU_CYCLE_1)
	s_or_b32 exec_lo, exec_lo, s1
	s_clause 0x1
	global_load_b64 v[8:9], v2, s[2:3] offset:40
	global_load_b128 v[4:7], v2, s[2:3]
	v_readfirstlane_b32 s4, v0
	v_readfirstlane_b32 s5, v1
	s_mov_b32 s1, exec_lo
	s_waitcnt vmcnt(1)
	v_readfirstlane_b32 s6, v8
	v_readfirstlane_b32 s7, v9
	s_delay_alu instid0(VALU_DEP_1) | instskip(NEXT) | instid1(SALU_CYCLE_1)
	s_and_b64 s[6:7], s[4:5], s[6:7]
	s_mul_i32 s10, s7, 24
	s_mul_hi_u32 s11, s6, 24
	s_mul_i32 s12, s6, 24
	s_add_i32 s11, s11, s10
	s_waitcnt vmcnt(0)
	v_add_co_u32 v8, vcc_lo, v4, s12
	v_add_co_ci_u32_e32 v9, vcc_lo, s11, v5, vcc_lo
	s_and_saveexec_b32 s10, s0
	s_cbranch_execz .LBB103_8
; %bb.7:
	v_dual_mov_b32 v0, s1 :: v_dual_mov_b32 v1, 0
	v_dual_mov_b32 v2, 2 :: v_dual_mov_b32 v3, 1
	global_store_b128 v[8:9], v[0:3], off offset:8
.LBB103_8:
	s_or_b32 exec_lo, exec_lo, s10
	s_lshl_b64 s[6:7], s[6:7], 12
	v_dual_mov_b32 v1, 0 :: v_dual_lshlrev_b32 v32, 6, v33
	v_add_co_u32 v6, vcc_lo, v6, s6
	v_add_co_ci_u32_e32 v7, vcc_lo, s7, v7, vcc_lo
	s_mov_b32 s12, 0
	s_delay_alu instid0(VALU_DEP_2)
	v_readfirstlane_b32 s6, v6
	v_add_co_u32 v6, vcc_lo, v6, v32
	s_mov_b32 s13, s12
	s_mov_b32 s14, s12
	;; [unrolled: 1-line block ×3, first 2 shown]
	v_dual_mov_b32 v0, 33 :: v_dual_mov_b32 v3, v1
	v_mov_b32_e32 v2, 1
	v_readfirstlane_b32 s7, v7
	v_dual_mov_b32 v10, s12 :: v_dual_mov_b32 v13, s15
	v_add_co_ci_u32_e32 v7, vcc_lo, 0, v7, vcc_lo
	v_dual_mov_b32 v11, s13 :: v_dual_mov_b32 v12, s14
	s_clause 0x3
	global_store_b128 v32, v[0:3], s[6:7]
	global_store_b128 v32, v[10:13], s[6:7] offset:16
	global_store_b128 v32, v[10:13], s[6:7] offset:32
	;; [unrolled: 1-line block ×3, first 2 shown]
	s_and_saveexec_b32 s1, s0
	s_cbranch_execz .LBB103_16
; %bb.9:
	s_clause 0x1
	global_load_b64 v[14:15], v1, s[2:3] offset:32 glc
	global_load_b64 v[2:3], v1, s[2:3] offset:40
	v_mov_b32_e32 v12, s4
	s_mov_b32 s6, exec_lo
	s_waitcnt vmcnt(0)
	v_dual_mov_b32 v13, s5 :: v_dual_and_b32 v0, s5, v3
	v_and_b32_e32 v2, s4, v2
	s_delay_alu instid0(VALU_DEP_2) | instskip(NEXT) | instid1(VALU_DEP_2)
	v_mul_lo_u32 v0, v0, 24
	v_mul_hi_u32 v3, v2, 24
	v_mul_lo_u32 v2, v2, 24
	s_delay_alu instid0(VALU_DEP_2) | instskip(NEXT) | instid1(VALU_DEP_2)
	v_add_nc_u32_e32 v0, v3, v0
	v_add_co_u32 v10, vcc_lo, v4, v2
	s_delay_alu instid0(VALU_DEP_2)
	v_add_co_ci_u32_e32 v11, vcc_lo, v5, v0, vcc_lo
	global_store_b64 v[10:11], v[14:15], off
	s_waitcnt_vscnt null, 0x0
	global_atomic_cmpswap_b64 v[4:5], v1, v[12:15], s[2:3] offset:32 glc
	s_waitcnt vmcnt(0)
	v_cmpx_ne_u64_e64 v[4:5], v[14:15]
	s_cbranch_execz .LBB103_12
; %bb.10:
	s_mov_b32 s7, 0
.LBB103_11:                             ; =>This Inner Loop Header: Depth=1
	v_dual_mov_b32 v2, s4 :: v_dual_mov_b32 v3, s5
	s_sleep 1
	global_store_b64 v[10:11], v[4:5], off
	s_waitcnt_vscnt null, 0x0
	global_atomic_cmpswap_b64 v[2:3], v1, v[2:5], s[2:3] offset:32 glc
	s_waitcnt vmcnt(0)
	v_cmp_eq_u64_e32 vcc_lo, v[2:3], v[4:5]
	v_dual_mov_b32 v5, v3 :: v_dual_mov_b32 v4, v2
	s_or_b32 s7, vcc_lo, s7
	s_delay_alu instid0(SALU_CYCLE_1)
	s_and_not1_b32 exec_lo, exec_lo, s7
	s_cbranch_execnz .LBB103_11
.LBB103_12:
	s_or_b32 exec_lo, exec_lo, s6
	v_mov_b32_e32 v3, 0
	s_mov_b32 s7, exec_lo
	s_mov_b32 s6, exec_lo
	v_mbcnt_lo_u32_b32 v2, s7, 0
	global_load_b64 v[0:1], v3, s[2:3] offset:16
	v_cmpx_eq_u32_e32 0, v2
	s_cbranch_execz .LBB103_14
; %bb.13:
	s_bcnt1_i32_b32 s7, s7
	s_delay_alu instid0(SALU_CYCLE_1)
	v_mov_b32_e32 v2, s7
	s_waitcnt vmcnt(0)
	global_atomic_add_u64 v[0:1], v[2:3], off offset:8
.LBB103_14:
	s_or_b32 exec_lo, exec_lo, s6
	s_waitcnt vmcnt(0)
	global_load_b64 v[2:3], v[0:1], off offset:16
	s_waitcnt vmcnt(0)
	v_cmp_eq_u64_e32 vcc_lo, 0, v[2:3]
	s_cbranch_vccnz .LBB103_16
; %bb.15:
	global_load_b32 v0, v[0:1], off offset:24
	s_waitcnt vmcnt(0)
	v_dual_mov_b32 v1, 0 :: v_dual_and_b32 v4, 0xffffff, v0
	s_waitcnt_vscnt null, 0x0
	global_store_b64 v[2:3], v[0:1], off
	v_readfirstlane_b32 m0, v4
	s_sendmsg sendmsg(MSG_INTERRUPT)
.LBB103_16:
	s_or_b32 exec_lo, exec_lo, s1
	s_branch .LBB103_20
	.p2align	6
.LBB103_17:                             ;   in Loop: Header=BB103_20 Depth=1
	s_or_b32 exec_lo, exec_lo, s1
	s_delay_alu instid0(VALU_DEP_1) | instskip(NEXT) | instid1(VALU_DEP_1)
	v_readfirstlane_b32 s1, v0
	s_cmp_eq_u32 s1, 0
	s_cbranch_scc1 .LBB103_19
; %bb.18:                               ;   in Loop: Header=BB103_20 Depth=1
	s_sleep 1
	s_cbranch_execnz .LBB103_20
	s_branch .LBB103_22
	.p2align	6
.LBB103_19:
	s_branch .LBB103_22
.LBB103_20:                             ; =>This Inner Loop Header: Depth=1
	v_mov_b32_e32 v0, 1
	s_and_saveexec_b32 s1, s0
	s_cbranch_execz .LBB103_17
; %bb.21:                               ;   in Loop: Header=BB103_20 Depth=1
	global_load_b32 v0, v[8:9], off offset:20 glc
	s_waitcnt vmcnt(0)
	buffer_gl1_inv
	buffer_gl0_inv
	v_and_b32_e32 v0, 1, v0
	s_branch .LBB103_17
.LBB103_22:
	global_load_b64 v[4:5], v[6:7], off
	s_and_saveexec_b32 s1, s0
	s_cbranch_execz .LBB103_26
; %bb.23:
	v_mov_b32_e32 v8, 0
	s_clause 0x2
	global_load_b64 v[2:3], v8, s[2:3] offset:40
	global_load_b64 v[9:10], v8, s[2:3] offset:24 glc
	global_load_b64 v[6:7], v8, s[2:3]
	s_waitcnt vmcnt(2)
	v_add_co_u32 v11, vcc_lo, v2, 1
	v_add_co_ci_u32_e32 v12, vcc_lo, 0, v3, vcc_lo
	s_delay_alu instid0(VALU_DEP_2) | instskip(NEXT) | instid1(VALU_DEP_2)
	v_add_co_u32 v0, vcc_lo, v11, s4
	v_add_co_ci_u32_e32 v1, vcc_lo, s5, v12, vcc_lo
	s_delay_alu instid0(VALU_DEP_1) | instskip(SKIP_1) | instid1(VALU_DEP_1)
	v_cmp_eq_u64_e32 vcc_lo, 0, v[0:1]
	v_dual_cndmask_b32 v1, v1, v12 :: v_dual_cndmask_b32 v0, v0, v11
	v_and_b32_e32 v3, v1, v3
	s_delay_alu instid0(VALU_DEP_2) | instskip(NEXT) | instid1(VALU_DEP_2)
	v_and_b32_e32 v2, v0, v2
	v_mul_lo_u32 v3, v3, 24
	s_delay_alu instid0(VALU_DEP_2) | instskip(SKIP_1) | instid1(VALU_DEP_2)
	v_mul_hi_u32 v11, v2, 24
	v_mul_lo_u32 v2, v2, 24
	v_add_nc_u32_e32 v3, v11, v3
	s_waitcnt vmcnt(0)
	s_delay_alu instid0(VALU_DEP_2) | instskip(SKIP_1) | instid1(VALU_DEP_3)
	v_add_co_u32 v6, vcc_lo, v6, v2
	v_mov_b32_e32 v2, v9
	v_add_co_ci_u32_e32 v7, vcc_lo, v7, v3, vcc_lo
	v_mov_b32_e32 v3, v10
	global_store_b64 v[6:7], v[9:10], off
	s_waitcnt_vscnt null, 0x0
	global_atomic_cmpswap_b64 v[2:3], v8, v[0:3], s[2:3] offset:24 glc
	s_waitcnt vmcnt(0)
	v_cmp_ne_u64_e32 vcc_lo, v[2:3], v[9:10]
	s_and_b32 exec_lo, exec_lo, vcc_lo
	s_cbranch_execz .LBB103_26
; %bb.24:
	s_mov_b32 s0, 0
.LBB103_25:                             ; =>This Inner Loop Header: Depth=1
	s_sleep 1
	global_store_b64 v[6:7], v[2:3], off
	s_waitcnt_vscnt null, 0x0
	global_atomic_cmpswap_b64 v[9:10], v8, v[0:3], s[2:3] offset:24 glc
	s_waitcnt vmcnt(0)
	v_cmp_eq_u64_e32 vcc_lo, v[9:10], v[2:3]
	v_dual_mov_b32 v2, v9 :: v_dual_mov_b32 v3, v10
	s_or_b32 s0, vcc_lo, s0
	s_delay_alu instid0(SALU_CYCLE_1)
	s_and_not1_b32 exec_lo, exec_lo, s0
	s_cbranch_execnz .LBB103_25
.LBB103_26:
	s_or_b32 exec_lo, exec_lo, s1
	v_mov_b32_e32 v1, s33
	s_mov_b32 s0, 0
.LBB103_27:                             ; =>This Inner Loop Header: Depth=1
	scratch_load_u8 v2, v1, off
	v_add_nc_u32_e32 v0, 1, v1
	s_delay_alu instid0(VALU_DEP_1) | instskip(SKIP_3) | instid1(SALU_CYCLE_1)
	v_mov_b32_e32 v1, v0
	s_waitcnt vmcnt(0)
	v_cmp_eq_u16_e32 vcc_lo, 0, v2
	s_or_b32 s0, vcc_lo, s0
	s_and_not1_b32 exec_lo, exec_lo, s0
	s_cbranch_execnz .LBB103_27
; %bb.28:
	s_or_b32 exec_lo, exec_lo, s0
	v_cmp_ne_u32_e64 s0, -1, s33
	s_delay_alu instid0(VALU_DEP_1)
	s_and_b32 vcc_lo, exec_lo, s0
	s_cbranch_vccz .LBB103_113
; %bb.29:
	v_subrev_nc_u32_e32 v26, s33, v0
	v_dual_mov_b32 v7, 0 :: v_dual_and_b32 v34, 2, v4
	v_dual_mov_b32 v1, v5 :: v_dual_and_b32 v0, -3, v4
	s_delay_alu instid0(VALU_DEP_3)
	v_ashrrev_i32_e32 v27, 31, v26
	v_dual_mov_b32 v35, s33 :: v_dual_mov_b32 v8, 2
	v_mov_b32_e32 v9, 1
	s_mov_b32 s11, 0
	s_mov_b32 s10, 0
	s_branch .LBB103_31
.LBB103_30:                             ;   in Loop: Header=BB103_31 Depth=1
	s_or_b32 exec_lo, exec_lo, s1
	v_sub_co_u32 v26, vcc_lo, v26, v28
	v_sub_co_ci_u32_e32 v27, vcc_lo, v27, v29, vcc_lo
	v_add_nc_u32_e32 v35, v35, v28
	s_delay_alu instid0(VALU_DEP_2) | instskip(SKIP_1) | instid1(SALU_CYCLE_1)
	v_cmp_eq_u64_e32 vcc_lo, 0, v[26:27]
	s_or_b32 s10, vcc_lo, s10
	s_and_not1_b32 exec_lo, exec_lo, s10
	s_cbranch_execz .LBB103_114
.LBB103_31:                             ; =>This Loop Header: Depth=1
                                        ;     Child Loop BB103_34 Depth 2
                                        ;     Child Loop BB103_42 Depth 2
	;; [unrolled: 1-line block ×11, first 2 shown]
	v_cmp_gt_u64_e32 vcc_lo, 56, v[26:27]
	s_mov_b32 s4, exec_lo
                                        ; implicit-def: $vgpr2_vgpr3
                                        ; implicit-def: $sgpr1
	v_dual_cndmask_b32 v29, 0, v27 :: v_dual_cndmask_b32 v28, 56, v26
	v_cmpx_gt_u64_e32 8, v[26:27]
	s_xor_b32 s4, exec_lo, s4
	s_cbranch_execz .LBB103_37
; %bb.32:                               ;   in Loop: Header=BB103_31 Depth=1
	s_waitcnt vmcnt(0)
	v_mov_b32_e32 v2, 0
	v_mov_b32_e32 v3, 0
	s_mov_b64 s[0:1], 0
	s_mov_b32 s5, exec_lo
	v_cmpx_ne_u64_e32 0, v[26:27]
	s_cbranch_execz .LBB103_36
; %bb.33:                               ;   in Loop: Header=BB103_31 Depth=1
	v_lshlrev_b64 v[10:11], 3, v[28:29]
	v_mov_b32_e32 v2, 0
	v_dual_mov_b32 v3, 0 :: v_dual_mov_b32 v6, v35
	s_mov_b32 s6, 0
.LBB103_34:                             ;   Parent Loop BB103_31 Depth=1
                                        ; =>  This Inner Loop Header: Depth=2
	scratch_load_u8 v11, v6, off
	v_mov_b32_e32 v12, s11
	v_add_nc_u32_e32 v6, 1, v6
	s_waitcnt vmcnt(0)
	v_and_b32_e32 v11, 0xffff, v11
	s_delay_alu instid0(VALU_DEP_1) | instskip(SKIP_3) | instid1(VALU_DEP_2)
	v_lshlrev_b64 v[11:12], s0, v[11:12]
	s_add_u32 s0, s0, 8
	s_addc_u32 s1, s1, 0
	v_cmp_eq_u32_e32 vcc_lo, s0, v10
	v_or_b32_e32 v3, v12, v3
	s_delay_alu instid0(VALU_DEP_3) | instskip(SKIP_1) | instid1(SALU_CYCLE_1)
	v_or_b32_e32 v2, v11, v2
	s_or_b32 s6, vcc_lo, s6
	s_and_not1_b32 exec_lo, exec_lo, s6
	s_cbranch_execnz .LBB103_34
; %bb.35:                               ;   in Loop: Header=BB103_31 Depth=1
	s_or_b32 exec_lo, exec_lo, s6
.LBB103_36:                             ;   in Loop: Header=BB103_31 Depth=1
	s_delay_alu instid0(SALU_CYCLE_1)
	s_or_b32 exec_lo, exec_lo, s5
	s_mov_b32 s1, 0
.LBB103_37:                             ;   in Loop: Header=BB103_31 Depth=1
	s_or_saveexec_b32 s0, s4
	v_mov_b32_e32 v12, s1
	v_mov_b32_e32 v6, v35
	s_xor_b32 exec_lo, exec_lo, s0
	s_cbranch_execz .LBB103_39
; %bb.38:                               ;   in Loop: Header=BB103_31 Depth=1
	scratch_load_b64 v[2:3], v35, off
	v_add_nc_u32_e32 v12, -8, v28
	s_waitcnt vmcnt(0)
	v_and_b32_e32 v6, 0xff, v3
	v_and_b32_e32 v10, 0xff00, v3
	;; [unrolled: 1-line block ×4, first 2 shown]
	v_or3_b32 v2, v2, 0, 0
	s_delay_alu instid0(VALU_DEP_4) | instskip(NEXT) | instid1(VALU_DEP_1)
	v_or_b32_e32 v6, v6, v10
	v_or3_b32 v3, v6, v11, v3
	v_add_nc_u32_e32 v6, 8, v35
.LBB103_39:                             ;   in Loop: Header=BB103_31 Depth=1
	s_or_b32 exec_lo, exec_lo, s0
                                        ; implicit-def: $vgpr10_vgpr11
                                        ; implicit-def: $sgpr1
	s_delay_alu instid0(SALU_CYCLE_1)
	s_mov_b32 s0, exec_lo
	v_cmpx_gt_u32_e32 8, v12
	s_xor_b32 s4, exec_lo, s0
	s_cbranch_execz .LBB103_45
; %bb.40:                               ;   in Loop: Header=BB103_31 Depth=1
	v_mov_b32_e32 v10, 0
	v_mov_b32_e32 v11, 0
	s_mov_b32 s5, exec_lo
	v_cmpx_ne_u32_e32 0, v12
	s_cbranch_execz .LBB103_44
; %bb.41:                               ;   in Loop: Header=BB103_31 Depth=1
	v_mov_b32_e32 v10, 0
	v_mov_b32_e32 v11, 0
	s_mov_b64 s[0:1], 0
	s_mov_b32 s6, 0
	s_mov_b32 s7, 0
	.p2align	6
.LBB103_42:                             ;   Parent Loop BB103_31 Depth=1
                                        ; =>  This Inner Loop Header: Depth=2
	s_delay_alu instid0(SALU_CYCLE_1) | instskip(SKIP_1) | instid1(SALU_CYCLE_1)
	v_dual_mov_b32 v14, s11 :: v_dual_add_nc_u32 v13, s7, v6
	s_add_i32 s7, s7, 1
	v_cmp_eq_u32_e32 vcc_lo, s7, v12
	scratch_load_u8 v13, v13, off
	s_waitcnt vmcnt(0)
	v_and_b32_e32 v13, 0xffff, v13
	s_delay_alu instid0(VALU_DEP_1) | instskip(SKIP_3) | instid1(VALU_DEP_1)
	v_lshlrev_b64 v[13:14], s0, v[13:14]
	s_add_u32 s0, s0, 8
	s_addc_u32 s1, s1, 0
	s_or_b32 s6, vcc_lo, s6
	v_or_b32_e32 v11, v14, v11
	s_delay_alu instid0(VALU_DEP_2)
	v_or_b32_e32 v10, v13, v10
	s_and_not1_b32 exec_lo, exec_lo, s6
	s_cbranch_execnz .LBB103_42
; %bb.43:                               ;   in Loop: Header=BB103_31 Depth=1
	s_or_b32 exec_lo, exec_lo, s6
.LBB103_44:                             ;   in Loop: Header=BB103_31 Depth=1
	s_delay_alu instid0(SALU_CYCLE_1)
	s_or_b32 exec_lo, exec_lo, s5
	s_mov_b32 s1, 0
                                        ; implicit-def: $vgpr12
.LBB103_45:                             ;   in Loop: Header=BB103_31 Depth=1
	s_or_saveexec_b32 s0, s4
	v_mov_b32_e32 v14, s1
	s_xor_b32 exec_lo, exec_lo, s0
	s_cbranch_execz .LBB103_47
; %bb.46:                               ;   in Loop: Header=BB103_31 Depth=1
	scratch_load_b64 v[10:11], v6, off
	v_add_nc_u32_e32 v6, 8, v6
	s_waitcnt vmcnt(0)
	v_and_b32_e32 v13, 0xff, v11
	v_and_b32_e32 v14, 0xff00, v11
	;; [unrolled: 1-line block ×4, first 2 shown]
	v_or3_b32 v10, v10, 0, 0
	s_delay_alu instid0(VALU_DEP_4) | instskip(SKIP_1) | instid1(VALU_DEP_2)
	v_or_b32_e32 v13, v13, v14
	v_add_nc_u32_e32 v14, -8, v12
	v_or3_b32 v11, v13, v15, v11
.LBB103_47:                             ;   in Loop: Header=BB103_31 Depth=1
	s_or_b32 exec_lo, exec_lo, s0
                                        ; implicit-def: $sgpr1
	s_delay_alu instid0(SALU_CYCLE_1) | instskip(NEXT) | instid1(VALU_DEP_1)
	s_mov_b32 s0, exec_lo
	v_cmpx_gt_u32_e32 8, v14
	s_xor_b32 s4, exec_lo, s0
	s_cbranch_execz .LBB103_53
; %bb.48:                               ;   in Loop: Header=BB103_31 Depth=1
	v_mov_b32_e32 v12, 0
	v_mov_b32_e32 v13, 0
	s_mov_b32 s5, exec_lo
	v_cmpx_ne_u32_e32 0, v14
	s_cbranch_execz .LBB103_52
; %bb.49:                               ;   in Loop: Header=BB103_31 Depth=1
	v_mov_b32_e32 v12, 0
	v_mov_b32_e32 v13, 0
	s_mov_b64 s[0:1], 0
	s_mov_b32 s6, 0
	s_mov_b32 s7, 0
	.p2align	6
.LBB103_50:                             ;   Parent Loop BB103_31 Depth=1
                                        ; =>  This Inner Loop Header: Depth=2
	s_delay_alu instid0(SALU_CYCLE_1) | instskip(SKIP_1) | instid1(SALU_CYCLE_1)
	v_dual_mov_b32 v16, s11 :: v_dual_add_nc_u32 v15, s7, v6
	s_add_i32 s7, s7, 1
	v_cmp_eq_u32_e32 vcc_lo, s7, v14
	scratch_load_u8 v15, v15, off
	s_waitcnt vmcnt(0)
	v_and_b32_e32 v15, 0xffff, v15
	s_delay_alu instid0(VALU_DEP_1) | instskip(SKIP_3) | instid1(VALU_DEP_1)
	v_lshlrev_b64 v[15:16], s0, v[15:16]
	s_add_u32 s0, s0, 8
	s_addc_u32 s1, s1, 0
	s_or_b32 s6, vcc_lo, s6
	v_or_b32_e32 v13, v16, v13
	s_delay_alu instid0(VALU_DEP_2)
	v_or_b32_e32 v12, v15, v12
	s_and_not1_b32 exec_lo, exec_lo, s6
	s_cbranch_execnz .LBB103_50
; %bb.51:                               ;   in Loop: Header=BB103_31 Depth=1
	s_or_b32 exec_lo, exec_lo, s6
.LBB103_52:                             ;   in Loop: Header=BB103_31 Depth=1
	s_delay_alu instid0(SALU_CYCLE_1)
	s_or_b32 exec_lo, exec_lo, s5
	s_mov_b32 s1, 0
                                        ; implicit-def: $vgpr14
.LBB103_53:                             ;   in Loop: Header=BB103_31 Depth=1
	s_or_saveexec_b32 s0, s4
	v_mov_b32_e32 v16, s1
	s_xor_b32 exec_lo, exec_lo, s0
	s_cbranch_execz .LBB103_55
; %bb.54:                               ;   in Loop: Header=BB103_31 Depth=1
	scratch_load_b64 v[12:13], v6, off
	v_add_nc_u32_e32 v6, 8, v6
	s_waitcnt vmcnt(0)
	v_and_b32_e32 v15, 0xff, v13
	v_and_b32_e32 v16, 0xff00, v13
	;; [unrolled: 1-line block ×4, first 2 shown]
	v_or3_b32 v12, v12, 0, 0
	s_delay_alu instid0(VALU_DEP_4) | instskip(SKIP_1) | instid1(VALU_DEP_2)
	v_or_b32_e32 v15, v15, v16
	v_add_nc_u32_e32 v16, -8, v14
	v_or3_b32 v13, v15, v17, v13
.LBB103_55:                             ;   in Loop: Header=BB103_31 Depth=1
	s_or_b32 exec_lo, exec_lo, s0
                                        ; implicit-def: $vgpr14_vgpr15
                                        ; implicit-def: $sgpr1
	s_delay_alu instid0(SALU_CYCLE_1) | instskip(NEXT) | instid1(VALU_DEP_1)
	s_mov_b32 s0, exec_lo
	v_cmpx_gt_u32_e32 8, v16
	s_xor_b32 s4, exec_lo, s0
	s_cbranch_execz .LBB103_61
; %bb.56:                               ;   in Loop: Header=BB103_31 Depth=1
	v_mov_b32_e32 v14, 0
	v_mov_b32_e32 v15, 0
	s_mov_b32 s5, exec_lo
	v_cmpx_ne_u32_e32 0, v16
	s_cbranch_execz .LBB103_60
; %bb.57:                               ;   in Loop: Header=BB103_31 Depth=1
	v_mov_b32_e32 v14, 0
	v_mov_b32_e32 v15, 0
	s_mov_b64 s[0:1], 0
	s_mov_b32 s6, 0
	s_mov_b32 s7, 0
	.p2align	6
.LBB103_58:                             ;   Parent Loop BB103_31 Depth=1
                                        ; =>  This Inner Loop Header: Depth=2
	s_delay_alu instid0(SALU_CYCLE_1) | instskip(SKIP_1) | instid1(SALU_CYCLE_1)
	v_dual_mov_b32 v18, s11 :: v_dual_add_nc_u32 v17, s7, v6
	s_add_i32 s7, s7, 1
	v_cmp_eq_u32_e32 vcc_lo, s7, v16
	scratch_load_u8 v17, v17, off
	s_waitcnt vmcnt(0)
	v_and_b32_e32 v17, 0xffff, v17
	s_delay_alu instid0(VALU_DEP_1) | instskip(SKIP_3) | instid1(VALU_DEP_1)
	v_lshlrev_b64 v[17:18], s0, v[17:18]
	s_add_u32 s0, s0, 8
	s_addc_u32 s1, s1, 0
	s_or_b32 s6, vcc_lo, s6
	v_or_b32_e32 v15, v18, v15
	s_delay_alu instid0(VALU_DEP_2)
	v_or_b32_e32 v14, v17, v14
	s_and_not1_b32 exec_lo, exec_lo, s6
	s_cbranch_execnz .LBB103_58
; %bb.59:                               ;   in Loop: Header=BB103_31 Depth=1
	s_or_b32 exec_lo, exec_lo, s6
.LBB103_60:                             ;   in Loop: Header=BB103_31 Depth=1
	s_delay_alu instid0(SALU_CYCLE_1)
	s_or_b32 exec_lo, exec_lo, s5
	s_mov_b32 s1, 0
                                        ; implicit-def: $vgpr16
.LBB103_61:                             ;   in Loop: Header=BB103_31 Depth=1
	s_or_saveexec_b32 s0, s4
	v_mov_b32_e32 v18, s1
	s_xor_b32 exec_lo, exec_lo, s0
	s_cbranch_execz .LBB103_63
; %bb.62:                               ;   in Loop: Header=BB103_31 Depth=1
	scratch_load_b64 v[14:15], v6, off
	v_add_nc_u32_e32 v6, 8, v6
	s_waitcnt vmcnt(0)
	v_and_b32_e32 v17, 0xff, v15
	v_and_b32_e32 v18, 0xff00, v15
	;; [unrolled: 1-line block ×4, first 2 shown]
	v_or3_b32 v14, v14, 0, 0
	s_delay_alu instid0(VALU_DEP_4) | instskip(SKIP_1) | instid1(VALU_DEP_2)
	v_or_b32_e32 v17, v17, v18
	v_add_nc_u32_e32 v18, -8, v16
	v_or3_b32 v15, v17, v19, v15
.LBB103_63:                             ;   in Loop: Header=BB103_31 Depth=1
	s_or_b32 exec_lo, exec_lo, s0
                                        ; implicit-def: $sgpr1
	s_delay_alu instid0(SALU_CYCLE_1) | instskip(NEXT) | instid1(VALU_DEP_1)
	s_mov_b32 s0, exec_lo
	v_cmpx_gt_u32_e32 8, v18
	s_xor_b32 s4, exec_lo, s0
	s_cbranch_execz .LBB103_69
; %bb.64:                               ;   in Loop: Header=BB103_31 Depth=1
	v_mov_b32_e32 v16, 0
	v_mov_b32_e32 v17, 0
	s_mov_b32 s5, exec_lo
	v_cmpx_ne_u32_e32 0, v18
	s_cbranch_execz .LBB103_68
; %bb.65:                               ;   in Loop: Header=BB103_31 Depth=1
	v_mov_b32_e32 v16, 0
	v_mov_b32_e32 v17, 0
	s_mov_b64 s[0:1], 0
	s_mov_b32 s6, 0
	s_mov_b32 s7, 0
	.p2align	6
.LBB103_66:                             ;   Parent Loop BB103_31 Depth=1
                                        ; =>  This Inner Loop Header: Depth=2
	s_delay_alu instid0(SALU_CYCLE_1) | instskip(SKIP_1) | instid1(SALU_CYCLE_1)
	v_dual_mov_b32 v20, s11 :: v_dual_add_nc_u32 v19, s7, v6
	s_add_i32 s7, s7, 1
	v_cmp_eq_u32_e32 vcc_lo, s7, v18
	scratch_load_u8 v19, v19, off
	s_waitcnt vmcnt(0)
	v_and_b32_e32 v19, 0xffff, v19
	s_delay_alu instid0(VALU_DEP_1) | instskip(SKIP_3) | instid1(VALU_DEP_1)
	v_lshlrev_b64 v[19:20], s0, v[19:20]
	s_add_u32 s0, s0, 8
	s_addc_u32 s1, s1, 0
	s_or_b32 s6, vcc_lo, s6
	v_or_b32_e32 v17, v20, v17
	s_delay_alu instid0(VALU_DEP_2)
	v_or_b32_e32 v16, v19, v16
	s_and_not1_b32 exec_lo, exec_lo, s6
	s_cbranch_execnz .LBB103_66
; %bb.67:                               ;   in Loop: Header=BB103_31 Depth=1
	s_or_b32 exec_lo, exec_lo, s6
.LBB103_68:                             ;   in Loop: Header=BB103_31 Depth=1
	s_delay_alu instid0(SALU_CYCLE_1)
	s_or_b32 exec_lo, exec_lo, s5
	s_mov_b32 s1, 0
                                        ; implicit-def: $vgpr18
.LBB103_69:                             ;   in Loop: Header=BB103_31 Depth=1
	s_or_saveexec_b32 s0, s4
	v_mov_b32_e32 v20, s1
	s_xor_b32 exec_lo, exec_lo, s0
	s_cbranch_execz .LBB103_71
; %bb.70:                               ;   in Loop: Header=BB103_31 Depth=1
	scratch_load_b64 v[16:17], v6, off
	v_add_nc_u32_e32 v6, 8, v6
	s_waitcnt vmcnt(0)
	v_and_b32_e32 v19, 0xff, v17
	v_and_b32_e32 v20, 0xff00, v17
	;; [unrolled: 1-line block ×4, first 2 shown]
	v_or3_b32 v16, v16, 0, 0
	s_delay_alu instid0(VALU_DEP_4) | instskip(SKIP_1) | instid1(VALU_DEP_2)
	v_or_b32_e32 v19, v19, v20
	v_add_nc_u32_e32 v20, -8, v18
	v_or3_b32 v17, v19, v21, v17
.LBB103_71:                             ;   in Loop: Header=BB103_31 Depth=1
	s_or_b32 exec_lo, exec_lo, s0
                                        ; implicit-def: $vgpr18_vgpr19
                                        ; implicit-def: $sgpr1
	s_delay_alu instid0(SALU_CYCLE_1) | instskip(NEXT) | instid1(VALU_DEP_1)
	s_mov_b32 s0, exec_lo
	v_cmpx_gt_u32_e32 8, v20
	s_xor_b32 s4, exec_lo, s0
	s_cbranch_execz .LBB103_77
; %bb.72:                               ;   in Loop: Header=BB103_31 Depth=1
	v_mov_b32_e32 v18, 0
	v_mov_b32_e32 v19, 0
	s_mov_b32 s5, exec_lo
	v_cmpx_ne_u32_e32 0, v20
	s_cbranch_execz .LBB103_76
; %bb.73:                               ;   in Loop: Header=BB103_31 Depth=1
	v_mov_b32_e32 v18, 0
	v_mov_b32_e32 v19, 0
	s_mov_b64 s[0:1], 0
	s_mov_b32 s6, 0
	s_mov_b32 s7, 0
	.p2align	6
.LBB103_74:                             ;   Parent Loop BB103_31 Depth=1
                                        ; =>  This Inner Loop Header: Depth=2
	s_delay_alu instid0(SALU_CYCLE_1) | instskip(SKIP_1) | instid1(SALU_CYCLE_1)
	v_dual_mov_b32 v22, s11 :: v_dual_add_nc_u32 v21, s7, v6
	s_add_i32 s7, s7, 1
	v_cmp_eq_u32_e32 vcc_lo, s7, v20
	scratch_load_u8 v21, v21, off
	s_waitcnt vmcnt(0)
	v_and_b32_e32 v21, 0xffff, v21
	s_delay_alu instid0(VALU_DEP_1) | instskip(SKIP_3) | instid1(VALU_DEP_1)
	v_lshlrev_b64 v[21:22], s0, v[21:22]
	s_add_u32 s0, s0, 8
	s_addc_u32 s1, s1, 0
	s_or_b32 s6, vcc_lo, s6
	v_or_b32_e32 v19, v22, v19
	s_delay_alu instid0(VALU_DEP_2)
	v_or_b32_e32 v18, v21, v18
	s_and_not1_b32 exec_lo, exec_lo, s6
	s_cbranch_execnz .LBB103_74
; %bb.75:                               ;   in Loop: Header=BB103_31 Depth=1
	s_or_b32 exec_lo, exec_lo, s6
.LBB103_76:                             ;   in Loop: Header=BB103_31 Depth=1
	s_delay_alu instid0(SALU_CYCLE_1)
	s_or_b32 exec_lo, exec_lo, s5
	s_mov_b32 s1, 0
                                        ; implicit-def: $vgpr20
.LBB103_77:                             ;   in Loop: Header=BB103_31 Depth=1
	s_or_saveexec_b32 s0, s4
	v_mov_b32_e32 v22, s1
	s_xor_b32 exec_lo, exec_lo, s0
	s_cbranch_execz .LBB103_79
; %bb.78:                               ;   in Loop: Header=BB103_31 Depth=1
	scratch_load_b64 v[18:19], v6, off
	v_add_nc_u32_e32 v6, 8, v6
	s_waitcnt vmcnt(0)
	v_and_b32_e32 v21, 0xff, v19
	v_and_b32_e32 v22, 0xff00, v19
	;; [unrolled: 1-line block ×4, first 2 shown]
	v_or3_b32 v18, v18, 0, 0
	s_delay_alu instid0(VALU_DEP_4) | instskip(SKIP_1) | instid1(VALU_DEP_2)
	v_or_b32_e32 v21, v21, v22
	v_add_nc_u32_e32 v22, -8, v20
	v_or3_b32 v19, v21, v23, v19
.LBB103_79:                             ;   in Loop: Header=BB103_31 Depth=1
	s_or_b32 exec_lo, exec_lo, s0
	s_delay_alu instid0(SALU_CYCLE_1) | instskip(NEXT) | instid1(VALU_DEP_1)
	s_mov_b32 s0, exec_lo
	v_cmpx_gt_u32_e32 8, v22
	s_xor_b32 s4, exec_lo, s0
	s_cbranch_execz .LBB103_85
; %bb.80:                               ;   in Loop: Header=BB103_31 Depth=1
	v_mov_b32_e32 v20, 0
	v_mov_b32_e32 v21, 0
	s_mov_b32 s5, exec_lo
	v_cmpx_ne_u32_e32 0, v22
	s_cbranch_execz .LBB103_84
; %bb.81:                               ;   in Loop: Header=BB103_31 Depth=1
	v_mov_b32_e32 v20, 0
	v_mov_b32_e32 v21, 0
	s_mov_b64 s[0:1], 0
	s_mov_b32 s6, 0
	.p2align	6
.LBB103_82:                             ;   Parent Loop BB103_31 Depth=1
                                        ; =>  This Inner Loop Header: Depth=2
	scratch_load_u8 v23, v6, off
	v_mov_b32_e32 v24, s11
	v_add_nc_u32_e32 v22, -1, v22
	v_add_nc_u32_e32 v6, 1, v6
	s_delay_alu instid0(VALU_DEP_2) | instskip(SKIP_2) | instid1(VALU_DEP_1)
	v_cmp_eq_u32_e32 vcc_lo, 0, v22
	s_waitcnt vmcnt(0)
	v_and_b32_e32 v23, 0xffff, v23
	v_lshlrev_b64 v[23:24], s0, v[23:24]
	s_add_u32 s0, s0, 8
	s_addc_u32 s1, s1, 0
	s_or_b32 s6, vcc_lo, s6
	s_delay_alu instid0(VALU_DEP_1) | instskip(NEXT) | instid1(VALU_DEP_2)
	v_or_b32_e32 v21, v24, v21
	v_or_b32_e32 v20, v23, v20
	s_and_not1_b32 exec_lo, exec_lo, s6
	s_cbranch_execnz .LBB103_82
; %bb.83:                               ;   in Loop: Header=BB103_31 Depth=1
	s_or_b32 exec_lo, exec_lo, s6
.LBB103_84:                             ;   in Loop: Header=BB103_31 Depth=1
	s_delay_alu instid0(SALU_CYCLE_1)
	s_or_b32 exec_lo, exec_lo, s5
                                        ; implicit-def: $vgpr6
.LBB103_85:                             ;   in Loop: Header=BB103_31 Depth=1
	s_and_not1_saveexec_b32 s0, s4
	s_cbranch_execz .LBB103_87
; %bb.86:                               ;   in Loop: Header=BB103_31 Depth=1
	scratch_load_b64 v[20:21], v6, off
	s_waitcnt vmcnt(0)
	v_and_b32_e32 v6, 0xff, v21
	v_and_b32_e32 v22, 0xff00, v21
	;; [unrolled: 1-line block ×4, first 2 shown]
	v_or3_b32 v20, v20, 0, 0
	s_delay_alu instid0(VALU_DEP_4) | instskip(NEXT) | instid1(VALU_DEP_1)
	v_or_b32_e32 v6, v6, v22
	v_or3_b32 v21, v6, v23, v21
.LBB103_87:                             ;   in Loop: Header=BB103_31 Depth=1
	s_or_b32 exec_lo, exec_lo, s0
	v_readfirstlane_b32 s0, v33
	v_mov_b32_e32 v30, 0
	v_mov_b32_e32 v31, 0
	s_delay_alu instid0(VALU_DEP_3) | instskip(NEXT) | instid1(VALU_DEP_1)
	v_cmp_eq_u32_e64 s0, s0, v33
	s_and_saveexec_b32 s1, s0
	s_cbranch_execz .LBB103_93
; %bb.88:                               ;   in Loop: Header=BB103_31 Depth=1
	global_load_b64 v[24:25], v7, s[2:3] offset:24 glc
	s_waitcnt vmcnt(0)
	buffer_gl1_inv
	buffer_gl0_inv
	s_clause 0x1
	global_load_b64 v[22:23], v7, s[2:3] offset:40
	global_load_b64 v[30:31], v7, s[2:3]
	s_mov_b32 s4, exec_lo
	s_waitcnt vmcnt(1)
	v_and_b32_e32 v6, v23, v25
	v_and_b32_e32 v22, v22, v24
	s_delay_alu instid0(VALU_DEP_2) | instskip(NEXT) | instid1(VALU_DEP_2)
	v_mul_lo_u32 v6, v6, 24
	v_mul_hi_u32 v23, v22, 24
	v_mul_lo_u32 v22, v22, 24
	s_delay_alu instid0(VALU_DEP_2) | instskip(SKIP_1) | instid1(VALU_DEP_2)
	v_add_nc_u32_e32 v6, v23, v6
	s_waitcnt vmcnt(0)
	v_add_co_u32 v22, vcc_lo, v30, v22
	s_delay_alu instid0(VALU_DEP_2)
	v_add_co_ci_u32_e32 v23, vcc_lo, v31, v6, vcc_lo
	global_load_b64 v[22:23], v[22:23], off glc
	s_waitcnt vmcnt(0)
	global_atomic_cmpswap_b64 v[30:31], v7, v[22:25], s[2:3] offset:24 glc
	s_waitcnt vmcnt(0)
	buffer_gl1_inv
	buffer_gl0_inv
	v_cmpx_ne_u64_e64 v[30:31], v[24:25]
	s_cbranch_execz .LBB103_92
; %bb.89:                               ;   in Loop: Header=BB103_31 Depth=1
	s_mov_b32 s5, 0
	.p2align	6
.LBB103_90:                             ;   Parent Loop BB103_31 Depth=1
                                        ; =>  This Inner Loop Header: Depth=2
	s_sleep 1
	s_clause 0x1
	global_load_b64 v[22:23], v7, s[2:3] offset:40
	global_load_b64 v[36:37], v7, s[2:3]
	v_dual_mov_b32 v24, v30 :: v_dual_mov_b32 v25, v31
	s_waitcnt vmcnt(1)
	s_delay_alu instid0(VALU_DEP_1) | instskip(SKIP_1) | instid1(VALU_DEP_1)
	v_and_b32_e32 v6, v22, v24
	s_waitcnt vmcnt(0)
	v_mad_u64_u32 v[30:31], null, v6, 24, v[36:37]
	v_and_b32_e32 v36, v23, v25
	s_delay_alu instid0(VALU_DEP_2) | instskip(NEXT) | instid1(VALU_DEP_1)
	v_mov_b32_e32 v6, v31
	v_mad_u64_u32 v[22:23], null, v36, 24, v[6:7]
	s_delay_alu instid0(VALU_DEP_1)
	v_mov_b32_e32 v31, v22
	global_load_b64 v[22:23], v[30:31], off glc
	s_waitcnt vmcnt(0)
	global_atomic_cmpswap_b64 v[30:31], v7, v[22:25], s[2:3] offset:24 glc
	s_waitcnt vmcnt(0)
	buffer_gl1_inv
	buffer_gl0_inv
	v_cmp_eq_u64_e32 vcc_lo, v[30:31], v[24:25]
	s_or_b32 s5, vcc_lo, s5
	s_delay_alu instid0(SALU_CYCLE_1)
	s_and_not1_b32 exec_lo, exec_lo, s5
	s_cbranch_execnz .LBB103_90
; %bb.91:                               ;   in Loop: Header=BB103_31 Depth=1
	s_or_b32 exec_lo, exec_lo, s5
.LBB103_92:                             ;   in Loop: Header=BB103_31 Depth=1
	s_delay_alu instid0(SALU_CYCLE_1)
	s_or_b32 exec_lo, exec_lo, s4
.LBB103_93:                             ;   in Loop: Header=BB103_31 Depth=1
	s_delay_alu instid0(SALU_CYCLE_1)
	s_or_b32 exec_lo, exec_lo, s1
	s_clause 0x1
	global_load_b64 v[36:37], v7, s[2:3] offset:40
	global_load_b128 v[22:25], v7, s[2:3]
	v_readfirstlane_b32 s4, v30
	v_readfirstlane_b32 s5, v31
	s_mov_b32 s1, exec_lo
	s_waitcnt vmcnt(1)
	v_readfirstlane_b32 s6, v36
	v_readfirstlane_b32 s7, v37
	s_delay_alu instid0(VALU_DEP_1) | instskip(NEXT) | instid1(SALU_CYCLE_1)
	s_and_b64 s[6:7], s[4:5], s[6:7]
	s_mul_i32 s12, s7, 24
	s_mul_hi_u32 s13, s6, 24
	s_mul_i32 s14, s6, 24
	s_add_i32 s13, s13, s12
	s_waitcnt vmcnt(0)
	v_add_co_u32 v30, vcc_lo, v22, s14
	v_add_co_ci_u32_e32 v31, vcc_lo, s13, v23, vcc_lo
	s_and_saveexec_b32 s12, s0
	s_cbranch_execz .LBB103_95
; %bb.94:                               ;   in Loop: Header=BB103_31 Depth=1
	v_mov_b32_e32 v6, s1
	global_store_b128 v[30:31], v[6:9], off offset:8
.LBB103_95:                             ;   in Loop: Header=BB103_31 Depth=1
	s_or_b32 exec_lo, exec_lo, s12
	v_cmp_lt_u64_e32 vcc_lo, 56, v[26:27]
	v_or_b32_e32 v6, 0, v1
	v_or_b32_e32 v36, v0, v34
	v_lshl_add_u32 v37, v28, 2, 28
	s_lshl_b64 s[6:7], s[6:7], 12
	s_delay_alu instid0(SALU_CYCLE_1) | instskip(NEXT) | instid1(VALU_DEP_1)
	v_add_co_u32 v24, s1, v24, s6
	v_add_co_ci_u32_e64 v25, s1, s7, v25, s1
	v_dual_cndmask_b32 v1, v6, v1 :: v_dual_cndmask_b32 v0, v36, v0
	v_and_b32_e32 v6, 0x1e0, v37
	s_delay_alu instid0(VALU_DEP_4) | instskip(NEXT) | instid1(VALU_DEP_4)
	v_readfirstlane_b32 s6, v24
	v_readfirstlane_b32 s7, v25
	s_delay_alu instid0(VALU_DEP_3)
	v_and_or_b32 v0, 0xffffff1f, v0, v6
	s_clause 0x3
	global_store_b128 v32, v[0:3], s[6:7]
	global_store_b128 v32, v[10:13], s[6:7] offset:16
	global_store_b128 v32, v[14:17], s[6:7] offset:32
	;; [unrolled: 1-line block ×3, first 2 shown]
	s_and_saveexec_b32 s1, s0
	s_cbranch_execz .LBB103_103
; %bb.96:                               ;   in Loop: Header=BB103_31 Depth=1
	s_clause 0x1
	global_load_b64 v[14:15], v7, s[2:3] offset:32 glc
	global_load_b64 v[0:1], v7, s[2:3] offset:40
	v_dual_mov_b32 v12, s4 :: v_dual_mov_b32 v13, s5
	s_waitcnt vmcnt(0)
	v_readfirstlane_b32 s6, v0
	v_readfirstlane_b32 s7, v1
	s_delay_alu instid0(VALU_DEP_1) | instskip(NEXT) | instid1(SALU_CYCLE_1)
	s_and_b64 s[6:7], s[6:7], s[4:5]
	s_mul_i32 s7, s7, 24
	s_mul_hi_u32 s12, s6, 24
	s_mul_i32 s6, s6, 24
	s_add_i32 s12, s12, s7
	v_add_co_u32 v10, vcc_lo, v22, s6
	v_add_co_ci_u32_e32 v11, vcc_lo, s12, v23, vcc_lo
	s_mov_b32 s6, exec_lo
	global_store_b64 v[10:11], v[14:15], off
	s_waitcnt_vscnt null, 0x0
	global_atomic_cmpswap_b64 v[2:3], v7, v[12:15], s[2:3] offset:32 glc
	s_waitcnt vmcnt(0)
	v_cmpx_ne_u64_e64 v[2:3], v[14:15]
	s_cbranch_execz .LBB103_99
; %bb.97:                               ;   in Loop: Header=BB103_31 Depth=1
	s_mov_b32 s7, 0
.LBB103_98:                             ;   Parent Loop BB103_31 Depth=1
                                        ; =>  This Inner Loop Header: Depth=2
	v_dual_mov_b32 v0, s4 :: v_dual_mov_b32 v1, s5
	s_sleep 1
	global_store_b64 v[10:11], v[2:3], off
	s_waitcnt_vscnt null, 0x0
	global_atomic_cmpswap_b64 v[0:1], v7, v[0:3], s[2:3] offset:32 glc
	s_waitcnt vmcnt(0)
	v_cmp_eq_u64_e32 vcc_lo, v[0:1], v[2:3]
	v_dual_mov_b32 v3, v1 :: v_dual_mov_b32 v2, v0
	s_or_b32 s7, vcc_lo, s7
	s_delay_alu instid0(SALU_CYCLE_1)
	s_and_not1_b32 exec_lo, exec_lo, s7
	s_cbranch_execnz .LBB103_98
.LBB103_99:                             ;   in Loop: Header=BB103_31 Depth=1
	s_or_b32 exec_lo, exec_lo, s6
	global_load_b64 v[0:1], v7, s[2:3] offset:16
	s_mov_b32 s7, exec_lo
	s_mov_b32 s6, exec_lo
	v_mbcnt_lo_u32_b32 v2, s7, 0
	s_delay_alu instid0(VALU_DEP_1)
	v_cmpx_eq_u32_e32 0, v2
	s_cbranch_execz .LBB103_101
; %bb.100:                              ;   in Loop: Header=BB103_31 Depth=1
	s_bcnt1_i32_b32 s7, s7
	s_delay_alu instid0(SALU_CYCLE_1)
	v_mov_b32_e32 v6, s7
	s_waitcnt vmcnt(0)
	global_atomic_add_u64 v[0:1], v[6:7], off offset:8
.LBB103_101:                            ;   in Loop: Header=BB103_31 Depth=1
	s_or_b32 exec_lo, exec_lo, s6
	s_waitcnt vmcnt(0)
	global_load_b64 v[2:3], v[0:1], off offset:16
	s_waitcnt vmcnt(0)
	v_cmp_eq_u64_e32 vcc_lo, 0, v[2:3]
	s_cbranch_vccnz .LBB103_103
; %bb.102:                              ;   in Loop: Header=BB103_31 Depth=1
	global_load_b32 v6, v[0:1], off offset:24
	s_waitcnt vmcnt(0)
	v_and_b32_e32 v0, 0xffffff, v6
	s_waitcnt_vscnt null, 0x0
	global_store_b64 v[2:3], v[6:7], off
	v_readfirstlane_b32 m0, v0
	s_sendmsg sendmsg(MSG_INTERRUPT)
.LBB103_103:                            ;   in Loop: Header=BB103_31 Depth=1
	s_or_b32 exec_lo, exec_lo, s1
	v_add_co_u32 v0, vcc_lo, v24, v32
	v_add_co_ci_u32_e32 v1, vcc_lo, 0, v25, vcc_lo
	s_branch .LBB103_107
	.p2align	6
.LBB103_104:                            ;   in Loop: Header=BB103_107 Depth=2
	s_or_b32 exec_lo, exec_lo, s1
	s_delay_alu instid0(VALU_DEP_1) | instskip(NEXT) | instid1(VALU_DEP_1)
	v_readfirstlane_b32 s1, v2
	s_cmp_eq_u32 s1, 0
	s_cbranch_scc1 .LBB103_106
; %bb.105:                              ;   in Loop: Header=BB103_107 Depth=2
	s_sleep 1
	s_cbranch_execnz .LBB103_107
	s_branch .LBB103_109
	.p2align	6
.LBB103_106:                            ;   in Loop: Header=BB103_31 Depth=1
	s_branch .LBB103_109
.LBB103_107:                            ;   Parent Loop BB103_31 Depth=1
                                        ; =>  This Inner Loop Header: Depth=2
	v_mov_b32_e32 v2, 1
	s_and_saveexec_b32 s1, s0
	s_cbranch_execz .LBB103_104
; %bb.108:                              ;   in Loop: Header=BB103_107 Depth=2
	global_load_b32 v2, v[30:31], off offset:20 glc
	s_waitcnt vmcnt(0)
	buffer_gl1_inv
	buffer_gl0_inv
	v_and_b32_e32 v2, 1, v2
	s_branch .LBB103_104
.LBB103_109:                            ;   in Loop: Header=BB103_31 Depth=1
	global_load_b128 v[0:3], v[0:1], off
	s_and_saveexec_b32 s1, s0
	s_cbranch_execz .LBB103_30
; %bb.110:                              ;   in Loop: Header=BB103_31 Depth=1
	s_clause 0x2
	global_load_b64 v[2:3], v7, s[2:3] offset:40
	global_load_b64 v[14:15], v7, s[2:3] offset:24 glc
	global_load_b64 v[12:13], v7, s[2:3]
	s_waitcnt vmcnt(2)
	v_add_co_u32 v6, vcc_lo, v2, 1
	v_add_co_ci_u32_e32 v16, vcc_lo, 0, v3, vcc_lo
	s_delay_alu instid0(VALU_DEP_2) | instskip(NEXT) | instid1(VALU_DEP_2)
	v_add_co_u32 v10, vcc_lo, v6, s4
	v_add_co_ci_u32_e32 v11, vcc_lo, s5, v16, vcc_lo
	s_delay_alu instid0(VALU_DEP_1) | instskip(SKIP_1) | instid1(VALU_DEP_1)
	v_cmp_eq_u64_e32 vcc_lo, 0, v[10:11]
	v_dual_cndmask_b32 v11, v11, v16 :: v_dual_cndmask_b32 v10, v10, v6
	v_and_b32_e32 v3, v11, v3
	s_delay_alu instid0(VALU_DEP_2) | instskip(NEXT) | instid1(VALU_DEP_1)
	v_and_b32_e32 v2, v10, v2
	v_mul_hi_u32 v6, v2, 24
	v_mul_lo_u32 v2, v2, 24
	s_waitcnt vmcnt(0)
	s_delay_alu instid0(VALU_DEP_1) | instskip(SKIP_2) | instid1(VALU_DEP_1)
	v_add_co_u32 v2, vcc_lo, v12, v2
	v_mov_b32_e32 v12, v14
	v_mul_lo_u32 v3, v3, 24
	v_add_nc_u32_e32 v3, v6, v3
	s_delay_alu instid0(VALU_DEP_1)
	v_add_co_ci_u32_e32 v3, vcc_lo, v13, v3, vcc_lo
	v_mov_b32_e32 v13, v15
	global_store_b64 v[2:3], v[14:15], off
	s_waitcnt_vscnt null, 0x0
	global_atomic_cmpswap_b64 v[12:13], v7, v[10:13], s[2:3] offset:24 glc
	s_waitcnt vmcnt(0)
	v_cmp_ne_u64_e32 vcc_lo, v[12:13], v[14:15]
	s_and_b32 exec_lo, exec_lo, vcc_lo
	s_cbranch_execz .LBB103_30
; %bb.111:                              ;   in Loop: Header=BB103_31 Depth=1
	s_mov_b32 s0, 0
.LBB103_112:                            ;   Parent Loop BB103_31 Depth=1
                                        ; =>  This Inner Loop Header: Depth=2
	s_sleep 1
	global_store_b64 v[2:3], v[12:13], off
	s_waitcnt_vscnt null, 0x0
	global_atomic_cmpswap_b64 v[14:15], v7, v[10:13], s[2:3] offset:24 glc
	s_waitcnt vmcnt(0)
	v_cmp_eq_u64_e32 vcc_lo, v[14:15], v[12:13]
	v_dual_mov_b32 v12, v14 :: v_dual_mov_b32 v13, v15
	s_or_b32 s0, vcc_lo, s0
	s_delay_alu instid0(SALU_CYCLE_1)
	s_and_not1_b32 exec_lo, exec_lo, s0
	s_cbranch_execnz .LBB103_112
	s_branch .LBB103_30
.LBB103_113:
                                        ; implicit-def: $vgpr0_vgpr1
	s_cbranch_execnz .LBB103_115
	s_branch .LBB103_142
.LBB103_114:
	s_or_b32 exec_lo, exec_lo, s10
	s_branch .LBB103_142
.LBB103_115:
	v_readfirstlane_b32 s0, v33
	v_mov_b32_e32 v7, 0
	v_mov_b32_e32 v8, 0
	s_delay_alu instid0(VALU_DEP_3) | instskip(NEXT) | instid1(VALU_DEP_1)
	v_cmp_eq_u32_e64 s0, s0, v33
	s_and_saveexec_b32 s1, s0
	s_cbranch_execz .LBB103_121
; %bb.116:
	s_waitcnt vmcnt(0)
	v_mov_b32_e32 v0, 0
	s_mov_b32 s4, exec_lo
	global_load_b64 v[9:10], v0, s[2:3] offset:24 glc
	s_waitcnt vmcnt(0)
	buffer_gl1_inv
	buffer_gl0_inv
	s_clause 0x1
	global_load_b64 v[1:2], v0, s[2:3] offset:40
	global_load_b64 v[6:7], v0, s[2:3]
	s_waitcnt vmcnt(1)
	v_and_b32_e32 v1, v1, v9
	v_and_b32_e32 v2, v2, v10
	s_delay_alu instid0(VALU_DEP_2) | instskip(NEXT) | instid1(VALU_DEP_2)
	v_mul_hi_u32 v3, v1, 24
	v_mul_lo_u32 v2, v2, 24
	v_mul_lo_u32 v1, v1, 24
	s_delay_alu instid0(VALU_DEP_2) | instskip(SKIP_1) | instid1(VALU_DEP_2)
	v_add_nc_u32_e32 v2, v3, v2
	s_waitcnt vmcnt(0)
	v_add_co_u32 v1, vcc_lo, v6, v1
	s_delay_alu instid0(VALU_DEP_2)
	v_add_co_ci_u32_e32 v2, vcc_lo, v7, v2, vcc_lo
	global_load_b64 v[7:8], v[1:2], off glc
	s_waitcnt vmcnt(0)
	global_atomic_cmpswap_b64 v[7:8], v0, v[7:10], s[2:3] offset:24 glc
	s_waitcnt vmcnt(0)
	buffer_gl1_inv
	buffer_gl0_inv
	v_cmpx_ne_u64_e64 v[7:8], v[9:10]
	s_cbranch_execz .LBB103_120
; %bb.117:
	s_mov_b32 s5, 0
	.p2align	6
.LBB103_118:                            ; =>This Inner Loop Header: Depth=1
	s_sleep 1
	s_clause 0x1
	global_load_b64 v[1:2], v0, s[2:3] offset:40
	global_load_b64 v[11:12], v0, s[2:3]
	v_dual_mov_b32 v10, v8 :: v_dual_mov_b32 v9, v7
	s_waitcnt vmcnt(1)
	s_delay_alu instid0(VALU_DEP_1) | instskip(SKIP_1) | instid1(VALU_DEP_1)
	v_and_b32_e32 v1, v1, v9
	s_waitcnt vmcnt(0)
	v_mad_u64_u32 v[6:7], null, v1, 24, v[11:12]
	s_delay_alu instid0(VALU_DEP_1) | instskip(NEXT) | instid1(VALU_DEP_1)
	v_dual_mov_b32 v1, v7 :: v_dual_and_b32 v8, v2, v10
	v_mad_u64_u32 v[2:3], null, v8, 24, v[1:2]
	s_delay_alu instid0(VALU_DEP_1)
	v_mov_b32_e32 v7, v2
	global_load_b64 v[7:8], v[6:7], off glc
	s_waitcnt vmcnt(0)
	global_atomic_cmpswap_b64 v[7:8], v0, v[7:10], s[2:3] offset:24 glc
	s_waitcnt vmcnt(0)
	buffer_gl1_inv
	buffer_gl0_inv
	v_cmp_eq_u64_e32 vcc_lo, v[7:8], v[9:10]
	s_or_b32 s5, vcc_lo, s5
	s_delay_alu instid0(SALU_CYCLE_1)
	s_and_not1_b32 exec_lo, exec_lo, s5
	s_cbranch_execnz .LBB103_118
; %bb.119:
	s_or_b32 exec_lo, exec_lo, s5
.LBB103_120:
	s_delay_alu instid0(SALU_CYCLE_1)
	s_or_b32 exec_lo, exec_lo, s4
.LBB103_121:
	s_delay_alu instid0(SALU_CYCLE_1)
	s_or_b32 exec_lo, exec_lo, s1
	v_mov_b32_e32 v6, 0
	v_readfirstlane_b32 s4, v7
	v_readfirstlane_b32 s5, v8
	s_mov_b32 s1, exec_lo
	s_clause 0x1
	global_load_b64 v[9:10], v6, s[2:3] offset:40
	global_load_b128 v[0:3], v6, s[2:3]
	s_waitcnt vmcnt(1)
	v_readfirstlane_b32 s6, v9
	v_readfirstlane_b32 s7, v10
	s_delay_alu instid0(VALU_DEP_1) | instskip(NEXT) | instid1(SALU_CYCLE_1)
	s_and_b64 s[6:7], s[4:5], s[6:7]
	s_mul_i32 s10, s7, 24
	s_mul_hi_u32 s11, s6, 24
	s_mul_i32 s12, s6, 24
	s_add_i32 s11, s11, s10
	s_waitcnt vmcnt(0)
	v_add_co_u32 v8, vcc_lo, v0, s12
	v_add_co_ci_u32_e32 v9, vcc_lo, s11, v1, vcc_lo
	s_and_saveexec_b32 s10, s0
	s_cbranch_execz .LBB103_123
; %bb.122:
	v_dual_mov_b32 v10, s1 :: v_dual_mov_b32 v11, v6
	v_dual_mov_b32 v12, 2 :: v_dual_mov_b32 v13, 1
	global_store_b128 v[8:9], v[10:13], off offset:8
.LBB103_123:
	s_or_b32 exec_lo, exec_lo, s10
	s_lshl_b64 s[6:7], s[6:7], 12
	s_mov_b32 s12, 0
	v_add_co_u32 v2, vcc_lo, v2, s6
	v_add_co_ci_u32_e32 v3, vcc_lo, s7, v3, vcc_lo
	s_mov_b32 s13, s12
	s_delay_alu instid0(VALU_DEP_2)
	v_add_co_u32 v10, vcc_lo, v2, v32
	s_mov_b32 s14, s12
	s_mov_b32 s15, s12
	v_and_or_b32 v4, 0xffffff1f, v4, 32
	v_dual_mov_b32 v7, v6 :: v_dual_mov_b32 v12, s12
	v_readfirstlane_b32 s6, v2
	v_readfirstlane_b32 s7, v3
	v_add_co_ci_u32_e32 v11, vcc_lo, 0, v3, vcc_lo
	v_dual_mov_b32 v13, s13 :: v_dual_mov_b32 v14, s14
	v_mov_b32_e32 v15, s15
	s_clause 0x3
	global_store_b128 v32, v[4:7], s[6:7]
	global_store_b128 v32, v[12:15], s[6:7] offset:16
	global_store_b128 v32, v[12:15], s[6:7] offset:32
	;; [unrolled: 1-line block ×3, first 2 shown]
	s_and_saveexec_b32 s1, s0
	s_cbranch_execz .LBB103_131
; %bb.124:
	v_dual_mov_b32 v6, 0 :: v_dual_mov_b32 v13, s5
	v_mov_b32_e32 v12, s4
	s_clause 0x1
	global_load_b64 v[14:15], v6, s[2:3] offset:32 glc
	global_load_b64 v[2:3], v6, s[2:3] offset:40
	s_waitcnt vmcnt(0)
	v_readfirstlane_b32 s6, v2
	v_readfirstlane_b32 s7, v3
	s_delay_alu instid0(VALU_DEP_1) | instskip(NEXT) | instid1(SALU_CYCLE_1)
	s_and_b64 s[6:7], s[6:7], s[4:5]
	s_mul_i32 s7, s7, 24
	s_mul_hi_u32 s10, s6, 24
	s_mul_i32 s6, s6, 24
	s_add_i32 s10, s10, s7
	v_add_co_u32 v4, vcc_lo, v0, s6
	v_add_co_ci_u32_e32 v5, vcc_lo, s10, v1, vcc_lo
	s_mov_b32 s6, exec_lo
	global_store_b64 v[4:5], v[14:15], off
	s_waitcnt_vscnt null, 0x0
	global_atomic_cmpswap_b64 v[2:3], v6, v[12:15], s[2:3] offset:32 glc
	s_waitcnt vmcnt(0)
	v_cmpx_ne_u64_e64 v[2:3], v[14:15]
	s_cbranch_execz .LBB103_127
; %bb.125:
	s_mov_b32 s7, 0
.LBB103_126:                            ; =>This Inner Loop Header: Depth=1
	v_dual_mov_b32 v0, s4 :: v_dual_mov_b32 v1, s5
	s_sleep 1
	global_store_b64 v[4:5], v[2:3], off
	s_waitcnt_vscnt null, 0x0
	global_atomic_cmpswap_b64 v[0:1], v6, v[0:3], s[2:3] offset:32 glc
	s_waitcnt vmcnt(0)
	v_cmp_eq_u64_e32 vcc_lo, v[0:1], v[2:3]
	v_dual_mov_b32 v3, v1 :: v_dual_mov_b32 v2, v0
	s_or_b32 s7, vcc_lo, s7
	s_delay_alu instid0(SALU_CYCLE_1)
	s_and_not1_b32 exec_lo, exec_lo, s7
	s_cbranch_execnz .LBB103_126
.LBB103_127:
	s_or_b32 exec_lo, exec_lo, s6
	v_mov_b32_e32 v3, 0
	s_mov_b32 s7, exec_lo
	s_mov_b32 s6, exec_lo
	v_mbcnt_lo_u32_b32 v2, s7, 0
	global_load_b64 v[0:1], v3, s[2:3] offset:16
	v_cmpx_eq_u32_e32 0, v2
	s_cbranch_execz .LBB103_129
; %bb.128:
	s_bcnt1_i32_b32 s7, s7
	s_delay_alu instid0(SALU_CYCLE_1)
	v_mov_b32_e32 v2, s7
	s_waitcnt vmcnt(0)
	global_atomic_add_u64 v[0:1], v[2:3], off offset:8
.LBB103_129:
	s_or_b32 exec_lo, exec_lo, s6
	s_waitcnt vmcnt(0)
	global_load_b64 v[2:3], v[0:1], off offset:16
	s_waitcnt vmcnt(0)
	v_cmp_eq_u64_e32 vcc_lo, 0, v[2:3]
	s_cbranch_vccnz .LBB103_131
; %bb.130:
	global_load_b32 v0, v[0:1], off offset:24
	s_waitcnt vmcnt(0)
	v_dual_mov_b32 v1, 0 :: v_dual_and_b32 v4, 0xffffff, v0
	s_waitcnt_vscnt null, 0x0
	global_store_b64 v[2:3], v[0:1], off
	v_readfirstlane_b32 m0, v4
	s_sendmsg sendmsg(MSG_INTERRUPT)
.LBB103_131:
	s_or_b32 exec_lo, exec_lo, s1
	s_branch .LBB103_135
	.p2align	6
.LBB103_132:                            ;   in Loop: Header=BB103_135 Depth=1
	s_or_b32 exec_lo, exec_lo, s1
	s_delay_alu instid0(VALU_DEP_1) | instskip(NEXT) | instid1(VALU_DEP_1)
	v_readfirstlane_b32 s1, v0
	s_cmp_eq_u32 s1, 0
	s_cbranch_scc1 .LBB103_134
; %bb.133:                              ;   in Loop: Header=BB103_135 Depth=1
	s_sleep 1
	s_cbranch_execnz .LBB103_135
	s_branch .LBB103_137
	.p2align	6
.LBB103_134:
	s_branch .LBB103_137
.LBB103_135:                            ; =>This Inner Loop Header: Depth=1
	v_mov_b32_e32 v0, 1
	s_and_saveexec_b32 s1, s0
	s_cbranch_execz .LBB103_132
; %bb.136:                              ;   in Loop: Header=BB103_135 Depth=1
	global_load_b32 v0, v[8:9], off offset:20 glc
	s_waitcnt vmcnt(0)
	buffer_gl1_inv
	buffer_gl0_inv
	v_and_b32_e32 v0, 1, v0
	s_branch .LBB103_132
.LBB103_137:
	global_load_b64 v[0:1], v[10:11], off
	s_and_saveexec_b32 s1, s0
	s_cbranch_execz .LBB103_141
; %bb.138:
	v_mov_b32_e32 v8, 0
	s_clause 0x2
	global_load_b64 v[4:5], v8, s[2:3] offset:40
	global_load_b64 v[9:10], v8, s[2:3] offset:24 glc
	global_load_b64 v[6:7], v8, s[2:3]
	s_waitcnt vmcnt(2)
	v_add_co_u32 v11, vcc_lo, v4, 1
	v_add_co_ci_u32_e32 v12, vcc_lo, 0, v5, vcc_lo
	s_delay_alu instid0(VALU_DEP_2) | instskip(NEXT) | instid1(VALU_DEP_2)
	v_add_co_u32 v2, vcc_lo, v11, s4
	v_add_co_ci_u32_e32 v3, vcc_lo, s5, v12, vcc_lo
	s_delay_alu instid0(VALU_DEP_1) | instskip(SKIP_1) | instid1(VALU_DEP_1)
	v_cmp_eq_u64_e32 vcc_lo, 0, v[2:3]
	v_dual_cndmask_b32 v3, v3, v12 :: v_dual_cndmask_b32 v2, v2, v11
	v_and_b32_e32 v5, v3, v5
	s_delay_alu instid0(VALU_DEP_2) | instskip(NEXT) | instid1(VALU_DEP_2)
	v_and_b32_e32 v4, v2, v4
	v_mul_lo_u32 v5, v5, 24
	s_delay_alu instid0(VALU_DEP_2) | instskip(SKIP_1) | instid1(VALU_DEP_2)
	v_mul_hi_u32 v11, v4, 24
	v_mul_lo_u32 v4, v4, 24
	v_add_nc_u32_e32 v5, v11, v5
	s_waitcnt vmcnt(0)
	s_delay_alu instid0(VALU_DEP_2) | instskip(SKIP_1) | instid1(VALU_DEP_3)
	v_add_co_u32 v6, vcc_lo, v6, v4
	v_mov_b32_e32 v4, v9
	v_add_co_ci_u32_e32 v7, vcc_lo, v7, v5, vcc_lo
	v_mov_b32_e32 v5, v10
	global_store_b64 v[6:7], v[9:10], off
	s_waitcnt_vscnt null, 0x0
	global_atomic_cmpswap_b64 v[4:5], v8, v[2:5], s[2:3] offset:24 glc
	s_waitcnt vmcnt(0)
	v_cmp_ne_u64_e32 vcc_lo, v[4:5], v[9:10]
	s_and_b32 exec_lo, exec_lo, vcc_lo
	s_cbranch_execz .LBB103_141
; %bb.139:
	s_mov_b32 s0, 0
.LBB103_140:                            ; =>This Inner Loop Header: Depth=1
	s_sleep 1
	global_store_b64 v[6:7], v[4:5], off
	s_waitcnt_vscnt null, 0x0
	global_atomic_cmpswap_b64 v[9:10], v8, v[2:5], s[2:3] offset:24 glc
	s_waitcnt vmcnt(0)
	v_cmp_eq_u64_e32 vcc_lo, v[9:10], v[4:5]
	v_dual_mov_b32 v4, v9 :: v_dual_mov_b32 v5, v10
	s_or_b32 s0, vcc_lo, s0
	s_delay_alu instid0(SALU_CYCLE_1)
	s_and_not1_b32 exec_lo, exec_lo, s0
	s_cbranch_execnz .LBB103_140
.LBB103_141:
	s_or_b32 exec_lo, exec_lo, s1
.LBB103_142:
	s_getpc_b64 s[4:5]
	s_add_u32 s4, s4, .str.2@rel32@lo+4
	s_addc_u32 s5, s5, .str.2@rel32@hi+12
	s_delay_alu instid0(SALU_CYCLE_1)
	s_cmp_lg_u64 s[4:5], 0
	s_cbranch_scc0 .LBB103_220
; %bb.143:
	s_getpc_b64 s[0:1]
	s_add_u32 s0, s0, .str.2@rel32@lo+85
	s_addc_u32 s1, s1, .str.2@rel32@hi+93
	s_waitcnt vmcnt(0)
	v_dual_mov_b32 v6, 0 :: v_dual_and_b32 v31, 2, v0
	v_dual_mov_b32 v3, v1 :: v_dual_and_b32 v2, -3, v0
	v_dual_mov_b32 v7, 2 :: v_dual_mov_b32 v8, 1
	s_sub_i32 s6, s0, s4
	s_delay_alu instid0(SALU_CYCLE_1)
	s_ashr_i32 s7, s6, 31
	s_branch .LBB103_145
.LBB103_144:                            ;   in Loop: Header=BB103_145 Depth=1
	s_or_b32 exec_lo, exec_lo, s1
	s_sub_u32 s6, s6, s10
	s_subb_u32 s7, s7, s11
	s_add_u32 s4, s4, s10
	s_addc_u32 s5, s5, s11
	s_cmp_lg_u64 s[6:7], 0
	s_cbranch_scc0 .LBB103_221
.LBB103_145:                            ; =>This Loop Header: Depth=1
                                        ;     Child Loop BB103_154 Depth 2
                                        ;     Child Loop BB103_150 Depth 2
	;; [unrolled: 1-line block ×11, first 2 shown]
	v_cmp_lt_u64_e64 s0, s[6:7], 56
	v_cmp_gt_u64_e64 s1, s[6:7], 7
                                        ; implicit-def: $vgpr11_vgpr12
                                        ; implicit-def: $sgpr16
	s_delay_alu instid0(VALU_DEP_2) | instskip(SKIP_2) | instid1(VALU_DEP_1)
	s_and_b32 s0, s0, exec_lo
	s_cselect_b32 s11, s7, 0
	s_cselect_b32 s10, s6, 56
	s_and_b32 vcc_lo, exec_lo, s1
	s_mov_b32 s0, -1
	s_cbranch_vccz .LBB103_152
; %bb.146:                              ;   in Loop: Header=BB103_145 Depth=1
	s_and_not1_b32 vcc_lo, exec_lo, s0
	s_mov_b64 s[0:1], s[4:5]
	s_cbranch_vccz .LBB103_156
.LBB103_147:                            ;   in Loop: Header=BB103_145 Depth=1
	s_cmp_gt_u32 s16, 7
	s_cbranch_scc1 .LBB103_157
.LBB103_148:                            ;   in Loop: Header=BB103_145 Depth=1
	v_mov_b32_e32 v13, 0
	v_mov_b32_e32 v14, 0
	s_cmp_eq_u32 s16, 0
	s_cbranch_scc1 .LBB103_151
; %bb.149:                              ;   in Loop: Header=BB103_145 Depth=1
	s_mov_b64 s[12:13], 0
	s_mov_b64 s[14:15], 0
.LBB103_150:                            ;   Parent Loop BB103_145 Depth=1
                                        ; =>  This Inner Loop Header: Depth=2
	s_delay_alu instid0(SALU_CYCLE_1)
	s_add_u32 s18, s0, s14
	s_addc_u32 s19, s1, s15
	s_add_u32 s14, s14, 1
	global_load_u8 v4, v6, s[18:19]
	s_addc_u32 s15, s15, 0
	s_waitcnt vmcnt(0)
	v_and_b32_e32 v5, 0xffff, v4
	s_delay_alu instid0(VALU_DEP_1) | instskip(SKIP_3) | instid1(VALU_DEP_1)
	v_lshlrev_b64 v[4:5], s12, v[5:6]
	s_add_u32 s12, s12, 8
	s_addc_u32 s13, s13, 0
	s_cmp_lg_u32 s16, s14
	v_or_b32_e32 v13, v4, v13
	s_delay_alu instid0(VALU_DEP_2)
	v_or_b32_e32 v14, v5, v14
	s_cbranch_scc1 .LBB103_150
.LBB103_151:                            ;   in Loop: Header=BB103_145 Depth=1
	s_mov_b32 s17, 0
	s_cbranch_execz .LBB103_158
	s_branch .LBB103_159
.LBB103_152:                            ;   in Loop: Header=BB103_145 Depth=1
	v_mov_b32_e32 v11, 0
	v_mov_b32_e32 v12, 0
	s_cmp_eq_u64 s[6:7], 0
	s_mov_b64 s[0:1], 0
	s_cbranch_scc1 .LBB103_155
; %bb.153:                              ;   in Loop: Header=BB103_145 Depth=1
	v_mov_b32_e32 v11, 0
	v_mov_b32_e32 v12, 0
	s_lshl_b64 s[12:13], s[10:11], 3
	s_mov_b64 s[14:15], s[4:5]
.LBB103_154:                            ;   Parent Loop BB103_145 Depth=1
                                        ; =>  This Inner Loop Header: Depth=2
	global_load_u8 v4, v6, s[14:15]
	s_waitcnt vmcnt(0)
	v_and_b32_e32 v5, 0xffff, v4
	s_delay_alu instid0(VALU_DEP_1)
	v_lshlrev_b64 v[4:5], s0, v[5:6]
	s_add_u32 s0, s0, 8
	s_addc_u32 s1, s1, 0
	s_add_u32 s14, s14, 1
	s_addc_u32 s15, s15, 0
	s_cmp_lg_u32 s12, s0
	v_or_b32_e32 v11, v4, v11
	v_or_b32_e32 v12, v5, v12
	s_cbranch_scc1 .LBB103_154
.LBB103_155:                            ;   in Loop: Header=BB103_145 Depth=1
	s_mov_b32 s16, 0
	s_mov_b64 s[0:1], s[4:5]
	s_cbranch_execnz .LBB103_147
.LBB103_156:                            ;   in Loop: Header=BB103_145 Depth=1
	global_load_b64 v[11:12], v6, s[4:5]
	s_add_i32 s16, s10, -8
	s_add_u32 s0, s4, 8
	s_addc_u32 s1, s5, 0
	s_cmp_gt_u32 s16, 7
	s_cbranch_scc0 .LBB103_148
.LBB103_157:                            ;   in Loop: Header=BB103_145 Depth=1
                                        ; implicit-def: $vgpr13_vgpr14
                                        ; implicit-def: $sgpr17
.LBB103_158:                            ;   in Loop: Header=BB103_145 Depth=1
	global_load_b64 v[13:14], v6, s[0:1]
	s_add_i32 s17, s16, -8
	s_add_u32 s0, s0, 8
	s_addc_u32 s1, s1, 0
.LBB103_159:                            ;   in Loop: Header=BB103_145 Depth=1
	s_cmp_gt_u32 s17, 7
	s_cbranch_scc1 .LBB103_164
; %bb.160:                              ;   in Loop: Header=BB103_145 Depth=1
	v_mov_b32_e32 v15, 0
	v_mov_b32_e32 v16, 0
	s_cmp_eq_u32 s17, 0
	s_cbranch_scc1 .LBB103_163
; %bb.161:                              ;   in Loop: Header=BB103_145 Depth=1
	s_mov_b64 s[12:13], 0
	s_mov_b64 s[14:15], 0
.LBB103_162:                            ;   Parent Loop BB103_145 Depth=1
                                        ; =>  This Inner Loop Header: Depth=2
	s_delay_alu instid0(SALU_CYCLE_1)
	s_add_u32 s18, s0, s14
	s_addc_u32 s19, s1, s15
	s_add_u32 s14, s14, 1
	global_load_u8 v4, v6, s[18:19]
	s_addc_u32 s15, s15, 0
	s_waitcnt vmcnt(0)
	v_and_b32_e32 v5, 0xffff, v4
	s_delay_alu instid0(VALU_DEP_1) | instskip(SKIP_3) | instid1(VALU_DEP_1)
	v_lshlrev_b64 v[4:5], s12, v[5:6]
	s_add_u32 s12, s12, 8
	s_addc_u32 s13, s13, 0
	s_cmp_lg_u32 s17, s14
	v_or_b32_e32 v15, v4, v15
	s_delay_alu instid0(VALU_DEP_2)
	v_or_b32_e32 v16, v5, v16
	s_cbranch_scc1 .LBB103_162
.LBB103_163:                            ;   in Loop: Header=BB103_145 Depth=1
	s_mov_b32 s16, 0
	s_cbranch_execz .LBB103_165
	s_branch .LBB103_166
.LBB103_164:                            ;   in Loop: Header=BB103_145 Depth=1
                                        ; implicit-def: $sgpr16
.LBB103_165:                            ;   in Loop: Header=BB103_145 Depth=1
	global_load_b64 v[15:16], v6, s[0:1]
	s_add_i32 s16, s17, -8
	s_add_u32 s0, s0, 8
	s_addc_u32 s1, s1, 0
.LBB103_166:                            ;   in Loop: Header=BB103_145 Depth=1
	s_cmp_gt_u32 s16, 7
	s_cbranch_scc1 .LBB103_171
; %bb.167:                              ;   in Loop: Header=BB103_145 Depth=1
	v_mov_b32_e32 v17, 0
	v_mov_b32_e32 v18, 0
	s_cmp_eq_u32 s16, 0
	s_cbranch_scc1 .LBB103_170
; %bb.168:                              ;   in Loop: Header=BB103_145 Depth=1
	s_mov_b64 s[12:13], 0
	s_mov_b64 s[14:15], 0
.LBB103_169:                            ;   Parent Loop BB103_145 Depth=1
                                        ; =>  This Inner Loop Header: Depth=2
	s_delay_alu instid0(SALU_CYCLE_1)
	s_add_u32 s18, s0, s14
	s_addc_u32 s19, s1, s15
	s_add_u32 s14, s14, 1
	global_load_u8 v4, v6, s[18:19]
	s_addc_u32 s15, s15, 0
	s_waitcnt vmcnt(0)
	v_and_b32_e32 v5, 0xffff, v4
	s_delay_alu instid0(VALU_DEP_1) | instskip(SKIP_3) | instid1(VALU_DEP_1)
	v_lshlrev_b64 v[4:5], s12, v[5:6]
	s_add_u32 s12, s12, 8
	s_addc_u32 s13, s13, 0
	s_cmp_lg_u32 s16, s14
	v_or_b32_e32 v17, v4, v17
	s_delay_alu instid0(VALU_DEP_2)
	v_or_b32_e32 v18, v5, v18
	s_cbranch_scc1 .LBB103_169
.LBB103_170:                            ;   in Loop: Header=BB103_145 Depth=1
	s_mov_b32 s17, 0
	s_cbranch_execz .LBB103_172
	s_branch .LBB103_173
.LBB103_171:                            ;   in Loop: Header=BB103_145 Depth=1
                                        ; implicit-def: $vgpr17_vgpr18
                                        ; implicit-def: $sgpr17
.LBB103_172:                            ;   in Loop: Header=BB103_145 Depth=1
	global_load_b64 v[17:18], v6, s[0:1]
	s_add_i32 s17, s16, -8
	s_add_u32 s0, s0, 8
	s_addc_u32 s1, s1, 0
.LBB103_173:                            ;   in Loop: Header=BB103_145 Depth=1
	s_cmp_gt_u32 s17, 7
	s_cbranch_scc1 .LBB103_178
; %bb.174:                              ;   in Loop: Header=BB103_145 Depth=1
	v_mov_b32_e32 v19, 0
	v_mov_b32_e32 v20, 0
	s_cmp_eq_u32 s17, 0
	s_cbranch_scc1 .LBB103_177
; %bb.175:                              ;   in Loop: Header=BB103_145 Depth=1
	s_mov_b64 s[12:13], 0
	s_mov_b64 s[14:15], 0
.LBB103_176:                            ;   Parent Loop BB103_145 Depth=1
                                        ; =>  This Inner Loop Header: Depth=2
	s_delay_alu instid0(SALU_CYCLE_1)
	s_add_u32 s18, s0, s14
	s_addc_u32 s19, s1, s15
	s_add_u32 s14, s14, 1
	global_load_u8 v4, v6, s[18:19]
	s_addc_u32 s15, s15, 0
	s_waitcnt vmcnt(0)
	v_and_b32_e32 v5, 0xffff, v4
	s_delay_alu instid0(VALU_DEP_1) | instskip(SKIP_3) | instid1(VALU_DEP_1)
	v_lshlrev_b64 v[4:5], s12, v[5:6]
	s_add_u32 s12, s12, 8
	s_addc_u32 s13, s13, 0
	s_cmp_lg_u32 s17, s14
	v_or_b32_e32 v19, v4, v19
	s_delay_alu instid0(VALU_DEP_2)
	v_or_b32_e32 v20, v5, v20
	s_cbranch_scc1 .LBB103_176
.LBB103_177:                            ;   in Loop: Header=BB103_145 Depth=1
	s_mov_b32 s16, 0
	s_cbranch_execz .LBB103_179
	s_branch .LBB103_180
.LBB103_178:                            ;   in Loop: Header=BB103_145 Depth=1
                                        ; implicit-def: $sgpr16
.LBB103_179:                            ;   in Loop: Header=BB103_145 Depth=1
	global_load_b64 v[19:20], v6, s[0:1]
	s_add_i32 s16, s17, -8
	s_add_u32 s0, s0, 8
	s_addc_u32 s1, s1, 0
.LBB103_180:                            ;   in Loop: Header=BB103_145 Depth=1
	s_cmp_gt_u32 s16, 7
	s_cbranch_scc1 .LBB103_185
; %bb.181:                              ;   in Loop: Header=BB103_145 Depth=1
	v_mov_b32_e32 v21, 0
	v_mov_b32_e32 v22, 0
	s_cmp_eq_u32 s16, 0
	s_cbranch_scc1 .LBB103_184
; %bb.182:                              ;   in Loop: Header=BB103_145 Depth=1
	s_mov_b64 s[12:13], 0
	s_mov_b64 s[14:15], 0
.LBB103_183:                            ;   Parent Loop BB103_145 Depth=1
                                        ; =>  This Inner Loop Header: Depth=2
	s_delay_alu instid0(SALU_CYCLE_1)
	s_add_u32 s18, s0, s14
	s_addc_u32 s19, s1, s15
	s_add_u32 s14, s14, 1
	global_load_u8 v4, v6, s[18:19]
	s_addc_u32 s15, s15, 0
	s_waitcnt vmcnt(0)
	v_and_b32_e32 v5, 0xffff, v4
	s_delay_alu instid0(VALU_DEP_1) | instskip(SKIP_3) | instid1(VALU_DEP_1)
	v_lshlrev_b64 v[4:5], s12, v[5:6]
	s_add_u32 s12, s12, 8
	s_addc_u32 s13, s13, 0
	s_cmp_lg_u32 s16, s14
	v_or_b32_e32 v21, v4, v21
	s_delay_alu instid0(VALU_DEP_2)
	v_or_b32_e32 v22, v5, v22
	s_cbranch_scc1 .LBB103_183
.LBB103_184:                            ;   in Loop: Header=BB103_145 Depth=1
	s_mov_b32 s17, 0
	s_cbranch_execz .LBB103_186
	s_branch .LBB103_187
.LBB103_185:                            ;   in Loop: Header=BB103_145 Depth=1
                                        ; implicit-def: $vgpr21_vgpr22
                                        ; implicit-def: $sgpr17
.LBB103_186:                            ;   in Loop: Header=BB103_145 Depth=1
	global_load_b64 v[21:22], v6, s[0:1]
	s_add_i32 s17, s16, -8
	s_add_u32 s0, s0, 8
	s_addc_u32 s1, s1, 0
.LBB103_187:                            ;   in Loop: Header=BB103_145 Depth=1
	s_cmp_gt_u32 s17, 7
	s_cbranch_scc1 .LBB103_192
; %bb.188:                              ;   in Loop: Header=BB103_145 Depth=1
	v_mov_b32_e32 v23, 0
	v_mov_b32_e32 v24, 0
	s_cmp_eq_u32 s17, 0
	s_cbranch_scc1 .LBB103_191
; %bb.189:                              ;   in Loop: Header=BB103_145 Depth=1
	s_mov_b64 s[12:13], 0
	s_mov_b64 s[14:15], s[0:1]
.LBB103_190:                            ;   Parent Loop BB103_145 Depth=1
                                        ; =>  This Inner Loop Header: Depth=2
	global_load_u8 v4, v6, s[14:15]
	s_add_i32 s17, s17, -1
	s_waitcnt vmcnt(0)
	v_and_b32_e32 v5, 0xffff, v4
	s_delay_alu instid0(VALU_DEP_1)
	v_lshlrev_b64 v[4:5], s12, v[5:6]
	s_add_u32 s12, s12, 8
	s_addc_u32 s13, s13, 0
	s_add_u32 s14, s14, 1
	s_addc_u32 s15, s15, 0
	s_cmp_lg_u32 s17, 0
	v_or_b32_e32 v23, v4, v23
	v_or_b32_e32 v24, v5, v24
	s_cbranch_scc1 .LBB103_190
.LBB103_191:                            ;   in Loop: Header=BB103_145 Depth=1
	s_cbranch_execz .LBB103_193
	s_branch .LBB103_194
.LBB103_192:                            ;   in Loop: Header=BB103_145 Depth=1
.LBB103_193:                            ;   in Loop: Header=BB103_145 Depth=1
	global_load_b64 v[23:24], v6, s[0:1]
.LBB103_194:                            ;   in Loop: Header=BB103_145 Depth=1
	v_readfirstlane_b32 s0, v33
	s_waitcnt vmcnt(0)
	v_mov_b32_e32 v4, 0
	v_mov_b32_e32 v5, 0
	s_delay_alu instid0(VALU_DEP_3) | instskip(NEXT) | instid1(VALU_DEP_1)
	v_cmp_eq_u32_e64 s0, s0, v33
	s_and_saveexec_b32 s1, s0
	s_cbranch_execz .LBB103_200
; %bb.195:                              ;   in Loop: Header=BB103_145 Depth=1
	global_load_b64 v[27:28], v6, s[2:3] offset:24 glc
	s_waitcnt vmcnt(0)
	buffer_gl1_inv
	buffer_gl0_inv
	s_clause 0x1
	global_load_b64 v[4:5], v6, s[2:3] offset:40
	global_load_b64 v[9:10], v6, s[2:3]
	s_mov_b32 s12, exec_lo
	s_waitcnt vmcnt(1)
	v_and_b32_e32 v5, v5, v28
	v_and_b32_e32 v4, v4, v27
	s_delay_alu instid0(VALU_DEP_2) | instskip(NEXT) | instid1(VALU_DEP_2)
	v_mul_lo_u32 v5, v5, 24
	v_mul_hi_u32 v25, v4, 24
	v_mul_lo_u32 v4, v4, 24
	s_delay_alu instid0(VALU_DEP_2) | instskip(SKIP_1) | instid1(VALU_DEP_2)
	v_add_nc_u32_e32 v5, v25, v5
	s_waitcnt vmcnt(0)
	v_add_co_u32 v4, vcc_lo, v9, v4
	s_delay_alu instid0(VALU_DEP_2)
	v_add_co_ci_u32_e32 v5, vcc_lo, v10, v5, vcc_lo
	global_load_b64 v[25:26], v[4:5], off glc
	s_waitcnt vmcnt(0)
	global_atomic_cmpswap_b64 v[4:5], v6, v[25:28], s[2:3] offset:24 glc
	s_waitcnt vmcnt(0)
	buffer_gl1_inv
	buffer_gl0_inv
	v_cmpx_ne_u64_e64 v[4:5], v[27:28]
	s_cbranch_execz .LBB103_199
; %bb.196:                              ;   in Loop: Header=BB103_145 Depth=1
	s_mov_b32 s13, 0
	.p2align	6
.LBB103_197:                            ;   Parent Loop BB103_145 Depth=1
                                        ; =>  This Inner Loop Header: Depth=2
	s_sleep 1
	s_clause 0x1
	global_load_b64 v[9:10], v6, s[2:3] offset:40
	global_load_b64 v[25:26], v6, s[2:3]
	v_dual_mov_b32 v28, v5 :: v_dual_mov_b32 v27, v4
	s_waitcnt vmcnt(1)
	s_delay_alu instid0(VALU_DEP_1) | instskip(SKIP_1) | instid1(VALU_DEP_1)
	v_and_b32_e32 v9, v9, v27
	s_waitcnt vmcnt(0)
	v_mad_u64_u32 v[4:5], null, v9, 24, v[25:26]
	v_and_b32_e32 v25, v10, v28
	s_delay_alu instid0(VALU_DEP_1) | instskip(NEXT) | instid1(VALU_DEP_1)
	v_mad_u64_u32 v[9:10], null, v25, 24, v[5:6]
	v_mov_b32_e32 v5, v9
	global_load_b64 v[25:26], v[4:5], off glc
	s_waitcnt vmcnt(0)
	global_atomic_cmpswap_b64 v[4:5], v6, v[25:28], s[2:3] offset:24 glc
	s_waitcnt vmcnt(0)
	buffer_gl1_inv
	buffer_gl0_inv
	v_cmp_eq_u64_e32 vcc_lo, v[4:5], v[27:28]
	s_or_b32 s13, vcc_lo, s13
	s_delay_alu instid0(SALU_CYCLE_1)
	s_and_not1_b32 exec_lo, exec_lo, s13
	s_cbranch_execnz .LBB103_197
; %bb.198:                              ;   in Loop: Header=BB103_145 Depth=1
	s_or_b32 exec_lo, exec_lo, s13
.LBB103_199:                            ;   in Loop: Header=BB103_145 Depth=1
	s_delay_alu instid0(SALU_CYCLE_1)
	s_or_b32 exec_lo, exec_lo, s12
.LBB103_200:                            ;   in Loop: Header=BB103_145 Depth=1
	s_delay_alu instid0(SALU_CYCLE_1)
	s_or_b32 exec_lo, exec_lo, s1
	s_clause 0x1
	global_load_b64 v[9:10], v6, s[2:3] offset:40
	global_load_b128 v[25:28], v6, s[2:3]
	v_readfirstlane_b32 s12, v4
	v_readfirstlane_b32 s13, v5
	s_mov_b32 s1, exec_lo
	s_waitcnt vmcnt(1)
	v_readfirstlane_b32 s14, v9
	v_readfirstlane_b32 s15, v10
	s_delay_alu instid0(VALU_DEP_1) | instskip(NEXT) | instid1(SALU_CYCLE_1)
	s_and_b64 s[14:15], s[12:13], s[14:15]
	s_mul_i32 s16, s15, 24
	s_mul_hi_u32 s17, s14, 24
	s_mul_i32 s18, s14, 24
	s_add_i32 s17, s17, s16
	s_waitcnt vmcnt(0)
	v_add_co_u32 v29, vcc_lo, v25, s18
	v_add_co_ci_u32_e32 v30, vcc_lo, s17, v26, vcc_lo
	s_and_saveexec_b32 s16, s0
	s_cbranch_execz .LBB103_202
; %bb.201:                              ;   in Loop: Header=BB103_145 Depth=1
	v_mov_b32_e32 v5, s1
	global_store_b128 v[29:30], v[5:8], off offset:8
.LBB103_202:                            ;   in Loop: Header=BB103_145 Depth=1
	s_or_b32 exec_lo, exec_lo, s16
	s_lshl_b64 s[14:15], s[14:15], 12
	v_cmp_gt_u64_e64 vcc_lo, s[6:7], 56
	v_or_b32_e32 v5, v2, v31
	v_add_co_u32 v27, s1, v27, s14
	s_delay_alu instid0(VALU_DEP_1)
	v_add_co_ci_u32_e64 v28, s1, s15, v28, s1
	s_lshl_b32 s1, s10, 2
	v_or_b32_e32 v4, 0, v3
	v_cndmask_b32_e32 v2, v5, v2, vcc_lo
	s_add_i32 s1, s1, 28
	v_readfirstlane_b32 s14, v27
	s_and_b32 s1, s1, 0x1e0
	v_cndmask_b32_e32 v10, v4, v3, vcc_lo
	v_readfirstlane_b32 s15, v28
	v_and_or_b32 v9, 0xffffff1f, v2, s1
	s_clause 0x3
	global_store_b128 v32, v[9:12], s[14:15]
	global_store_b128 v32, v[13:16], s[14:15] offset:16
	global_store_b128 v32, v[17:20], s[14:15] offset:32
	;; [unrolled: 1-line block ×3, first 2 shown]
	s_and_saveexec_b32 s1, s0
	s_cbranch_execz .LBB103_210
; %bb.203:                              ;   in Loop: Header=BB103_145 Depth=1
	s_clause 0x1
	global_load_b64 v[13:14], v6, s[2:3] offset:32 glc
	global_load_b64 v[2:3], v6, s[2:3] offset:40
	v_dual_mov_b32 v11, s12 :: v_dual_mov_b32 v12, s13
	s_waitcnt vmcnt(0)
	v_readfirstlane_b32 s14, v2
	v_readfirstlane_b32 s15, v3
	s_delay_alu instid0(VALU_DEP_1) | instskip(NEXT) | instid1(SALU_CYCLE_1)
	s_and_b64 s[14:15], s[14:15], s[12:13]
	s_mul_i32 s15, s15, 24
	s_mul_hi_u32 s16, s14, 24
	s_mul_i32 s14, s14, 24
	s_add_i32 s16, s16, s15
	v_add_co_u32 v9, vcc_lo, v25, s14
	v_add_co_ci_u32_e32 v10, vcc_lo, s16, v26, vcc_lo
	s_mov_b32 s14, exec_lo
	global_store_b64 v[9:10], v[13:14], off
	s_waitcnt_vscnt null, 0x0
	global_atomic_cmpswap_b64 v[4:5], v6, v[11:14], s[2:3] offset:32 glc
	s_waitcnt vmcnt(0)
	v_cmpx_ne_u64_e64 v[4:5], v[13:14]
	s_cbranch_execz .LBB103_206
; %bb.204:                              ;   in Loop: Header=BB103_145 Depth=1
	s_mov_b32 s15, 0
.LBB103_205:                            ;   Parent Loop BB103_145 Depth=1
                                        ; =>  This Inner Loop Header: Depth=2
	v_dual_mov_b32 v2, s12 :: v_dual_mov_b32 v3, s13
	s_sleep 1
	global_store_b64 v[9:10], v[4:5], off
	s_waitcnt_vscnt null, 0x0
	global_atomic_cmpswap_b64 v[2:3], v6, v[2:5], s[2:3] offset:32 glc
	s_waitcnt vmcnt(0)
	v_cmp_eq_u64_e32 vcc_lo, v[2:3], v[4:5]
	v_dual_mov_b32 v5, v3 :: v_dual_mov_b32 v4, v2
	s_or_b32 s15, vcc_lo, s15
	s_delay_alu instid0(SALU_CYCLE_1)
	s_and_not1_b32 exec_lo, exec_lo, s15
	s_cbranch_execnz .LBB103_205
.LBB103_206:                            ;   in Loop: Header=BB103_145 Depth=1
	s_or_b32 exec_lo, exec_lo, s14
	global_load_b64 v[2:3], v6, s[2:3] offset:16
	s_mov_b32 s15, exec_lo
	s_mov_b32 s14, exec_lo
	v_mbcnt_lo_u32_b32 v4, s15, 0
	s_delay_alu instid0(VALU_DEP_1)
	v_cmpx_eq_u32_e32 0, v4
	s_cbranch_execz .LBB103_208
; %bb.207:                              ;   in Loop: Header=BB103_145 Depth=1
	s_bcnt1_i32_b32 s15, s15
	s_delay_alu instid0(SALU_CYCLE_1)
	v_mov_b32_e32 v5, s15
	s_waitcnt vmcnt(0)
	global_atomic_add_u64 v[2:3], v[5:6], off offset:8
.LBB103_208:                            ;   in Loop: Header=BB103_145 Depth=1
	s_or_b32 exec_lo, exec_lo, s14
	s_waitcnt vmcnt(0)
	global_load_b64 v[9:10], v[2:3], off offset:16
	s_waitcnt vmcnt(0)
	v_cmp_eq_u64_e32 vcc_lo, 0, v[9:10]
	s_cbranch_vccnz .LBB103_210
; %bb.209:                              ;   in Loop: Header=BB103_145 Depth=1
	global_load_b32 v5, v[2:3], off offset:24
	s_waitcnt vmcnt(0)
	v_and_b32_e32 v2, 0xffffff, v5
	s_waitcnt_vscnt null, 0x0
	global_store_b64 v[9:10], v[5:6], off
	v_readfirstlane_b32 m0, v2
	s_sendmsg sendmsg(MSG_INTERRUPT)
.LBB103_210:                            ;   in Loop: Header=BB103_145 Depth=1
	s_or_b32 exec_lo, exec_lo, s1
	v_add_co_u32 v2, vcc_lo, v27, v32
	v_add_co_ci_u32_e32 v3, vcc_lo, 0, v28, vcc_lo
	s_branch .LBB103_214
	.p2align	6
.LBB103_211:                            ;   in Loop: Header=BB103_214 Depth=2
	s_or_b32 exec_lo, exec_lo, s1
	s_delay_alu instid0(VALU_DEP_1) | instskip(NEXT) | instid1(VALU_DEP_1)
	v_readfirstlane_b32 s1, v4
	s_cmp_eq_u32 s1, 0
	s_cbranch_scc1 .LBB103_213
; %bb.212:                              ;   in Loop: Header=BB103_214 Depth=2
	s_sleep 1
	s_cbranch_execnz .LBB103_214
	s_branch .LBB103_216
	.p2align	6
.LBB103_213:                            ;   in Loop: Header=BB103_145 Depth=1
	s_branch .LBB103_216
.LBB103_214:                            ;   Parent Loop BB103_145 Depth=1
                                        ; =>  This Inner Loop Header: Depth=2
	v_mov_b32_e32 v4, 1
	s_and_saveexec_b32 s1, s0
	s_cbranch_execz .LBB103_211
; %bb.215:                              ;   in Loop: Header=BB103_214 Depth=2
	global_load_b32 v4, v[29:30], off offset:20 glc
	s_waitcnt vmcnt(0)
	buffer_gl1_inv
	buffer_gl0_inv
	v_and_b32_e32 v4, 1, v4
	s_branch .LBB103_211
.LBB103_216:                            ;   in Loop: Header=BB103_145 Depth=1
	global_load_b128 v[2:5], v[2:3], off
	s_and_saveexec_b32 s1, s0
	s_cbranch_execz .LBB103_144
; %bb.217:                              ;   in Loop: Header=BB103_145 Depth=1
	s_clause 0x2
	global_load_b64 v[4:5], v6, s[2:3] offset:40
	global_load_b64 v[13:14], v6, s[2:3] offset:24 glc
	global_load_b64 v[11:12], v6, s[2:3]
	s_waitcnt vmcnt(2)
	v_add_co_u32 v15, vcc_lo, v4, 1
	v_add_co_ci_u32_e32 v16, vcc_lo, 0, v5, vcc_lo
	s_delay_alu instid0(VALU_DEP_2) | instskip(NEXT) | instid1(VALU_DEP_2)
	v_add_co_u32 v9, vcc_lo, v15, s12
	v_add_co_ci_u32_e32 v10, vcc_lo, s13, v16, vcc_lo
	s_delay_alu instid0(VALU_DEP_1) | instskip(SKIP_1) | instid1(VALU_DEP_1)
	v_cmp_eq_u64_e32 vcc_lo, 0, v[9:10]
	v_dual_cndmask_b32 v10, v10, v16 :: v_dual_cndmask_b32 v9, v9, v15
	v_and_b32_e32 v5, v10, v5
	s_delay_alu instid0(VALU_DEP_2) | instskip(NEXT) | instid1(VALU_DEP_2)
	v_and_b32_e32 v4, v9, v4
	v_mul_lo_u32 v5, v5, 24
	s_delay_alu instid0(VALU_DEP_2) | instskip(SKIP_1) | instid1(VALU_DEP_2)
	v_mul_hi_u32 v15, v4, 24
	v_mul_lo_u32 v4, v4, 24
	v_add_nc_u32_e32 v5, v15, v5
	s_waitcnt vmcnt(0)
	s_delay_alu instid0(VALU_DEP_2) | instskip(SKIP_1) | instid1(VALU_DEP_3)
	v_add_co_u32 v4, vcc_lo, v11, v4
	v_mov_b32_e32 v11, v13
	v_add_co_ci_u32_e32 v5, vcc_lo, v12, v5, vcc_lo
	v_mov_b32_e32 v12, v14
	global_store_b64 v[4:5], v[13:14], off
	s_waitcnt_vscnt null, 0x0
	global_atomic_cmpswap_b64 v[11:12], v6, v[9:12], s[2:3] offset:24 glc
	s_waitcnt vmcnt(0)
	v_cmp_ne_u64_e32 vcc_lo, v[11:12], v[13:14]
	s_and_b32 exec_lo, exec_lo, vcc_lo
	s_cbranch_execz .LBB103_144
; %bb.218:                              ;   in Loop: Header=BB103_145 Depth=1
	s_mov_b32 s0, 0
.LBB103_219:                            ;   Parent Loop BB103_145 Depth=1
                                        ; =>  This Inner Loop Header: Depth=2
	s_sleep 1
	global_store_b64 v[4:5], v[11:12], off
	s_waitcnt_vscnt null, 0x0
	global_atomic_cmpswap_b64 v[13:14], v6, v[9:12], s[2:3] offset:24 glc
	s_waitcnt vmcnt(0)
	v_cmp_eq_u64_e32 vcc_lo, v[13:14], v[11:12]
	v_dual_mov_b32 v11, v13 :: v_dual_mov_b32 v12, v14
	s_or_b32 s0, vcc_lo, s0
	s_delay_alu instid0(SALU_CYCLE_1)
	s_and_not1_b32 exec_lo, exec_lo, s0
	s_cbranch_execnz .LBB103_219
	s_branch .LBB103_144
.LBB103_220:
                                        ; implicit-def: $vgpr2_vgpr3
	s_cbranch_execnz .LBB103_222
	s_branch .LBB103_249
.LBB103_221:
	s_branch .LBB103_249
.LBB103_222:
	v_readfirstlane_b32 s0, v33
	v_mov_b32_e32 v8, 0
	v_mov_b32_e32 v9, 0
	s_delay_alu instid0(VALU_DEP_3) | instskip(NEXT) | instid1(VALU_DEP_1)
	v_cmp_eq_u32_e64 s0, s0, v33
	s_and_saveexec_b32 s1, s0
	s_cbranch_execz .LBB103_228
; %bb.223:
	s_waitcnt vmcnt(0)
	v_mov_b32_e32 v2, 0
	s_mov_b32 s4, exec_lo
	global_load_b64 v[5:6], v2, s[2:3] offset:24 glc
	s_waitcnt vmcnt(0)
	buffer_gl1_inv
	buffer_gl0_inv
	s_clause 0x1
	global_load_b64 v[3:4], v2, s[2:3] offset:40
	global_load_b64 v[7:8], v2, s[2:3]
	s_waitcnt vmcnt(1)
	v_and_b32_e32 v3, v3, v5
	v_and_b32_e32 v4, v4, v6
	s_delay_alu instid0(VALU_DEP_2) | instskip(NEXT) | instid1(VALU_DEP_2)
	v_mul_hi_u32 v9, v3, 24
	v_mul_lo_u32 v4, v4, 24
	v_mul_lo_u32 v3, v3, 24
	s_delay_alu instid0(VALU_DEP_2) | instskip(SKIP_1) | instid1(VALU_DEP_2)
	v_add_nc_u32_e32 v4, v9, v4
	s_waitcnt vmcnt(0)
	v_add_co_u32 v3, vcc_lo, v7, v3
	s_delay_alu instid0(VALU_DEP_2)
	v_add_co_ci_u32_e32 v4, vcc_lo, v8, v4, vcc_lo
	global_load_b64 v[3:4], v[3:4], off glc
	s_waitcnt vmcnt(0)
	global_atomic_cmpswap_b64 v[8:9], v2, v[3:6], s[2:3] offset:24 glc
	s_waitcnt vmcnt(0)
	buffer_gl1_inv
	buffer_gl0_inv
	v_cmpx_ne_u64_e64 v[8:9], v[5:6]
	s_cbranch_execz .LBB103_227
; %bb.224:
	s_mov_b32 s5, 0
	.p2align	6
.LBB103_225:                            ; =>This Inner Loop Header: Depth=1
	s_sleep 1
	s_clause 0x1
	global_load_b64 v[3:4], v2, s[2:3] offset:40
	global_load_b64 v[10:11], v2, s[2:3]
	v_dual_mov_b32 v5, v8 :: v_dual_mov_b32 v6, v9
	s_waitcnt vmcnt(1)
	s_delay_alu instid0(VALU_DEP_1) | instskip(NEXT) | instid1(VALU_DEP_2)
	v_and_b32_e32 v3, v3, v5
	v_and_b32_e32 v4, v4, v6
	s_waitcnt vmcnt(0)
	s_delay_alu instid0(VALU_DEP_2) | instskip(NEXT) | instid1(VALU_DEP_1)
	v_mad_u64_u32 v[7:8], null, v3, 24, v[10:11]
	v_mov_b32_e32 v3, v8
	s_delay_alu instid0(VALU_DEP_1)
	v_mad_u64_u32 v[8:9], null, v4, 24, v[3:4]
	global_load_b64 v[3:4], v[7:8], off glc
	s_waitcnt vmcnt(0)
	global_atomic_cmpswap_b64 v[8:9], v2, v[3:6], s[2:3] offset:24 glc
	s_waitcnt vmcnt(0)
	buffer_gl1_inv
	buffer_gl0_inv
	v_cmp_eq_u64_e32 vcc_lo, v[8:9], v[5:6]
	s_or_b32 s5, vcc_lo, s5
	s_delay_alu instid0(SALU_CYCLE_1)
	s_and_not1_b32 exec_lo, exec_lo, s5
	s_cbranch_execnz .LBB103_225
; %bb.226:
	s_or_b32 exec_lo, exec_lo, s5
.LBB103_227:
	s_delay_alu instid0(SALU_CYCLE_1)
	s_or_b32 exec_lo, exec_lo, s4
.LBB103_228:
	s_delay_alu instid0(SALU_CYCLE_1)
	s_or_b32 exec_lo, exec_lo, s1
	s_waitcnt vmcnt(0)
	v_mov_b32_e32 v2, 0
	v_readfirstlane_b32 s4, v8
	v_readfirstlane_b32 s5, v9
	s_mov_b32 s1, exec_lo
	s_clause 0x1
	global_load_b64 v[10:11], v2, s[2:3] offset:40
	global_load_b128 v[4:7], v2, s[2:3]
	s_waitcnt vmcnt(1)
	v_readfirstlane_b32 s6, v10
	v_readfirstlane_b32 s7, v11
	s_delay_alu instid0(VALU_DEP_1) | instskip(NEXT) | instid1(SALU_CYCLE_1)
	s_and_b64 s[6:7], s[4:5], s[6:7]
	s_mul_i32 s10, s7, 24
	s_mul_hi_u32 s11, s6, 24
	s_mul_i32 s12, s6, 24
	s_add_i32 s11, s11, s10
	s_waitcnt vmcnt(0)
	v_add_co_u32 v8, vcc_lo, v4, s12
	v_add_co_ci_u32_e32 v9, vcc_lo, s11, v5, vcc_lo
	s_and_saveexec_b32 s10, s0
	s_cbranch_execz .LBB103_230
; %bb.229:
	v_dual_mov_b32 v10, s1 :: v_dual_mov_b32 v11, v2
	v_dual_mov_b32 v12, 2 :: v_dual_mov_b32 v13, 1
	global_store_b128 v[8:9], v[10:13], off offset:8
.LBB103_230:
	s_or_b32 exec_lo, exec_lo, s10
	s_lshl_b64 s[6:7], s[6:7], 12
	s_mov_b32 s12, 0
	v_add_co_u32 v6, vcc_lo, v6, s6
	v_add_co_ci_u32_e32 v7, vcc_lo, s7, v7, vcc_lo
	s_mov_b32 s13, s12
	s_delay_alu instid0(VALU_DEP_2)
	v_readfirstlane_b32 s6, v6
	v_add_co_u32 v6, vcc_lo, v6, v32
	s_mov_b32 s14, s12
	s_mov_b32 s15, s12
	v_and_or_b32 v0, 0xffffff1f, v0, 32
	v_dual_mov_b32 v3, v2 :: v_dual_mov_b32 v10, s12
	v_readfirstlane_b32 s7, v7
	v_add_co_ci_u32_e32 v7, vcc_lo, 0, v7, vcc_lo
	v_dual_mov_b32 v11, s13 :: v_dual_mov_b32 v12, s14
	v_mov_b32_e32 v13, s15
	s_clause 0x3
	global_store_b128 v32, v[0:3], s[6:7]
	global_store_b128 v32, v[10:13], s[6:7] offset:16
	global_store_b128 v32, v[10:13], s[6:7] offset:32
	;; [unrolled: 1-line block ×3, first 2 shown]
	s_and_saveexec_b32 s1, s0
	s_cbranch_execz .LBB103_238
; %bb.231:
	v_dual_mov_b32 v10, 0 :: v_dual_mov_b32 v11, s4
	v_mov_b32_e32 v12, s5
	s_clause 0x1
	global_load_b64 v[13:14], v10, s[2:3] offset:32 glc
	global_load_b64 v[0:1], v10, s[2:3] offset:40
	s_waitcnt vmcnt(0)
	v_readfirstlane_b32 s6, v0
	v_readfirstlane_b32 s7, v1
	s_delay_alu instid0(VALU_DEP_1) | instskip(NEXT) | instid1(SALU_CYCLE_1)
	s_and_b64 s[6:7], s[6:7], s[4:5]
	s_mul_i32 s7, s7, 24
	s_mul_hi_u32 s10, s6, 24
	s_mul_i32 s6, s6, 24
	s_add_i32 s10, s10, s7
	v_add_co_u32 v4, vcc_lo, v4, s6
	v_add_co_ci_u32_e32 v5, vcc_lo, s10, v5, vcc_lo
	s_mov_b32 s6, exec_lo
	global_store_b64 v[4:5], v[13:14], off
	s_waitcnt_vscnt null, 0x0
	global_atomic_cmpswap_b64 v[2:3], v10, v[11:14], s[2:3] offset:32 glc
	s_waitcnt vmcnt(0)
	v_cmpx_ne_u64_e64 v[2:3], v[13:14]
	s_cbranch_execz .LBB103_234
; %bb.232:
	s_mov_b32 s7, 0
.LBB103_233:                            ; =>This Inner Loop Header: Depth=1
	v_dual_mov_b32 v0, s4 :: v_dual_mov_b32 v1, s5
	s_sleep 1
	global_store_b64 v[4:5], v[2:3], off
	s_waitcnt_vscnt null, 0x0
	global_atomic_cmpswap_b64 v[0:1], v10, v[0:3], s[2:3] offset:32 glc
	s_waitcnt vmcnt(0)
	v_cmp_eq_u64_e32 vcc_lo, v[0:1], v[2:3]
	v_dual_mov_b32 v3, v1 :: v_dual_mov_b32 v2, v0
	s_or_b32 s7, vcc_lo, s7
	s_delay_alu instid0(SALU_CYCLE_1)
	s_and_not1_b32 exec_lo, exec_lo, s7
	s_cbranch_execnz .LBB103_233
.LBB103_234:
	s_or_b32 exec_lo, exec_lo, s6
	v_mov_b32_e32 v3, 0
	s_mov_b32 s7, exec_lo
	s_mov_b32 s6, exec_lo
	v_mbcnt_lo_u32_b32 v2, s7, 0
	global_load_b64 v[0:1], v3, s[2:3] offset:16
	v_cmpx_eq_u32_e32 0, v2
	s_cbranch_execz .LBB103_236
; %bb.235:
	s_bcnt1_i32_b32 s7, s7
	s_delay_alu instid0(SALU_CYCLE_1)
	v_mov_b32_e32 v2, s7
	s_waitcnt vmcnt(0)
	global_atomic_add_u64 v[0:1], v[2:3], off offset:8
.LBB103_236:
	s_or_b32 exec_lo, exec_lo, s6
	s_waitcnt vmcnt(0)
	global_load_b64 v[2:3], v[0:1], off offset:16
	s_waitcnt vmcnt(0)
	v_cmp_eq_u64_e32 vcc_lo, 0, v[2:3]
	s_cbranch_vccnz .LBB103_238
; %bb.237:
	global_load_b32 v0, v[0:1], off offset:24
	s_waitcnt vmcnt(0)
	v_dual_mov_b32 v1, 0 :: v_dual_and_b32 v4, 0xffffff, v0
	s_waitcnt_vscnt null, 0x0
	global_store_b64 v[2:3], v[0:1], off
	v_readfirstlane_b32 m0, v4
	s_sendmsg sendmsg(MSG_INTERRUPT)
.LBB103_238:
	s_or_b32 exec_lo, exec_lo, s1
	s_branch .LBB103_242
	.p2align	6
.LBB103_239:                            ;   in Loop: Header=BB103_242 Depth=1
	s_or_b32 exec_lo, exec_lo, s1
	s_delay_alu instid0(VALU_DEP_1) | instskip(NEXT) | instid1(VALU_DEP_1)
	v_readfirstlane_b32 s1, v0
	s_cmp_eq_u32 s1, 0
	s_cbranch_scc1 .LBB103_241
; %bb.240:                              ;   in Loop: Header=BB103_242 Depth=1
	s_sleep 1
	s_cbranch_execnz .LBB103_242
	s_branch .LBB103_244
	.p2align	6
.LBB103_241:
	s_branch .LBB103_244
.LBB103_242:                            ; =>This Inner Loop Header: Depth=1
	v_mov_b32_e32 v0, 1
	s_and_saveexec_b32 s1, s0
	s_cbranch_execz .LBB103_239
; %bb.243:                              ;   in Loop: Header=BB103_242 Depth=1
	global_load_b32 v0, v[8:9], off offset:20 glc
	s_waitcnt vmcnt(0)
	buffer_gl1_inv
	buffer_gl0_inv
	v_and_b32_e32 v0, 1, v0
	s_branch .LBB103_239
.LBB103_244:
	global_load_b64 v[2:3], v[6:7], off
	s_and_saveexec_b32 s1, s0
	s_cbranch_execz .LBB103_248
; %bb.245:
	v_mov_b32_e32 v8, 0
	s_clause 0x2
	global_load_b64 v[0:1], v8, s[2:3] offset:40
	global_load_b64 v[9:10], v8, s[2:3] offset:24 glc
	global_load_b64 v[6:7], v8, s[2:3]
	s_waitcnt vmcnt(2)
	v_add_co_u32 v11, vcc_lo, v0, 1
	v_add_co_ci_u32_e32 v12, vcc_lo, 0, v1, vcc_lo
	s_delay_alu instid0(VALU_DEP_2) | instskip(NEXT) | instid1(VALU_DEP_2)
	v_add_co_u32 v4, vcc_lo, v11, s4
	v_add_co_ci_u32_e32 v5, vcc_lo, s5, v12, vcc_lo
	s_delay_alu instid0(VALU_DEP_1) | instskip(SKIP_1) | instid1(VALU_DEP_1)
	v_cmp_eq_u64_e32 vcc_lo, 0, v[4:5]
	v_dual_cndmask_b32 v5, v5, v12 :: v_dual_cndmask_b32 v4, v4, v11
	v_and_b32_e32 v1, v5, v1
	s_delay_alu instid0(VALU_DEP_2) | instskip(NEXT) | instid1(VALU_DEP_2)
	v_and_b32_e32 v0, v4, v0
	v_mul_lo_u32 v1, v1, 24
	s_delay_alu instid0(VALU_DEP_2) | instskip(SKIP_1) | instid1(VALU_DEP_2)
	v_mul_hi_u32 v11, v0, 24
	v_mul_lo_u32 v0, v0, 24
	v_add_nc_u32_e32 v1, v11, v1
	s_waitcnt vmcnt(0)
	s_delay_alu instid0(VALU_DEP_2) | instskip(SKIP_1) | instid1(VALU_DEP_3)
	v_add_co_u32 v0, vcc_lo, v6, v0
	v_mov_b32_e32 v6, v9
	v_add_co_ci_u32_e32 v1, vcc_lo, v7, v1, vcc_lo
	v_mov_b32_e32 v7, v10
	global_store_b64 v[0:1], v[9:10], off
	s_waitcnt_vscnt null, 0x0
	global_atomic_cmpswap_b64 v[6:7], v8, v[4:7], s[2:3] offset:24 glc
	s_waitcnt vmcnt(0)
	v_cmp_ne_u64_e32 vcc_lo, v[6:7], v[9:10]
	s_and_b32 exec_lo, exec_lo, vcc_lo
	s_cbranch_execz .LBB103_248
; %bb.246:
	s_mov_b32 s0, 0
.LBB103_247:                            ; =>This Inner Loop Header: Depth=1
	s_sleep 1
	global_store_b64 v[0:1], v[6:7], off
	s_waitcnt_vscnt null, 0x0
	global_atomic_cmpswap_b64 v[9:10], v8, v[4:7], s[2:3] offset:24 glc
	s_waitcnt vmcnt(0)
	v_cmp_eq_u64_e32 vcc_lo, v[9:10], v[6:7]
	v_dual_mov_b32 v6, v9 :: v_dual_mov_b32 v7, v10
	s_or_b32 s0, vcc_lo, s0
	s_delay_alu instid0(SALU_CYCLE_1)
	s_and_not1_b32 exec_lo, exec_lo, s0
	s_cbranch_execnz .LBB103_247
.LBB103_248:
	s_or_b32 exec_lo, exec_lo, s1
.LBB103_249:
	v_readfirstlane_b32 s0, v33
	s_waitcnt vmcnt(0)
	v_mov_b32_e32 v0, 0
	v_mov_b32_e32 v1, 0
	s_delay_alu instid0(VALU_DEP_3) | instskip(NEXT) | instid1(VALU_DEP_1)
	v_cmp_eq_u32_e64 s0, s0, v33
	s_and_saveexec_b32 s1, s0
	s_cbranch_execz .LBB103_255
; %bb.250:
	v_mov_b32_e32 v4, 0
	s_mov_b32 s4, exec_lo
	global_load_b64 v[7:8], v4, s[2:3] offset:24 glc
	s_waitcnt vmcnt(0)
	buffer_gl1_inv
	buffer_gl0_inv
	s_clause 0x1
	global_load_b64 v[0:1], v4, s[2:3] offset:40
	global_load_b64 v[5:6], v4, s[2:3]
	s_waitcnt vmcnt(1)
	v_and_b32_e32 v1, v1, v8
	v_and_b32_e32 v0, v0, v7
	s_delay_alu instid0(VALU_DEP_2) | instskip(NEXT) | instid1(VALU_DEP_2)
	v_mul_lo_u32 v1, v1, 24
	v_mul_hi_u32 v9, v0, 24
	v_mul_lo_u32 v0, v0, 24
	s_delay_alu instid0(VALU_DEP_2) | instskip(SKIP_1) | instid1(VALU_DEP_2)
	v_add_nc_u32_e32 v1, v9, v1
	s_waitcnt vmcnt(0)
	v_add_co_u32 v0, vcc_lo, v5, v0
	s_delay_alu instid0(VALU_DEP_2)
	v_add_co_ci_u32_e32 v1, vcc_lo, v6, v1, vcc_lo
	global_load_b64 v[5:6], v[0:1], off glc
	s_waitcnt vmcnt(0)
	global_atomic_cmpswap_b64 v[0:1], v4, v[5:8], s[2:3] offset:24 glc
	s_waitcnt vmcnt(0)
	buffer_gl1_inv
	buffer_gl0_inv
	v_cmpx_ne_u64_e64 v[0:1], v[7:8]
	s_cbranch_execz .LBB103_254
; %bb.251:
	s_mov_b32 s5, 0
	.p2align	6
.LBB103_252:                            ; =>This Inner Loop Header: Depth=1
	s_sleep 1
	s_clause 0x1
	global_load_b64 v[5:6], v4, s[2:3] offset:40
	global_load_b64 v[9:10], v4, s[2:3]
	v_dual_mov_b32 v8, v1 :: v_dual_mov_b32 v7, v0
	s_waitcnt vmcnt(1)
	s_delay_alu instid0(VALU_DEP_1) | instskip(SKIP_1) | instid1(VALU_DEP_1)
	v_and_b32_e32 v5, v5, v7
	s_waitcnt vmcnt(0)
	v_mad_u64_u32 v[0:1], null, v5, 24, v[9:10]
	v_and_b32_e32 v9, v6, v8
	s_delay_alu instid0(VALU_DEP_1) | instskip(NEXT) | instid1(VALU_DEP_1)
	v_mad_u64_u32 v[5:6], null, v9, 24, v[1:2]
	v_mov_b32_e32 v1, v5
	global_load_b64 v[5:6], v[0:1], off glc
	s_waitcnt vmcnt(0)
	global_atomic_cmpswap_b64 v[0:1], v4, v[5:8], s[2:3] offset:24 glc
	s_waitcnt vmcnt(0)
	buffer_gl1_inv
	buffer_gl0_inv
	v_cmp_eq_u64_e32 vcc_lo, v[0:1], v[7:8]
	s_or_b32 s5, vcc_lo, s5
	s_delay_alu instid0(SALU_CYCLE_1)
	s_and_not1_b32 exec_lo, exec_lo, s5
	s_cbranch_execnz .LBB103_252
; %bb.253:
	s_or_b32 exec_lo, exec_lo, s5
.LBB103_254:
	s_delay_alu instid0(SALU_CYCLE_1)
	s_or_b32 exec_lo, exec_lo, s4
.LBB103_255:
	s_delay_alu instid0(SALU_CYCLE_1)
	s_or_b32 exec_lo, exec_lo, s1
	v_mov_b32_e32 v5, 0
	v_readfirstlane_b32 s4, v0
	v_readfirstlane_b32 s5, v1
	s_mov_b32 s1, exec_lo
	s_clause 0x1
	global_load_b64 v[10:11], v5, s[2:3] offset:40
	global_load_b128 v[6:9], v5, s[2:3]
	s_waitcnt vmcnt(1)
	v_readfirstlane_b32 s6, v10
	v_readfirstlane_b32 s7, v11
	s_delay_alu instid0(VALU_DEP_1) | instskip(NEXT) | instid1(SALU_CYCLE_1)
	s_and_b64 s[6:7], s[4:5], s[6:7]
	s_mul_i32 s10, s7, 24
	s_mul_hi_u32 s11, s6, 24
	s_mul_i32 s12, s6, 24
	s_add_i32 s11, s11, s10
	s_waitcnt vmcnt(0)
	v_add_co_u32 v10, vcc_lo, v6, s12
	v_add_co_ci_u32_e32 v11, vcc_lo, s11, v7, vcc_lo
	s_and_saveexec_b32 s10, s0
	s_cbranch_execz .LBB103_257
; %bb.256:
	v_dual_mov_b32 v4, s1 :: v_dual_mov_b32 v15, 1
	v_dual_mov_b32 v14, 2 :: v_dual_mov_b32 v13, v5
	s_delay_alu instid0(VALU_DEP_2)
	v_mov_b32_e32 v12, v4
	global_store_b128 v[10:11], v[12:15], off offset:8
.LBB103_257:
	s_or_b32 exec_lo, exec_lo, s10
	s_lshl_b64 s[6:7], s[6:7], 12
	s_mov_b32 s12, 0
	v_add_co_u32 v0, vcc_lo, v8, s6
	v_add_co_ci_u32_e32 v1, vcc_lo, s7, v9, vcc_lo
	s_mov_b32 s13, s12
	s_delay_alu instid0(VALU_DEP_2)
	v_add_co_u32 v8, vcc_lo, v0, v32
	s_mov_b32 s14, s12
	s_mov_b32 s15, s12
	v_and_or_b32 v2, 0xffffff1f, v2, 32
	v_mov_b32_e32 v4, 0xb5
	v_readfirstlane_b32 s6, v0
	v_readfirstlane_b32 s7, v1
	v_dual_mov_b32 v12, s12 :: v_dual_mov_b32 v15, s15
	v_add_co_ci_u32_e32 v9, vcc_lo, 0, v1, vcc_lo
	v_dual_mov_b32 v13, s13 :: v_dual_mov_b32 v14, s14
	s_clause 0x3
	global_store_b128 v32, v[2:5], s[6:7]
	global_store_b128 v32, v[12:15], s[6:7] offset:16
	global_store_b128 v32, v[12:15], s[6:7] offset:32
	;; [unrolled: 1-line block ×3, first 2 shown]
	s_and_saveexec_b32 s1, s0
	s_cbranch_execz .LBB103_265
; %bb.258:
	v_dual_mov_b32 v12, 0 :: v_dual_mov_b32 v13, s4
	v_mov_b32_e32 v14, s5
	s_clause 0x1
	global_load_b64 v[15:16], v12, s[2:3] offset:32 glc
	global_load_b64 v[0:1], v12, s[2:3] offset:40
	s_waitcnt vmcnt(0)
	v_readfirstlane_b32 s6, v0
	v_readfirstlane_b32 s7, v1
	s_delay_alu instid0(VALU_DEP_1) | instskip(NEXT) | instid1(SALU_CYCLE_1)
	s_and_b64 s[6:7], s[6:7], s[4:5]
	s_mul_i32 s7, s7, 24
	s_mul_hi_u32 s10, s6, 24
	s_mul_i32 s6, s6, 24
	s_add_i32 s10, s10, s7
	v_add_co_u32 v4, vcc_lo, v6, s6
	v_add_co_ci_u32_e32 v5, vcc_lo, s10, v7, vcc_lo
	s_mov_b32 s6, exec_lo
	global_store_b64 v[4:5], v[15:16], off
	s_waitcnt_vscnt null, 0x0
	global_atomic_cmpswap_b64 v[2:3], v12, v[13:16], s[2:3] offset:32 glc
	s_waitcnt vmcnt(0)
	v_cmpx_ne_u64_e64 v[2:3], v[15:16]
	s_cbranch_execz .LBB103_261
; %bb.259:
	s_mov_b32 s7, 0
.LBB103_260:                            ; =>This Inner Loop Header: Depth=1
	v_dual_mov_b32 v0, s4 :: v_dual_mov_b32 v1, s5
	s_sleep 1
	global_store_b64 v[4:5], v[2:3], off
	s_waitcnt_vscnt null, 0x0
	global_atomic_cmpswap_b64 v[0:1], v12, v[0:3], s[2:3] offset:32 glc
	s_waitcnt vmcnt(0)
	v_cmp_eq_u64_e32 vcc_lo, v[0:1], v[2:3]
	v_dual_mov_b32 v3, v1 :: v_dual_mov_b32 v2, v0
	s_or_b32 s7, vcc_lo, s7
	s_delay_alu instid0(SALU_CYCLE_1)
	s_and_not1_b32 exec_lo, exec_lo, s7
	s_cbranch_execnz .LBB103_260
.LBB103_261:
	s_or_b32 exec_lo, exec_lo, s6
	v_mov_b32_e32 v3, 0
	s_mov_b32 s7, exec_lo
	s_mov_b32 s6, exec_lo
	v_mbcnt_lo_u32_b32 v2, s7, 0
	global_load_b64 v[0:1], v3, s[2:3] offset:16
	v_cmpx_eq_u32_e32 0, v2
	s_cbranch_execz .LBB103_263
; %bb.262:
	s_bcnt1_i32_b32 s7, s7
	s_delay_alu instid0(SALU_CYCLE_1)
	v_mov_b32_e32 v2, s7
	s_waitcnt vmcnt(0)
	global_atomic_add_u64 v[0:1], v[2:3], off offset:8
.LBB103_263:
	s_or_b32 exec_lo, exec_lo, s6
	s_waitcnt vmcnt(0)
	global_load_b64 v[2:3], v[0:1], off offset:16
	s_waitcnt vmcnt(0)
	v_cmp_eq_u64_e32 vcc_lo, 0, v[2:3]
	s_cbranch_vccnz .LBB103_265
; %bb.264:
	global_load_b32 v0, v[0:1], off offset:24
	s_waitcnt vmcnt(0)
	v_dual_mov_b32 v1, 0 :: v_dual_and_b32 v4, 0xffffff, v0
	s_waitcnt_vscnt null, 0x0
	global_store_b64 v[2:3], v[0:1], off
	v_readfirstlane_b32 m0, v4
	s_sendmsg sendmsg(MSG_INTERRUPT)
.LBB103_265:
	s_or_b32 exec_lo, exec_lo, s1
	s_branch .LBB103_269
	.p2align	6
.LBB103_266:                            ;   in Loop: Header=BB103_269 Depth=1
	s_or_b32 exec_lo, exec_lo, s1
	s_delay_alu instid0(VALU_DEP_1) | instskip(NEXT) | instid1(VALU_DEP_1)
	v_readfirstlane_b32 s1, v0
	s_cmp_eq_u32 s1, 0
	s_cbranch_scc1 .LBB103_268
; %bb.267:                              ;   in Loop: Header=BB103_269 Depth=1
	s_sleep 1
	s_cbranch_execnz .LBB103_269
	s_branch .LBB103_271
	.p2align	6
.LBB103_268:
	s_branch .LBB103_271
.LBB103_269:                            ; =>This Inner Loop Header: Depth=1
	v_mov_b32_e32 v0, 1
	s_and_saveexec_b32 s1, s0
	s_cbranch_execz .LBB103_266
; %bb.270:                              ;   in Loop: Header=BB103_269 Depth=1
	global_load_b32 v0, v[10:11], off offset:20 glc
	s_waitcnt vmcnt(0)
	buffer_gl1_inv
	buffer_gl0_inv
	v_and_b32_e32 v0, 1, v0
	s_branch .LBB103_266
.LBB103_271:
	global_load_b64 v[4:5], v[8:9], off
	s_and_saveexec_b32 s1, s0
	s_cbranch_execz .LBB103_275
; %bb.272:
	v_mov_b32_e32 v8, 0
	s_clause 0x2
	global_load_b64 v[2:3], v8, s[2:3] offset:40
	global_load_b64 v[9:10], v8, s[2:3] offset:24 glc
	global_load_b64 v[6:7], v8, s[2:3]
	s_waitcnt vmcnt(2)
	v_add_co_u32 v11, vcc_lo, v2, 1
	v_add_co_ci_u32_e32 v12, vcc_lo, 0, v3, vcc_lo
	s_delay_alu instid0(VALU_DEP_2) | instskip(NEXT) | instid1(VALU_DEP_2)
	v_add_co_u32 v0, vcc_lo, v11, s4
	v_add_co_ci_u32_e32 v1, vcc_lo, s5, v12, vcc_lo
	s_delay_alu instid0(VALU_DEP_1) | instskip(SKIP_1) | instid1(VALU_DEP_1)
	v_cmp_eq_u64_e32 vcc_lo, 0, v[0:1]
	v_dual_cndmask_b32 v1, v1, v12 :: v_dual_cndmask_b32 v0, v0, v11
	v_and_b32_e32 v3, v1, v3
	s_delay_alu instid0(VALU_DEP_2) | instskip(NEXT) | instid1(VALU_DEP_2)
	v_and_b32_e32 v2, v0, v2
	v_mul_lo_u32 v3, v3, 24
	s_delay_alu instid0(VALU_DEP_2) | instskip(SKIP_1) | instid1(VALU_DEP_2)
	v_mul_hi_u32 v11, v2, 24
	v_mul_lo_u32 v2, v2, 24
	v_add_nc_u32_e32 v3, v11, v3
	s_waitcnt vmcnt(0)
	s_delay_alu instid0(VALU_DEP_2) | instskip(SKIP_1) | instid1(VALU_DEP_3)
	v_add_co_u32 v6, vcc_lo, v6, v2
	v_mov_b32_e32 v2, v9
	v_add_co_ci_u32_e32 v7, vcc_lo, v7, v3, vcc_lo
	v_mov_b32_e32 v3, v10
	global_store_b64 v[6:7], v[9:10], off
	s_waitcnt_vscnt null, 0x0
	global_atomic_cmpswap_b64 v[2:3], v8, v[0:3], s[2:3] offset:24 glc
	s_waitcnt vmcnt(0)
	v_cmp_ne_u64_e32 vcc_lo, v[2:3], v[9:10]
	s_and_b32 exec_lo, exec_lo, vcc_lo
	s_cbranch_execz .LBB103_275
; %bb.273:
	s_mov_b32 s0, 0
.LBB103_274:                            ; =>This Inner Loop Header: Depth=1
	s_sleep 1
	global_store_b64 v[6:7], v[2:3], off
	s_waitcnt_vscnt null, 0x0
	global_atomic_cmpswap_b64 v[9:10], v8, v[0:3], s[2:3] offset:24 glc
	s_waitcnt vmcnt(0)
	v_cmp_eq_u64_e32 vcc_lo, v[9:10], v[2:3]
	v_dual_mov_b32 v2, v9 :: v_dual_mov_b32 v3, v10
	s_or_b32 s0, vcc_lo, s0
	s_delay_alu instid0(SALU_CYCLE_1)
	s_and_not1_b32 exec_lo, exec_lo, s0
	s_cbranch_execnz .LBB103_274
.LBB103_275:
	s_or_b32 exec_lo, exec_lo, s1
	v_mov_b32_e32 v0, 0
	s_getpc_b64 s[4:5]
	s_add_u32 s4, s4, __PRETTY_FUNCTION__._ZN4vllm3moe7moeTopKILi256EEEvPKfPKbPfPiS7_iiiib@rel32@lo+4
	s_addc_u32 s5, s5, __PRETTY_FUNCTION__._ZN4vllm3moe7moeTopKILi256EEEvPKfPKbPfPiS7_iiiib@rel32@hi+12
.LBB103_276:                            ; =>This Inner Loop Header: Depth=1
	global_load_u8 v1, v0, s[4:5]
	s_add_u32 s0, s4, 1
	s_addc_u32 s1, s5, 0
	s_delay_alu instid0(SALU_CYCLE_1)
	s_mov_b64 s[4:5], s[0:1]
	s_waitcnt vmcnt(0)
	v_cmp_ne_u16_e32 vcc_lo, 0, v1
	s_cbranch_vccnz .LBB103_276
; %bb.277:
	s_getpc_b64 s[4:5]
	s_add_u32 s4, s4, __PRETTY_FUNCTION__._ZN4vllm3moe7moeTopKILi256EEEvPKfPKbPfPiS7_iiiib@rel32@lo+4
	s_addc_u32 s5, s5, __PRETTY_FUNCTION__._ZN4vllm3moe7moeTopKILi256EEEvPKfPKbPfPiS7_iiiib@rel32@hi+12
	s_delay_alu instid0(SALU_CYCLE_1)
	s_cmp_lg_u64 s[4:5], 0
	s_cbranch_scc0 .LBB103_355
; %bb.278:
	v_dual_mov_b32 v7, 0 :: v_dual_and_b32 v28, 2, v4
	v_dual_mov_b32 v1, v5 :: v_dual_and_b32 v0, -3, v4
	v_dual_mov_b32 v8, 2 :: v_dual_mov_b32 v9, 1
	s_sub_i32 s6, s0, s4
	s_delay_alu instid0(SALU_CYCLE_1)
	s_ashr_i32 s7, s6, 31
	s_branch .LBB103_280
.LBB103_279:                            ;   in Loop: Header=BB103_280 Depth=1
	s_or_b32 exec_lo, exec_lo, s1
	s_sub_u32 s6, s6, s10
	s_subb_u32 s7, s7, s11
	s_add_u32 s4, s4, s10
	s_addc_u32 s5, s5, s11
	s_cmp_lg_u64 s[6:7], 0
	s_cbranch_scc0 .LBB103_356
.LBB103_280:                            ; =>This Loop Header: Depth=1
                                        ;     Child Loop BB103_289 Depth 2
                                        ;     Child Loop BB103_285 Depth 2
	;; [unrolled: 1-line block ×11, first 2 shown]
	v_cmp_lt_u64_e64 s0, s[6:7], 56
	v_cmp_gt_u64_e64 s1, s[6:7], 7
                                        ; implicit-def: $vgpr2_vgpr3
                                        ; implicit-def: $sgpr16
	s_delay_alu instid0(VALU_DEP_2) | instskip(SKIP_2) | instid1(VALU_DEP_1)
	s_and_b32 s0, s0, exec_lo
	s_cselect_b32 s11, s7, 0
	s_cselect_b32 s10, s6, 56
	s_and_b32 vcc_lo, exec_lo, s1
	s_mov_b32 s0, -1
	s_cbranch_vccz .LBB103_287
; %bb.281:                              ;   in Loop: Header=BB103_280 Depth=1
	s_and_not1_b32 vcc_lo, exec_lo, s0
	s_mov_b64 s[0:1], s[4:5]
	s_cbranch_vccz .LBB103_291
.LBB103_282:                            ;   in Loop: Header=BB103_280 Depth=1
	s_cmp_gt_u32 s16, 7
	s_cbranch_scc1 .LBB103_292
.LBB103_283:                            ;   in Loop: Header=BB103_280 Depth=1
	v_mov_b32_e32 v10, 0
	v_mov_b32_e32 v11, 0
	s_cmp_eq_u32 s16, 0
	s_cbranch_scc1 .LBB103_286
; %bb.284:                              ;   in Loop: Header=BB103_280 Depth=1
	s_mov_b64 s[12:13], 0
	s_mov_b64 s[14:15], 0
.LBB103_285:                            ;   Parent Loop BB103_280 Depth=1
                                        ; =>  This Inner Loop Header: Depth=2
	s_delay_alu instid0(SALU_CYCLE_1)
	s_add_u32 s18, s0, s14
	s_addc_u32 s19, s1, s15
	s_add_u32 s14, s14, 1
	global_load_u8 v6, v7, s[18:19]
	s_addc_u32 s15, s15, 0
	s_waitcnt vmcnt(0)
	v_and_b32_e32 v6, 0xffff, v6
	s_delay_alu instid0(VALU_DEP_1) | instskip(SKIP_3) | instid1(VALU_DEP_1)
	v_lshlrev_b64 v[12:13], s12, v[6:7]
	s_add_u32 s12, s12, 8
	s_addc_u32 s13, s13, 0
	s_cmp_lg_u32 s16, s14
	v_or_b32_e32 v10, v12, v10
	s_delay_alu instid0(VALU_DEP_2)
	v_or_b32_e32 v11, v13, v11
	s_cbranch_scc1 .LBB103_285
.LBB103_286:                            ;   in Loop: Header=BB103_280 Depth=1
	s_mov_b32 s17, 0
	s_cbranch_execz .LBB103_293
	s_branch .LBB103_294
.LBB103_287:                            ;   in Loop: Header=BB103_280 Depth=1
	s_waitcnt vmcnt(0)
	v_mov_b32_e32 v2, 0
	v_mov_b32_e32 v3, 0
	s_cmp_eq_u64 s[6:7], 0
	s_mov_b64 s[0:1], 0
	s_cbranch_scc1 .LBB103_290
; %bb.288:                              ;   in Loop: Header=BB103_280 Depth=1
	v_mov_b32_e32 v2, 0
	v_mov_b32_e32 v3, 0
	s_lshl_b64 s[12:13], s[10:11], 3
	s_mov_b64 s[14:15], s[4:5]
.LBB103_289:                            ;   Parent Loop BB103_280 Depth=1
                                        ; =>  This Inner Loop Header: Depth=2
	global_load_u8 v6, v7, s[14:15]
	s_waitcnt vmcnt(0)
	v_and_b32_e32 v6, 0xffff, v6
	s_delay_alu instid0(VALU_DEP_1)
	v_lshlrev_b64 v[10:11], s0, v[6:7]
	s_add_u32 s0, s0, 8
	s_addc_u32 s1, s1, 0
	s_add_u32 s14, s14, 1
	s_addc_u32 s15, s15, 0
	s_cmp_lg_u32 s12, s0
	v_or_b32_e32 v2, v10, v2
	v_or_b32_e32 v3, v11, v3
	s_cbranch_scc1 .LBB103_289
.LBB103_290:                            ;   in Loop: Header=BB103_280 Depth=1
	s_mov_b32 s16, 0
	s_mov_b64 s[0:1], s[4:5]
	s_cbranch_execnz .LBB103_282
.LBB103_291:                            ;   in Loop: Header=BB103_280 Depth=1
	global_load_b64 v[2:3], v7, s[4:5]
	s_add_i32 s16, s10, -8
	s_add_u32 s0, s4, 8
	s_addc_u32 s1, s5, 0
	s_cmp_gt_u32 s16, 7
	s_cbranch_scc0 .LBB103_283
.LBB103_292:                            ;   in Loop: Header=BB103_280 Depth=1
                                        ; implicit-def: $vgpr10_vgpr11
                                        ; implicit-def: $sgpr17
.LBB103_293:                            ;   in Loop: Header=BB103_280 Depth=1
	global_load_b64 v[10:11], v7, s[0:1]
	s_add_i32 s17, s16, -8
	s_add_u32 s0, s0, 8
	s_addc_u32 s1, s1, 0
.LBB103_294:                            ;   in Loop: Header=BB103_280 Depth=1
	s_cmp_gt_u32 s17, 7
	s_cbranch_scc1 .LBB103_299
; %bb.295:                              ;   in Loop: Header=BB103_280 Depth=1
	v_mov_b32_e32 v12, 0
	v_mov_b32_e32 v13, 0
	s_cmp_eq_u32 s17, 0
	s_cbranch_scc1 .LBB103_298
; %bb.296:                              ;   in Loop: Header=BB103_280 Depth=1
	s_mov_b64 s[12:13], 0
	s_mov_b64 s[14:15], 0
.LBB103_297:                            ;   Parent Loop BB103_280 Depth=1
                                        ; =>  This Inner Loop Header: Depth=2
	s_delay_alu instid0(SALU_CYCLE_1)
	s_add_u32 s18, s0, s14
	s_addc_u32 s19, s1, s15
	s_add_u32 s14, s14, 1
	global_load_u8 v6, v7, s[18:19]
	s_addc_u32 s15, s15, 0
	s_waitcnt vmcnt(0)
	v_and_b32_e32 v6, 0xffff, v6
	s_delay_alu instid0(VALU_DEP_1) | instskip(SKIP_3) | instid1(VALU_DEP_1)
	v_lshlrev_b64 v[14:15], s12, v[6:7]
	s_add_u32 s12, s12, 8
	s_addc_u32 s13, s13, 0
	s_cmp_lg_u32 s17, s14
	v_or_b32_e32 v12, v14, v12
	s_delay_alu instid0(VALU_DEP_2)
	v_or_b32_e32 v13, v15, v13
	s_cbranch_scc1 .LBB103_297
.LBB103_298:                            ;   in Loop: Header=BB103_280 Depth=1
	s_mov_b32 s16, 0
	s_cbranch_execz .LBB103_300
	s_branch .LBB103_301
.LBB103_299:                            ;   in Loop: Header=BB103_280 Depth=1
                                        ; implicit-def: $sgpr16
.LBB103_300:                            ;   in Loop: Header=BB103_280 Depth=1
	global_load_b64 v[12:13], v7, s[0:1]
	s_add_i32 s16, s17, -8
	s_add_u32 s0, s0, 8
	s_addc_u32 s1, s1, 0
.LBB103_301:                            ;   in Loop: Header=BB103_280 Depth=1
	s_cmp_gt_u32 s16, 7
	s_cbranch_scc1 .LBB103_306
; %bb.302:                              ;   in Loop: Header=BB103_280 Depth=1
	v_mov_b32_e32 v14, 0
	v_mov_b32_e32 v15, 0
	s_cmp_eq_u32 s16, 0
	s_cbranch_scc1 .LBB103_305
; %bb.303:                              ;   in Loop: Header=BB103_280 Depth=1
	s_mov_b64 s[12:13], 0
	s_mov_b64 s[14:15], 0
.LBB103_304:                            ;   Parent Loop BB103_280 Depth=1
                                        ; =>  This Inner Loop Header: Depth=2
	s_delay_alu instid0(SALU_CYCLE_1)
	s_add_u32 s18, s0, s14
	s_addc_u32 s19, s1, s15
	s_add_u32 s14, s14, 1
	global_load_u8 v6, v7, s[18:19]
	s_addc_u32 s15, s15, 0
	s_waitcnt vmcnt(0)
	v_and_b32_e32 v6, 0xffff, v6
	s_delay_alu instid0(VALU_DEP_1) | instskip(SKIP_3) | instid1(VALU_DEP_1)
	v_lshlrev_b64 v[16:17], s12, v[6:7]
	s_add_u32 s12, s12, 8
	s_addc_u32 s13, s13, 0
	s_cmp_lg_u32 s16, s14
	v_or_b32_e32 v14, v16, v14
	s_delay_alu instid0(VALU_DEP_2)
	v_or_b32_e32 v15, v17, v15
	s_cbranch_scc1 .LBB103_304
.LBB103_305:                            ;   in Loop: Header=BB103_280 Depth=1
	s_mov_b32 s17, 0
	s_cbranch_execz .LBB103_307
	s_branch .LBB103_308
.LBB103_306:                            ;   in Loop: Header=BB103_280 Depth=1
                                        ; implicit-def: $vgpr14_vgpr15
                                        ; implicit-def: $sgpr17
.LBB103_307:                            ;   in Loop: Header=BB103_280 Depth=1
	global_load_b64 v[14:15], v7, s[0:1]
	s_add_i32 s17, s16, -8
	s_add_u32 s0, s0, 8
	s_addc_u32 s1, s1, 0
.LBB103_308:                            ;   in Loop: Header=BB103_280 Depth=1
	s_cmp_gt_u32 s17, 7
	s_cbranch_scc1 .LBB103_313
; %bb.309:                              ;   in Loop: Header=BB103_280 Depth=1
	v_mov_b32_e32 v16, 0
	v_mov_b32_e32 v17, 0
	s_cmp_eq_u32 s17, 0
	s_cbranch_scc1 .LBB103_312
; %bb.310:                              ;   in Loop: Header=BB103_280 Depth=1
	s_mov_b64 s[12:13], 0
	s_mov_b64 s[14:15], 0
.LBB103_311:                            ;   Parent Loop BB103_280 Depth=1
                                        ; =>  This Inner Loop Header: Depth=2
	s_delay_alu instid0(SALU_CYCLE_1)
	s_add_u32 s18, s0, s14
	s_addc_u32 s19, s1, s15
	s_add_u32 s14, s14, 1
	global_load_u8 v6, v7, s[18:19]
	s_addc_u32 s15, s15, 0
	s_waitcnt vmcnt(0)
	v_and_b32_e32 v6, 0xffff, v6
	s_delay_alu instid0(VALU_DEP_1) | instskip(SKIP_3) | instid1(VALU_DEP_1)
	v_lshlrev_b64 v[18:19], s12, v[6:7]
	s_add_u32 s12, s12, 8
	s_addc_u32 s13, s13, 0
	s_cmp_lg_u32 s17, s14
	v_or_b32_e32 v16, v18, v16
	s_delay_alu instid0(VALU_DEP_2)
	v_or_b32_e32 v17, v19, v17
	s_cbranch_scc1 .LBB103_311
.LBB103_312:                            ;   in Loop: Header=BB103_280 Depth=1
	s_mov_b32 s16, 0
	s_cbranch_execz .LBB103_314
	s_branch .LBB103_315
.LBB103_313:                            ;   in Loop: Header=BB103_280 Depth=1
                                        ; implicit-def: $sgpr16
.LBB103_314:                            ;   in Loop: Header=BB103_280 Depth=1
	global_load_b64 v[16:17], v7, s[0:1]
	s_add_i32 s16, s17, -8
	s_add_u32 s0, s0, 8
	s_addc_u32 s1, s1, 0
.LBB103_315:                            ;   in Loop: Header=BB103_280 Depth=1
	s_cmp_gt_u32 s16, 7
	s_cbranch_scc1 .LBB103_320
; %bb.316:                              ;   in Loop: Header=BB103_280 Depth=1
	v_mov_b32_e32 v18, 0
	v_mov_b32_e32 v19, 0
	s_cmp_eq_u32 s16, 0
	s_cbranch_scc1 .LBB103_319
; %bb.317:                              ;   in Loop: Header=BB103_280 Depth=1
	s_mov_b64 s[12:13], 0
	s_mov_b64 s[14:15], 0
.LBB103_318:                            ;   Parent Loop BB103_280 Depth=1
                                        ; =>  This Inner Loop Header: Depth=2
	s_delay_alu instid0(SALU_CYCLE_1)
	s_add_u32 s18, s0, s14
	s_addc_u32 s19, s1, s15
	s_add_u32 s14, s14, 1
	global_load_u8 v6, v7, s[18:19]
	s_addc_u32 s15, s15, 0
	s_waitcnt vmcnt(0)
	v_and_b32_e32 v6, 0xffff, v6
	s_delay_alu instid0(VALU_DEP_1) | instskip(SKIP_3) | instid1(VALU_DEP_1)
	v_lshlrev_b64 v[20:21], s12, v[6:7]
	s_add_u32 s12, s12, 8
	s_addc_u32 s13, s13, 0
	s_cmp_lg_u32 s16, s14
	v_or_b32_e32 v18, v20, v18
	s_delay_alu instid0(VALU_DEP_2)
	v_or_b32_e32 v19, v21, v19
	s_cbranch_scc1 .LBB103_318
.LBB103_319:                            ;   in Loop: Header=BB103_280 Depth=1
	s_mov_b32 s17, 0
	s_cbranch_execz .LBB103_321
	s_branch .LBB103_322
.LBB103_320:                            ;   in Loop: Header=BB103_280 Depth=1
                                        ; implicit-def: $vgpr18_vgpr19
                                        ; implicit-def: $sgpr17
.LBB103_321:                            ;   in Loop: Header=BB103_280 Depth=1
	global_load_b64 v[18:19], v7, s[0:1]
	s_add_i32 s17, s16, -8
	s_add_u32 s0, s0, 8
	s_addc_u32 s1, s1, 0
.LBB103_322:                            ;   in Loop: Header=BB103_280 Depth=1
	s_cmp_gt_u32 s17, 7
	s_cbranch_scc1 .LBB103_327
; %bb.323:                              ;   in Loop: Header=BB103_280 Depth=1
	v_mov_b32_e32 v20, 0
	v_mov_b32_e32 v21, 0
	s_cmp_eq_u32 s17, 0
	s_cbranch_scc1 .LBB103_326
; %bb.324:                              ;   in Loop: Header=BB103_280 Depth=1
	s_mov_b64 s[12:13], 0
	s_mov_b64 s[14:15], s[0:1]
.LBB103_325:                            ;   Parent Loop BB103_280 Depth=1
                                        ; =>  This Inner Loop Header: Depth=2
	global_load_u8 v6, v7, s[14:15]
	s_add_i32 s17, s17, -1
	s_waitcnt vmcnt(0)
	v_and_b32_e32 v6, 0xffff, v6
	s_delay_alu instid0(VALU_DEP_1)
	v_lshlrev_b64 v[22:23], s12, v[6:7]
	s_add_u32 s12, s12, 8
	s_addc_u32 s13, s13, 0
	s_add_u32 s14, s14, 1
	s_addc_u32 s15, s15, 0
	s_cmp_lg_u32 s17, 0
	v_or_b32_e32 v20, v22, v20
	v_or_b32_e32 v21, v23, v21
	s_cbranch_scc1 .LBB103_325
.LBB103_326:                            ;   in Loop: Header=BB103_280 Depth=1
	s_cbranch_execz .LBB103_328
	s_branch .LBB103_329
.LBB103_327:                            ;   in Loop: Header=BB103_280 Depth=1
.LBB103_328:                            ;   in Loop: Header=BB103_280 Depth=1
	global_load_b64 v[20:21], v7, s[0:1]
.LBB103_329:                            ;   in Loop: Header=BB103_280 Depth=1
	v_readfirstlane_b32 s0, v33
	v_mov_b32_e32 v26, 0
	v_mov_b32_e32 v27, 0
	s_delay_alu instid0(VALU_DEP_3) | instskip(NEXT) | instid1(VALU_DEP_1)
	v_cmp_eq_u32_e64 s0, s0, v33
	s_and_saveexec_b32 s1, s0
	s_cbranch_execz .LBB103_335
; %bb.330:                              ;   in Loop: Header=BB103_280 Depth=1
	global_load_b64 v[24:25], v7, s[2:3] offset:24 glc
	s_waitcnt vmcnt(0)
	buffer_gl1_inv
	buffer_gl0_inv
	s_clause 0x1
	global_load_b64 v[22:23], v7, s[2:3] offset:40
	global_load_b64 v[26:27], v7, s[2:3]
	s_mov_b32 s12, exec_lo
	s_waitcnt vmcnt(1)
	v_and_b32_e32 v6, v23, v25
	v_and_b32_e32 v22, v22, v24
	s_delay_alu instid0(VALU_DEP_2) | instskip(NEXT) | instid1(VALU_DEP_2)
	v_mul_lo_u32 v6, v6, 24
	v_mul_hi_u32 v23, v22, 24
	v_mul_lo_u32 v22, v22, 24
	s_delay_alu instid0(VALU_DEP_2) | instskip(SKIP_1) | instid1(VALU_DEP_2)
	v_add_nc_u32_e32 v6, v23, v6
	s_waitcnt vmcnt(0)
	v_add_co_u32 v22, vcc_lo, v26, v22
	s_delay_alu instid0(VALU_DEP_2)
	v_add_co_ci_u32_e32 v23, vcc_lo, v27, v6, vcc_lo
	global_load_b64 v[22:23], v[22:23], off glc
	s_waitcnt vmcnt(0)
	global_atomic_cmpswap_b64 v[26:27], v7, v[22:25], s[2:3] offset:24 glc
	s_waitcnt vmcnt(0)
	buffer_gl1_inv
	buffer_gl0_inv
	v_cmpx_ne_u64_e64 v[26:27], v[24:25]
	s_cbranch_execz .LBB103_334
; %bb.331:                              ;   in Loop: Header=BB103_280 Depth=1
	s_mov_b32 s13, 0
	.p2align	6
.LBB103_332:                            ;   Parent Loop BB103_280 Depth=1
                                        ; =>  This Inner Loop Header: Depth=2
	s_sleep 1
	s_clause 0x1
	global_load_b64 v[22:23], v7, s[2:3] offset:40
	global_load_b64 v[29:30], v7, s[2:3]
	v_dual_mov_b32 v24, v26 :: v_dual_mov_b32 v25, v27
	s_waitcnt vmcnt(1)
	s_delay_alu instid0(VALU_DEP_1) | instskip(SKIP_1) | instid1(VALU_DEP_1)
	v_and_b32_e32 v6, v22, v24
	s_waitcnt vmcnt(0)
	v_mad_u64_u32 v[26:27], null, v6, 24, v[29:30]
	v_and_b32_e32 v29, v23, v25
	s_delay_alu instid0(VALU_DEP_2) | instskip(NEXT) | instid1(VALU_DEP_1)
	v_mov_b32_e32 v6, v27
	v_mad_u64_u32 v[22:23], null, v29, 24, v[6:7]
	s_delay_alu instid0(VALU_DEP_1)
	v_mov_b32_e32 v27, v22
	global_load_b64 v[22:23], v[26:27], off glc
	s_waitcnt vmcnt(0)
	global_atomic_cmpswap_b64 v[26:27], v7, v[22:25], s[2:3] offset:24 glc
	s_waitcnt vmcnt(0)
	buffer_gl1_inv
	buffer_gl0_inv
	v_cmp_eq_u64_e32 vcc_lo, v[26:27], v[24:25]
	s_or_b32 s13, vcc_lo, s13
	s_delay_alu instid0(SALU_CYCLE_1)
	s_and_not1_b32 exec_lo, exec_lo, s13
	s_cbranch_execnz .LBB103_332
; %bb.333:                              ;   in Loop: Header=BB103_280 Depth=1
	s_or_b32 exec_lo, exec_lo, s13
.LBB103_334:                            ;   in Loop: Header=BB103_280 Depth=1
	s_delay_alu instid0(SALU_CYCLE_1)
	s_or_b32 exec_lo, exec_lo, s12
.LBB103_335:                            ;   in Loop: Header=BB103_280 Depth=1
	s_delay_alu instid0(SALU_CYCLE_1)
	s_or_b32 exec_lo, exec_lo, s1
	s_clause 0x1
	global_load_b64 v[29:30], v7, s[2:3] offset:40
	global_load_b128 v[22:25], v7, s[2:3]
	v_readfirstlane_b32 s12, v26
	v_readfirstlane_b32 s13, v27
	s_mov_b32 s1, exec_lo
	s_waitcnt vmcnt(1)
	v_readfirstlane_b32 s14, v29
	v_readfirstlane_b32 s15, v30
	s_delay_alu instid0(VALU_DEP_1) | instskip(NEXT) | instid1(SALU_CYCLE_1)
	s_and_b64 s[14:15], s[12:13], s[14:15]
	s_mul_i32 s16, s15, 24
	s_mul_hi_u32 s17, s14, 24
	s_mul_i32 s18, s14, 24
	s_add_i32 s17, s17, s16
	s_waitcnt vmcnt(0)
	v_add_co_u32 v26, vcc_lo, v22, s18
	v_add_co_ci_u32_e32 v27, vcc_lo, s17, v23, vcc_lo
	s_and_saveexec_b32 s16, s0
	s_cbranch_execz .LBB103_337
; %bb.336:                              ;   in Loop: Header=BB103_280 Depth=1
	v_mov_b32_e32 v6, s1
	global_store_b128 v[26:27], v[6:9], off offset:8
.LBB103_337:                            ;   in Loop: Header=BB103_280 Depth=1
	s_or_b32 exec_lo, exec_lo, s16
	s_lshl_b64 s[14:15], s[14:15], 12
	v_cmp_gt_u64_e64 vcc_lo, s[6:7], 56
	v_or_b32_e32 v6, 0, v1
	v_or_b32_e32 v29, v0, v28
	v_add_co_u32 v24, s1, v24, s14
	s_delay_alu instid0(VALU_DEP_1) | instskip(SKIP_1) | instid1(VALU_DEP_3)
	v_add_co_ci_u32_e64 v25, s1, s15, v25, s1
	s_lshl_b32 s1, s10, 2
	v_dual_cndmask_b32 v1, v6, v1 :: v_dual_cndmask_b32 v0, v29, v0
	s_add_i32 s1, s1, 28
	v_readfirstlane_b32 s14, v24
	s_and_b32 s1, s1, 0x1e0
	v_readfirstlane_b32 s15, v25
	v_and_or_b32 v0, 0xffffff1f, v0, s1
	s_clause 0x3
	global_store_b128 v32, v[0:3], s[14:15]
	global_store_b128 v32, v[10:13], s[14:15] offset:16
	global_store_b128 v32, v[14:17], s[14:15] offset:32
	;; [unrolled: 1-line block ×3, first 2 shown]
	s_and_saveexec_b32 s1, s0
	s_cbranch_execz .LBB103_345
; %bb.338:                              ;   in Loop: Header=BB103_280 Depth=1
	s_clause 0x1
	global_load_b64 v[14:15], v7, s[2:3] offset:32 glc
	global_load_b64 v[0:1], v7, s[2:3] offset:40
	v_dual_mov_b32 v12, s12 :: v_dual_mov_b32 v13, s13
	s_waitcnt vmcnt(0)
	v_readfirstlane_b32 s14, v0
	v_readfirstlane_b32 s15, v1
	s_delay_alu instid0(VALU_DEP_1) | instskip(NEXT) | instid1(SALU_CYCLE_1)
	s_and_b64 s[14:15], s[14:15], s[12:13]
	s_mul_i32 s15, s15, 24
	s_mul_hi_u32 s16, s14, 24
	s_mul_i32 s14, s14, 24
	s_add_i32 s16, s16, s15
	v_add_co_u32 v10, vcc_lo, v22, s14
	v_add_co_ci_u32_e32 v11, vcc_lo, s16, v23, vcc_lo
	s_mov_b32 s14, exec_lo
	global_store_b64 v[10:11], v[14:15], off
	s_waitcnt_vscnt null, 0x0
	global_atomic_cmpswap_b64 v[2:3], v7, v[12:15], s[2:3] offset:32 glc
	s_waitcnt vmcnt(0)
	v_cmpx_ne_u64_e64 v[2:3], v[14:15]
	s_cbranch_execz .LBB103_341
; %bb.339:                              ;   in Loop: Header=BB103_280 Depth=1
	s_mov_b32 s15, 0
.LBB103_340:                            ;   Parent Loop BB103_280 Depth=1
                                        ; =>  This Inner Loop Header: Depth=2
	v_dual_mov_b32 v0, s12 :: v_dual_mov_b32 v1, s13
	s_sleep 1
	global_store_b64 v[10:11], v[2:3], off
	s_waitcnt_vscnt null, 0x0
	global_atomic_cmpswap_b64 v[0:1], v7, v[0:3], s[2:3] offset:32 glc
	s_waitcnt vmcnt(0)
	v_cmp_eq_u64_e32 vcc_lo, v[0:1], v[2:3]
	v_dual_mov_b32 v3, v1 :: v_dual_mov_b32 v2, v0
	s_or_b32 s15, vcc_lo, s15
	s_delay_alu instid0(SALU_CYCLE_1)
	s_and_not1_b32 exec_lo, exec_lo, s15
	s_cbranch_execnz .LBB103_340
.LBB103_341:                            ;   in Loop: Header=BB103_280 Depth=1
	s_or_b32 exec_lo, exec_lo, s14
	global_load_b64 v[0:1], v7, s[2:3] offset:16
	s_mov_b32 s15, exec_lo
	s_mov_b32 s14, exec_lo
	v_mbcnt_lo_u32_b32 v2, s15, 0
	s_delay_alu instid0(VALU_DEP_1)
	v_cmpx_eq_u32_e32 0, v2
	s_cbranch_execz .LBB103_343
; %bb.342:                              ;   in Loop: Header=BB103_280 Depth=1
	s_bcnt1_i32_b32 s15, s15
	s_delay_alu instid0(SALU_CYCLE_1)
	v_mov_b32_e32 v6, s15
	s_waitcnt vmcnt(0)
	global_atomic_add_u64 v[0:1], v[6:7], off offset:8
.LBB103_343:                            ;   in Loop: Header=BB103_280 Depth=1
	s_or_b32 exec_lo, exec_lo, s14
	s_waitcnt vmcnt(0)
	global_load_b64 v[2:3], v[0:1], off offset:16
	s_waitcnt vmcnt(0)
	v_cmp_eq_u64_e32 vcc_lo, 0, v[2:3]
	s_cbranch_vccnz .LBB103_345
; %bb.344:                              ;   in Loop: Header=BB103_280 Depth=1
	global_load_b32 v6, v[0:1], off offset:24
	s_waitcnt vmcnt(0)
	v_and_b32_e32 v0, 0xffffff, v6
	s_waitcnt_vscnt null, 0x0
	global_store_b64 v[2:3], v[6:7], off
	v_readfirstlane_b32 m0, v0
	s_sendmsg sendmsg(MSG_INTERRUPT)
.LBB103_345:                            ;   in Loop: Header=BB103_280 Depth=1
	s_or_b32 exec_lo, exec_lo, s1
	v_add_co_u32 v0, vcc_lo, v24, v32
	v_add_co_ci_u32_e32 v1, vcc_lo, 0, v25, vcc_lo
	s_branch .LBB103_349
	.p2align	6
.LBB103_346:                            ;   in Loop: Header=BB103_349 Depth=2
	s_or_b32 exec_lo, exec_lo, s1
	s_delay_alu instid0(VALU_DEP_1) | instskip(NEXT) | instid1(VALU_DEP_1)
	v_readfirstlane_b32 s1, v2
	s_cmp_eq_u32 s1, 0
	s_cbranch_scc1 .LBB103_348
; %bb.347:                              ;   in Loop: Header=BB103_349 Depth=2
	s_sleep 1
	s_cbranch_execnz .LBB103_349
	s_branch .LBB103_351
	.p2align	6
.LBB103_348:                            ;   in Loop: Header=BB103_280 Depth=1
	s_branch .LBB103_351
.LBB103_349:                            ;   Parent Loop BB103_280 Depth=1
                                        ; =>  This Inner Loop Header: Depth=2
	v_mov_b32_e32 v2, 1
	s_and_saveexec_b32 s1, s0
	s_cbranch_execz .LBB103_346
; %bb.350:                              ;   in Loop: Header=BB103_349 Depth=2
	global_load_b32 v2, v[26:27], off offset:20 glc
	s_waitcnt vmcnt(0)
	buffer_gl1_inv
	buffer_gl0_inv
	v_and_b32_e32 v2, 1, v2
	s_branch .LBB103_346
.LBB103_351:                            ;   in Loop: Header=BB103_280 Depth=1
	global_load_b128 v[0:3], v[0:1], off
	s_and_saveexec_b32 s1, s0
	s_cbranch_execz .LBB103_279
; %bb.352:                              ;   in Loop: Header=BB103_280 Depth=1
	s_clause 0x2
	global_load_b64 v[2:3], v7, s[2:3] offset:40
	global_load_b64 v[14:15], v7, s[2:3] offset:24 glc
	global_load_b64 v[12:13], v7, s[2:3]
	s_waitcnt vmcnt(2)
	v_add_co_u32 v6, vcc_lo, v2, 1
	v_add_co_ci_u32_e32 v16, vcc_lo, 0, v3, vcc_lo
	s_delay_alu instid0(VALU_DEP_2) | instskip(NEXT) | instid1(VALU_DEP_2)
	v_add_co_u32 v10, vcc_lo, v6, s12
	v_add_co_ci_u32_e32 v11, vcc_lo, s13, v16, vcc_lo
	s_delay_alu instid0(VALU_DEP_1) | instskip(SKIP_1) | instid1(VALU_DEP_1)
	v_cmp_eq_u64_e32 vcc_lo, 0, v[10:11]
	v_dual_cndmask_b32 v11, v11, v16 :: v_dual_cndmask_b32 v10, v10, v6
	v_and_b32_e32 v3, v11, v3
	s_delay_alu instid0(VALU_DEP_2) | instskip(NEXT) | instid1(VALU_DEP_1)
	v_and_b32_e32 v2, v10, v2
	v_mul_hi_u32 v6, v2, 24
	v_mul_lo_u32 v2, v2, 24
	s_waitcnt vmcnt(0)
	s_delay_alu instid0(VALU_DEP_1) | instskip(SKIP_2) | instid1(VALU_DEP_1)
	v_add_co_u32 v2, vcc_lo, v12, v2
	v_mov_b32_e32 v12, v14
	v_mul_lo_u32 v3, v3, 24
	v_add_nc_u32_e32 v3, v6, v3
	s_delay_alu instid0(VALU_DEP_1)
	v_add_co_ci_u32_e32 v3, vcc_lo, v13, v3, vcc_lo
	v_mov_b32_e32 v13, v15
	global_store_b64 v[2:3], v[14:15], off
	s_waitcnt_vscnt null, 0x0
	global_atomic_cmpswap_b64 v[12:13], v7, v[10:13], s[2:3] offset:24 glc
	s_waitcnt vmcnt(0)
	v_cmp_ne_u64_e32 vcc_lo, v[12:13], v[14:15]
	s_and_b32 exec_lo, exec_lo, vcc_lo
	s_cbranch_execz .LBB103_279
; %bb.353:                              ;   in Loop: Header=BB103_280 Depth=1
	s_mov_b32 s0, 0
.LBB103_354:                            ;   Parent Loop BB103_280 Depth=1
                                        ; =>  This Inner Loop Header: Depth=2
	s_sleep 1
	global_store_b64 v[2:3], v[12:13], off
	s_waitcnt_vscnt null, 0x0
	global_atomic_cmpswap_b64 v[14:15], v7, v[10:13], s[2:3] offset:24 glc
	s_waitcnt vmcnt(0)
	v_cmp_eq_u64_e32 vcc_lo, v[14:15], v[12:13]
	v_dual_mov_b32 v12, v14 :: v_dual_mov_b32 v13, v15
	s_or_b32 s0, vcc_lo, s0
	s_delay_alu instid0(SALU_CYCLE_1)
	s_and_not1_b32 exec_lo, exec_lo, s0
	s_cbranch_execnz .LBB103_354
	s_branch .LBB103_279
.LBB103_355:
                                        ; implicit-def: $vgpr0_vgpr1
	s_cbranch_execnz .LBB103_357
	s_branch .LBB103_384
.LBB103_356:
	s_branch .LBB103_384
.LBB103_357:
	v_readfirstlane_b32 s0, v33
	v_mov_b32_e32 v7, 0
	v_mov_b32_e32 v8, 0
	s_delay_alu instid0(VALU_DEP_3) | instskip(NEXT) | instid1(VALU_DEP_1)
	v_cmp_eq_u32_e64 s0, s0, v33
	s_and_saveexec_b32 s1, s0
	s_cbranch_execz .LBB103_363
; %bb.358:
	s_waitcnt vmcnt(0)
	v_mov_b32_e32 v0, 0
	s_mov_b32 s4, exec_lo
	global_load_b64 v[9:10], v0, s[2:3] offset:24 glc
	s_waitcnt vmcnt(0)
	buffer_gl1_inv
	buffer_gl0_inv
	s_clause 0x1
	global_load_b64 v[1:2], v0, s[2:3] offset:40
	global_load_b64 v[6:7], v0, s[2:3]
	s_waitcnt vmcnt(1)
	v_and_b32_e32 v1, v1, v9
	v_and_b32_e32 v2, v2, v10
	s_delay_alu instid0(VALU_DEP_2) | instskip(NEXT) | instid1(VALU_DEP_2)
	v_mul_hi_u32 v3, v1, 24
	v_mul_lo_u32 v2, v2, 24
	v_mul_lo_u32 v1, v1, 24
	s_delay_alu instid0(VALU_DEP_2) | instskip(SKIP_1) | instid1(VALU_DEP_2)
	v_add_nc_u32_e32 v2, v3, v2
	s_waitcnt vmcnt(0)
	v_add_co_u32 v1, vcc_lo, v6, v1
	s_delay_alu instid0(VALU_DEP_2)
	v_add_co_ci_u32_e32 v2, vcc_lo, v7, v2, vcc_lo
	global_load_b64 v[7:8], v[1:2], off glc
	s_waitcnt vmcnt(0)
	global_atomic_cmpswap_b64 v[7:8], v0, v[7:10], s[2:3] offset:24 glc
	s_waitcnt vmcnt(0)
	buffer_gl1_inv
	buffer_gl0_inv
	v_cmpx_ne_u64_e64 v[7:8], v[9:10]
	s_cbranch_execz .LBB103_362
; %bb.359:
	s_mov_b32 s5, 0
	.p2align	6
.LBB103_360:                            ; =>This Inner Loop Header: Depth=1
	s_sleep 1
	s_clause 0x1
	global_load_b64 v[1:2], v0, s[2:3] offset:40
	global_load_b64 v[11:12], v0, s[2:3]
	v_dual_mov_b32 v10, v8 :: v_dual_mov_b32 v9, v7
	s_waitcnt vmcnt(1)
	s_delay_alu instid0(VALU_DEP_1) | instskip(SKIP_1) | instid1(VALU_DEP_1)
	v_and_b32_e32 v1, v1, v9
	s_waitcnt vmcnt(0)
	v_mad_u64_u32 v[6:7], null, v1, 24, v[11:12]
	s_delay_alu instid0(VALU_DEP_1) | instskip(NEXT) | instid1(VALU_DEP_1)
	v_dual_mov_b32 v1, v7 :: v_dual_and_b32 v8, v2, v10
	v_mad_u64_u32 v[2:3], null, v8, 24, v[1:2]
	s_delay_alu instid0(VALU_DEP_1)
	v_mov_b32_e32 v7, v2
	global_load_b64 v[7:8], v[6:7], off glc
	s_waitcnt vmcnt(0)
	global_atomic_cmpswap_b64 v[7:8], v0, v[7:10], s[2:3] offset:24 glc
	s_waitcnt vmcnt(0)
	buffer_gl1_inv
	buffer_gl0_inv
	v_cmp_eq_u64_e32 vcc_lo, v[7:8], v[9:10]
	s_or_b32 s5, vcc_lo, s5
	s_delay_alu instid0(SALU_CYCLE_1)
	s_and_not1_b32 exec_lo, exec_lo, s5
	s_cbranch_execnz .LBB103_360
; %bb.361:
	s_or_b32 exec_lo, exec_lo, s5
.LBB103_362:
	s_delay_alu instid0(SALU_CYCLE_1)
	s_or_b32 exec_lo, exec_lo, s4
.LBB103_363:
	s_delay_alu instid0(SALU_CYCLE_1)
	s_or_b32 exec_lo, exec_lo, s1
	v_mov_b32_e32 v6, 0
	v_readfirstlane_b32 s4, v7
	v_readfirstlane_b32 s5, v8
	s_mov_b32 s1, exec_lo
	s_clause 0x1
	global_load_b64 v[9:10], v6, s[2:3] offset:40
	global_load_b128 v[0:3], v6, s[2:3]
	s_waitcnt vmcnt(1)
	v_readfirstlane_b32 s6, v9
	v_readfirstlane_b32 s7, v10
	s_delay_alu instid0(VALU_DEP_1) | instskip(NEXT) | instid1(SALU_CYCLE_1)
	s_and_b64 s[6:7], s[4:5], s[6:7]
	s_mul_i32 s10, s7, 24
	s_mul_hi_u32 s11, s6, 24
	s_mul_i32 s12, s6, 24
	s_add_i32 s11, s11, s10
	s_waitcnt vmcnt(0)
	v_add_co_u32 v8, vcc_lo, v0, s12
	v_add_co_ci_u32_e32 v9, vcc_lo, s11, v1, vcc_lo
	s_and_saveexec_b32 s10, s0
	s_cbranch_execz .LBB103_365
; %bb.364:
	v_dual_mov_b32 v10, s1 :: v_dual_mov_b32 v11, v6
	v_dual_mov_b32 v12, 2 :: v_dual_mov_b32 v13, 1
	global_store_b128 v[8:9], v[10:13], off offset:8
.LBB103_365:
	s_or_b32 exec_lo, exec_lo, s10
	s_lshl_b64 s[6:7], s[6:7], 12
	s_mov_b32 s12, 0
	v_add_co_u32 v2, vcc_lo, v2, s6
	v_add_co_ci_u32_e32 v3, vcc_lo, s7, v3, vcc_lo
	s_mov_b32 s13, s12
	s_delay_alu instid0(VALU_DEP_2)
	v_add_co_u32 v10, vcc_lo, v2, v32
	s_mov_b32 s14, s12
	s_mov_b32 s15, s12
	v_and_or_b32 v4, 0xffffff1f, v4, 32
	v_dual_mov_b32 v7, v6 :: v_dual_mov_b32 v12, s12
	v_readfirstlane_b32 s6, v2
	v_readfirstlane_b32 s7, v3
	v_add_co_ci_u32_e32 v11, vcc_lo, 0, v3, vcc_lo
	v_dual_mov_b32 v13, s13 :: v_dual_mov_b32 v14, s14
	v_mov_b32_e32 v15, s15
	s_clause 0x3
	global_store_b128 v32, v[4:7], s[6:7]
	global_store_b128 v32, v[12:15], s[6:7] offset:16
	global_store_b128 v32, v[12:15], s[6:7] offset:32
	global_store_b128 v32, v[12:15], s[6:7] offset:48
	s_and_saveexec_b32 s1, s0
	s_cbranch_execz .LBB103_373
; %bb.366:
	v_dual_mov_b32 v6, 0 :: v_dual_mov_b32 v13, s5
	v_mov_b32_e32 v12, s4
	s_clause 0x1
	global_load_b64 v[14:15], v6, s[2:3] offset:32 glc
	global_load_b64 v[2:3], v6, s[2:3] offset:40
	s_waitcnt vmcnt(0)
	v_readfirstlane_b32 s6, v2
	v_readfirstlane_b32 s7, v3
	s_delay_alu instid0(VALU_DEP_1) | instskip(NEXT) | instid1(SALU_CYCLE_1)
	s_and_b64 s[6:7], s[6:7], s[4:5]
	s_mul_i32 s7, s7, 24
	s_mul_hi_u32 s10, s6, 24
	s_mul_i32 s6, s6, 24
	s_add_i32 s10, s10, s7
	v_add_co_u32 v4, vcc_lo, v0, s6
	v_add_co_ci_u32_e32 v5, vcc_lo, s10, v1, vcc_lo
	s_mov_b32 s6, exec_lo
	global_store_b64 v[4:5], v[14:15], off
	s_waitcnt_vscnt null, 0x0
	global_atomic_cmpswap_b64 v[2:3], v6, v[12:15], s[2:3] offset:32 glc
	s_waitcnt vmcnt(0)
	v_cmpx_ne_u64_e64 v[2:3], v[14:15]
	s_cbranch_execz .LBB103_369
; %bb.367:
	s_mov_b32 s7, 0
.LBB103_368:                            ; =>This Inner Loop Header: Depth=1
	v_dual_mov_b32 v0, s4 :: v_dual_mov_b32 v1, s5
	s_sleep 1
	global_store_b64 v[4:5], v[2:3], off
	s_waitcnt_vscnt null, 0x0
	global_atomic_cmpswap_b64 v[0:1], v6, v[0:3], s[2:3] offset:32 glc
	s_waitcnt vmcnt(0)
	v_cmp_eq_u64_e32 vcc_lo, v[0:1], v[2:3]
	v_dual_mov_b32 v3, v1 :: v_dual_mov_b32 v2, v0
	s_or_b32 s7, vcc_lo, s7
	s_delay_alu instid0(SALU_CYCLE_1)
	s_and_not1_b32 exec_lo, exec_lo, s7
	s_cbranch_execnz .LBB103_368
.LBB103_369:
	s_or_b32 exec_lo, exec_lo, s6
	v_mov_b32_e32 v3, 0
	s_mov_b32 s7, exec_lo
	s_mov_b32 s6, exec_lo
	v_mbcnt_lo_u32_b32 v2, s7, 0
	global_load_b64 v[0:1], v3, s[2:3] offset:16
	v_cmpx_eq_u32_e32 0, v2
	s_cbranch_execz .LBB103_371
; %bb.370:
	s_bcnt1_i32_b32 s7, s7
	s_delay_alu instid0(SALU_CYCLE_1)
	v_mov_b32_e32 v2, s7
	s_waitcnt vmcnt(0)
	global_atomic_add_u64 v[0:1], v[2:3], off offset:8
.LBB103_371:
	s_or_b32 exec_lo, exec_lo, s6
	s_waitcnt vmcnt(0)
	global_load_b64 v[2:3], v[0:1], off offset:16
	s_waitcnt vmcnt(0)
	v_cmp_eq_u64_e32 vcc_lo, 0, v[2:3]
	s_cbranch_vccnz .LBB103_373
; %bb.372:
	global_load_b32 v0, v[0:1], off offset:24
	s_waitcnt vmcnt(0)
	v_dual_mov_b32 v1, 0 :: v_dual_and_b32 v4, 0xffffff, v0
	s_waitcnt_vscnt null, 0x0
	global_store_b64 v[2:3], v[0:1], off
	v_readfirstlane_b32 m0, v4
	s_sendmsg sendmsg(MSG_INTERRUPT)
.LBB103_373:
	s_or_b32 exec_lo, exec_lo, s1
	s_branch .LBB103_377
	.p2align	6
.LBB103_374:                            ;   in Loop: Header=BB103_377 Depth=1
	s_or_b32 exec_lo, exec_lo, s1
	s_delay_alu instid0(VALU_DEP_1) | instskip(NEXT) | instid1(VALU_DEP_1)
	v_readfirstlane_b32 s1, v0
	s_cmp_eq_u32 s1, 0
	s_cbranch_scc1 .LBB103_376
; %bb.375:                              ;   in Loop: Header=BB103_377 Depth=1
	s_sleep 1
	s_cbranch_execnz .LBB103_377
	s_branch .LBB103_379
	.p2align	6
.LBB103_376:
	s_branch .LBB103_379
.LBB103_377:                            ; =>This Inner Loop Header: Depth=1
	v_mov_b32_e32 v0, 1
	s_and_saveexec_b32 s1, s0
	s_cbranch_execz .LBB103_374
; %bb.378:                              ;   in Loop: Header=BB103_377 Depth=1
	global_load_b32 v0, v[8:9], off offset:20 glc
	s_waitcnt vmcnt(0)
	buffer_gl1_inv
	buffer_gl0_inv
	v_and_b32_e32 v0, 1, v0
	s_branch .LBB103_374
.LBB103_379:
	global_load_b64 v[0:1], v[10:11], off
	s_and_saveexec_b32 s1, s0
	s_cbranch_execz .LBB103_383
; %bb.380:
	v_mov_b32_e32 v8, 0
	s_clause 0x2
	global_load_b64 v[4:5], v8, s[2:3] offset:40
	global_load_b64 v[9:10], v8, s[2:3] offset:24 glc
	global_load_b64 v[6:7], v8, s[2:3]
	s_waitcnt vmcnt(2)
	v_add_co_u32 v11, vcc_lo, v4, 1
	v_add_co_ci_u32_e32 v12, vcc_lo, 0, v5, vcc_lo
	s_delay_alu instid0(VALU_DEP_2) | instskip(NEXT) | instid1(VALU_DEP_2)
	v_add_co_u32 v2, vcc_lo, v11, s4
	v_add_co_ci_u32_e32 v3, vcc_lo, s5, v12, vcc_lo
	s_delay_alu instid0(VALU_DEP_1) | instskip(SKIP_1) | instid1(VALU_DEP_1)
	v_cmp_eq_u64_e32 vcc_lo, 0, v[2:3]
	v_dual_cndmask_b32 v3, v3, v12 :: v_dual_cndmask_b32 v2, v2, v11
	v_and_b32_e32 v5, v3, v5
	s_delay_alu instid0(VALU_DEP_2) | instskip(NEXT) | instid1(VALU_DEP_2)
	v_and_b32_e32 v4, v2, v4
	v_mul_lo_u32 v5, v5, 24
	s_delay_alu instid0(VALU_DEP_2) | instskip(SKIP_1) | instid1(VALU_DEP_2)
	v_mul_hi_u32 v11, v4, 24
	v_mul_lo_u32 v4, v4, 24
	v_add_nc_u32_e32 v5, v11, v5
	s_waitcnt vmcnt(0)
	s_delay_alu instid0(VALU_DEP_2) | instskip(SKIP_1) | instid1(VALU_DEP_3)
	v_add_co_u32 v6, vcc_lo, v6, v4
	v_mov_b32_e32 v4, v9
	v_add_co_ci_u32_e32 v7, vcc_lo, v7, v5, vcc_lo
	v_mov_b32_e32 v5, v10
	global_store_b64 v[6:7], v[9:10], off
	s_waitcnt_vscnt null, 0x0
	global_atomic_cmpswap_b64 v[4:5], v8, v[2:5], s[2:3] offset:24 glc
	s_waitcnt vmcnt(0)
	v_cmp_ne_u64_e32 vcc_lo, v[4:5], v[9:10]
	s_and_b32 exec_lo, exec_lo, vcc_lo
	s_cbranch_execz .LBB103_383
; %bb.381:
	s_mov_b32 s0, 0
.LBB103_382:                            ; =>This Inner Loop Header: Depth=1
	s_sleep 1
	global_store_b64 v[6:7], v[4:5], off
	s_waitcnt_vscnt null, 0x0
	global_atomic_cmpswap_b64 v[9:10], v8, v[2:5], s[2:3] offset:24 glc
	s_waitcnt vmcnt(0)
	v_cmp_eq_u64_e32 vcc_lo, v[9:10], v[4:5]
	v_dual_mov_b32 v4, v9 :: v_dual_mov_b32 v5, v10
	s_or_b32 s0, vcc_lo, s0
	s_delay_alu instid0(SALU_CYCLE_1)
	s_and_not1_b32 exec_lo, exec_lo, s0
	s_cbranch_execnz .LBB103_382
.LBB103_383:
	s_or_b32 exec_lo, exec_lo, s1
.LBB103_384:
	s_getpc_b64 s[0:1]
	s_add_u32 s0, s0, .str.1@rel32@lo+4
	s_addc_u32 s1, s1, .str.1@rel32@hi+12
	s_getpc_b64 s[2:3]
	s_add_u32 s2, s2, .str.1@rel32@lo+22
	s_addc_u32 s3, s3, .str.1@rel32@hi+30
	s_sub_i32 s4, s2, s0
	s_getpc_b64 s[2:3]
	s_add_u32 s2, s2, __ockl_fprintf_append_string_n@rel32@lo+4
	s_addc_u32 s3, s3, __ockl_fprintf_append_string_n@rel32@hi+12
	s_ashr_i32 s5, s4, 31
	s_waitcnt vmcnt(0)
	v_dual_mov_b32 v2, s0 :: v_dual_mov_b32 v3, s1
	v_dual_mov_b32 v4, s4 :: v_dual_mov_b32 v5, s5
	v_mov_b32_e32 v6, 1
	s_swappc_b64 s[30:31], s[2:3]
	s_trap 2
	s_sendmsg_rtn_b32 s0, sendmsg(MSG_RTN_GET_DOORBELL)
	s_mov_b32 ttmp2, m0
	s_waitcnt lgkmcnt(0)
	s_and_b32 s0, s0, 0x3ff
	s_delay_alu instid0(SALU_CYCLE_1) | instskip(NEXT) | instid1(SALU_CYCLE_1)
	s_bitset1_b32 s0, 10
	s_mov_b32 m0, s0
	s_sendmsg sendmsg(MSG_INTERRUPT)
	s_mov_b32 m0, ttmp2
.LBB103_385:                            ; =>This Inner Loop Header: Depth=1
	s_sethalt 5
	s_branch .LBB103_385
.Lfunc_end103:
	.size	__assert_fail, .Lfunc_end103-__assert_fail
                                        ; -- End function
	.section	.AMDGPU.csdata,"",@progbits
; Function info:
; codeLenInByte = 15200
; NumSgprs: 36
; NumVgprs: 39
; ScratchSize: 64
; MemoryBound: 0
	.section	.text._ZN4vllm3moe7moeTopKILi256EEEvPKfPKbPfPiS7_iiiib,"axG",@progbits,_ZN4vllm3moe7moeTopKILi256EEEvPKfPKbPfPiS7_iiiib,comdat
	.protected	_ZN4vllm3moe7moeTopKILi256EEEvPKfPKbPfPiS7_iiiib ; -- Begin function _ZN4vllm3moe7moeTopKILi256EEEvPKfPKbPfPiS7_iiiib
	.globl	_ZN4vllm3moe7moeTopKILi256EEEvPKfPKbPfPiS7_iiiib
	.p2align	8
	.type	_ZN4vllm3moe7moeTopKILi256EEEvPKfPKbPfPiS7_iiiib,@function
_ZN4vllm3moe7moeTopKILi256EEEvPKfPKbPfPiS7_iiiib: ; @_ZN4vllm3moe7moeTopKILi256EEEvPKfPKbPfPiS7_iiiib
; %bb.0:
	s_clause 0x1
	s_load_b256 s[16:23], s[0:1], 0x0
	s_load_b64 s[10:11], s[0:1], 0x20
	s_mov_b32 s13, -1
	s_mov_b32 s28, -1
	s_mov_b32 s32, 0
	s_waitcnt lgkmcnt(0)
	s_cmp_eq_u64 s[18:19], 0
	s_cbranch_scc1 .LBB104_2
; %bb.1:
	v_mov_b32_e32 v1, 0
	s_ashr_i32 s3, s15, 31
	s_add_u32 s2, s18, s15
	s_addc_u32 s3, s19, s3
	global_load_u8 v1, v1, s[2:3]
	s_waitcnt vmcnt(0)
	v_readfirstlane_b32 s2, v1
	s_delay_alu instid0(VALU_DEP_1) | instskip(SKIP_1) | instid1(SALU_CYCLE_1)
	s_bitcmp1_b32 s2, 0
	s_cselect_b32 s2, -1, 0
	s_xor_b32 s28, s2, -1
.LBB104_2:
	s_clause 0x1
	s_load_b32 s2, s[0:1], 0x38
	s_load_b128 s[24:27], s[0:1], 0x28
	s_mov_b32 s29, 0
	s_waitcnt lgkmcnt(0)
	s_bitcmp1_b32 s2, 0
	s_cselect_b32 s2, -1, 0
	s_cmp_gt_i32 s25, 0
	s_cselect_b32 s14, -1, 0
	s_cmp_lt_i32 s25, 1
	s_cbranch_scc1 .LBB104_27
; %bb.3:
	v_mbcnt_lo_u32_b32 v1, -1, 0
	s_load_b32 s30, s[0:1], 0x40
	v_lshrrev_b32_e32 v3, 2, v0
	s_mul_i32 s12, s15, s25
	v_cmp_gt_i32_e64 s3, s24, v0
	v_and_b32_e32 v4, 7, v1
	s_ashr_i32 s13, s12, 31
	v_dual_mov_b32 v2, 0x7c :: v_dual_and_b32 v3, 56, v3
	v_cmp_eq_u32_e64 s4, 0, v1
	s_delay_alu instid0(VALU_DEP_3)
	v_cmp_gt_u32_e32 vcc_lo, 6, v4
	v_cmp_gt_u32_e64 s5, 32, v0
	v_cmp_eq_u32_e64 s6, 0, v0
	s_lshl_b64 s[8:9], s[12:13], 2
	s_mul_i32 s31, s15, s24
	v_cndmask_b32_e64 v5, 0, 1, vcc_lo
	v_cmp_gt_u32_e32 vcc_lo, 4, v4
	s_add_u32 s18, s22, s8
	s_addc_u32 s19, s23, s9
	s_mov_b32 s33, 0
	v_lshlrev_b32_e32 v8, 1, v5
	v_cndmask_b32_e64 v6, 0, 1, vcc_lo
	v_cmp_ne_u32_e32 vcc_lo, 7, v4
                                        ; implicit-def: $sgpr13
	s_delay_alu instid0(VALU_DEP_2) | instskip(SKIP_2) | instid1(VALU_DEP_2)
	v_lshlrev_b32_e32 v9, 2, v6
	v_add_co_ci_u32_e32 v7, vcc_lo, 0, v1, vcc_lo
	v_add_lshl_u32 v6, v8, v1, 2
	v_dual_mov_b32 v8, 0 :: v_dual_lshlrev_b32 v5, 2, v7
	s_delay_alu instid0(VALU_DEP_4)
	v_add_lshl_u32 v7, v9, v1, 2
	v_dual_mov_b32 v1, 0 :: v_dual_lshlrev_b32 v4, 3, v4
	s_branch .LBB104_5
.LBB104_4:                              ;   in Loop: Header=BB104_5 Depth=1
	s_or_b32 exec_lo, exec_lo, s8
	s_xor_b32 s7, s7, -1
	s_and_b32 s8, exec_lo, s34
	s_delay_alu instid0(SALU_CYCLE_1) | instskip(SKIP_2) | instid1(SALU_CYCLE_1)
	s_or_b32 s29, s8, s29
	s_and_not1_b32 s8, s13, exec_lo
	s_and_b32 s7, s7, exec_lo
	s_or_b32 s13, s8, s7
	s_and_not1_b32 exec_lo, exec_lo, s29
	s_cbranch_execz .LBB104_24
.LBB104_5:                              ; =>This Loop Header: Depth=1
                                        ;     Child Loop BB104_8 Depth 2
                                        ;       Child Loop BB104_10 Depth 3
	v_dual_mov_b32 v9, -1.0 :: v_dual_mov_b32 v10, 0
	s_and_saveexec_b32 s34, s3
	s_cbranch_execz .LBB104_14
; %bb.6:                                ;   in Loop: Header=BB104_5 Depth=1
	v_dual_mov_b32 v9, -1.0 :: v_dual_mov_b32 v10, 0
	v_mov_b32_e32 v11, v0
	s_cmp_lg_u32 s33, 0
	s_mov_b32 s36, 0
	s_cselect_b32 s35, -1, 0
	s_set_inst_prefetch_distance 0x1
	s_branch .LBB104_8
	.p2align	6
.LBB104_7:                              ;   in Loop: Header=BB104_8 Depth=2
	s_or_b32 exec_lo, exec_lo, s8
	v_add_nc_u32_e32 v11, 0x100, v11
	s_delay_alu instid0(VALU_DEP_1) | instskip(SKIP_1) | instid1(SALU_CYCLE_1)
	v_cmp_le_i32_e32 vcc_lo, s24, v11
	s_or_b32 s36, vcc_lo, s36
	s_and_not1_b32 exec_lo, exec_lo, s36
	s_cbranch_execz .LBB104_13
.LBB104_8:                              ;   Parent Loop BB104_5 Depth=1
                                        ; =>  This Loop Header: Depth=2
                                        ;       Child Loop BB104_10 Depth 3
	v_add_nc_u32_e32 v12, s31, v11
	s_delay_alu instid0(VALU_DEP_1) | instskip(NEXT) | instid1(VALU_DEP_1)
	v_ashrrev_i32_e32 v13, 31, v12
	v_lshlrev_b64 v[12:13], 2, v[12:13]
	s_delay_alu instid0(VALU_DEP_1) | instskip(NEXT) | instid1(VALU_DEP_2)
	v_add_co_u32 v12, vcc_lo, s16, v12
	v_add_co_ci_u32_e32 v13, vcc_lo, s17, v13, vcc_lo
	s_and_not1_b32 vcc_lo, exec_lo, s35
	global_load_b32 v12, v[12:13], off
	v_mov_b32_e32 v13, v11
	s_cbranch_vccnz .LBB104_11
; %bb.9:                                ;   in Loop: Header=BB104_8 Depth=2
	s_mov_b32 s7, 0
	s_mov_b64 s[8:9], s[18:19]
.LBB104_10:                             ;   Parent Loop BB104_5 Depth=1
                                        ;     Parent Loop BB104_8 Depth=2
                                        ; =>    This Inner Loop Header: Depth=3
	global_load_b32 v14, v8, s[8:9]
	s_add_i32 s7, s7, 1
	s_add_u32 s8, s8, 4
	s_addc_u32 s9, s9, 0
	s_cmp_ge_u32 s7, s33
	s_waitcnt vmcnt(0)
	v_cmp_eq_u32_e32 vcc_lo, v14, v11
	v_dual_cndmask_b32 v13, v13, v10 :: v_dual_cndmask_b32 v12, v12, v9
	s_cbranch_scc0 .LBB104_10
.LBB104_11:                             ;   in Loop: Header=BB104_8 Depth=2
	s_mov_b32 s8, exec_lo
	s_waitcnt vmcnt(0)
	s_delay_alu instid0(VALU_DEP_1)
	v_cmpx_ngt_f32_e32 v9, v12
	s_cbranch_execz .LBB104_7
; %bb.12:                               ;   in Loop: Header=BB104_8 Depth=2
	v_cmp_eq_f32_e32 vcc_lo, v12, v9
	v_cmp_lt_i32_e64 s7, v10, v13
	s_delay_alu instid0(VALU_DEP_1)
	s_and_b32 vcc_lo, vcc_lo, s7
	v_dual_cndmask_b32 v9, v12, v9 :: v_dual_cndmask_b32 v10, v13, v10
	s_branch .LBB104_7
.LBB104_13:                             ;   in Loop: Header=BB104_5 Depth=1
	s_set_inst_prefetch_distance 0x2
	s_or_b32 exec_lo, exec_lo, s36
.LBB104_14:                             ;   in Loop: Header=BB104_5 Depth=1
	s_delay_alu instid0(SALU_CYCLE_1) | instskip(NEXT) | instid1(VALU_DEP_1)
	s_or_b32 exec_lo, exec_lo, s34
	v_mov_b32_dpp v11, v9 quad_perm:[1,0,3,2] row_mask:0xf bank_mask:0xf
	v_mov_b32_dpp v12, v10 quad_perm:[1,0,3,2] row_mask:0xf bank_mask:0xf
	s_delay_alu instid0(VALU_DEP_2) | instskip(NEXT) | instid1(VALU_DEP_2)
	v_cmp_eq_f32_e32 vcc_lo, v9, v11
	v_cmp_lt_i32_e64 s7, v10, v12
	s_delay_alu instid0(VALU_DEP_1) | instskip(SKIP_2) | instid1(VALU_DEP_2)
	s_and_b32 vcc_lo, vcc_lo, s7
	v_cmp_gt_f32_e64 s7, v9, v11
	v_cndmask_b32_e32 v13, v11, v9, vcc_lo
	s_or_b32 vcc_lo, s7, vcc_lo
	v_cndmask_b32_e32 v10, v12, v10, vcc_lo
	s_delay_alu instid0(VALU_DEP_2) | instskip(NEXT) | instid1(VALU_DEP_2)
	v_cndmask_b32_e64 v9, v13, v9, s7
	v_mov_b32_dpp v12, v10 quad_perm:[2,3,0,1] row_mask:0xf bank_mask:0xf
	s_delay_alu instid0(VALU_DEP_2) | instskip(NEXT) | instid1(VALU_DEP_2)
	v_mov_b32_dpp v11, v9 quad_perm:[2,3,0,1] row_mask:0xf bank_mask:0xf
	v_cmp_lt_i32_e64 s7, v10, v12
	s_delay_alu instid0(VALU_DEP_2) | instskip(NEXT) | instid1(VALU_DEP_2)
	v_cmp_eq_f32_e32 vcc_lo, v9, v11
	s_and_b32 vcc_lo, vcc_lo, s7
	v_cmp_gt_f32_e64 s7, v9, v11
	v_cndmask_b32_e32 v13, v11, v9, vcc_lo
	s_delay_alu instid0(VALU_DEP_2) | instskip(SKIP_1) | instid1(VALU_DEP_2)
	s_or_b32 vcc_lo, s7, vcc_lo
	v_cndmask_b32_e32 v10, v12, v10, vcc_lo
	v_cndmask_b32_e64 v9, v13, v9, s7
	s_delay_alu instid0(VALU_DEP_2) | instskip(NEXT) | instid1(VALU_DEP_2)
	v_mov_b32_dpp v12, v10 row_ror:4 row_mask:0xf bank_mask:0xf
	v_mov_b32_dpp v11, v9 row_ror:4 row_mask:0xf bank_mask:0xf
	s_delay_alu instid0(VALU_DEP_2) | instskip(NEXT) | instid1(VALU_DEP_2)
	v_cmp_lt_i32_e64 s7, v10, v12
	v_cmp_eq_f32_e32 vcc_lo, v9, v11
	s_delay_alu instid0(VALU_DEP_2) | instskip(SKIP_2) | instid1(VALU_DEP_2)
	s_and_b32 vcc_lo, vcc_lo, s7
	v_cmp_gt_f32_e64 s7, v9, v11
	v_cndmask_b32_e32 v13, v11, v9, vcc_lo
	s_or_b32 vcc_lo, s7, vcc_lo
	v_cndmask_b32_e32 v10, v12, v10, vcc_lo
	s_delay_alu instid0(VALU_DEP_2) | instskip(NEXT) | instid1(VALU_DEP_2)
	v_cndmask_b32_e64 v9, v13, v9, s7
	v_mov_b32_dpp v12, v10 row_ror:8 row_mask:0xf bank_mask:0xf
	s_delay_alu instid0(VALU_DEP_2) | instskip(NEXT) | instid1(VALU_DEP_2)
	v_mov_b32_dpp v11, v9 row_ror:8 row_mask:0xf bank_mask:0xf
	v_cmp_lt_i32_e64 s7, v10, v12
	s_delay_alu instid0(VALU_DEP_2) | instskip(NEXT) | instid1(VALU_DEP_2)
	v_cmp_eq_f32_e32 vcc_lo, v9, v11
	s_and_b32 vcc_lo, vcc_lo, s7
	v_cmp_gt_f32_e64 s7, v9, v11
	v_cndmask_b32_e32 v13, v11, v9, vcc_lo
	s_delay_alu instid0(VALU_DEP_2) | instskip(SKIP_1) | instid1(VALU_DEP_2)
	s_or_b32 vcc_lo, s7, vcc_lo
	v_cndmask_b32_e32 v10, v12, v10, vcc_lo
	v_cndmask_b32_e64 v9, v13, v9, s7
	ds_swizzle_b32 v12, v10 offset:swizzle(BROADCAST,32,15)
	ds_swizzle_b32 v11, v9 offset:swizzle(BROADCAST,32,15)
	s_waitcnt lgkmcnt(0)
	v_cmp_lt_i32_e64 s7, v10, v12
	v_cmp_eq_f32_e32 vcc_lo, v9, v11
	s_delay_alu instid0(VALU_DEP_2) | instskip(SKIP_2) | instid1(VALU_DEP_2)
	s_and_b32 vcc_lo, vcc_lo, s7
	v_cmp_gt_f32_e64 s7, v9, v11
	v_cndmask_b32_e32 v13, v11, v9, vcc_lo
	s_or_b32 vcc_lo, s7, vcc_lo
	v_cndmask_b32_e32 v10, v12, v10, vcc_lo
	s_delay_alu instid0(VALU_DEP_2)
	v_cndmask_b32_e64 v9, v13, v9, s7
	ds_bpermute_b32 v10, v2, v10
	ds_bpermute_b32 v9, v2, v9
	s_and_saveexec_b32 s7, s4
	s_cbranch_execz .LBB104_16
; %bb.15:                               ;   in Loop: Header=BB104_5 Depth=1
	s_waitcnt lgkmcnt(0)
	ds_store_2addr_b32 v3, v10, v9 offset1:1
.LBB104_16:                             ;   in Loop: Header=BB104_5 Depth=1
	s_or_b32 exec_lo, exec_lo, s7
	s_waitcnt lgkmcnt(0)
	s_waitcnt_vscnt null, 0x0
	s_barrier
	buffer_gl0_inv
	s_and_saveexec_b32 s9, s5
	s_cbranch_execz .LBB104_18
; %bb.17:                               ;   in Loop: Header=BB104_5 Depth=1
	ds_load_2addr_b32 v[9:10], v4 offset1:1
	s_waitcnt lgkmcnt(0)
	ds_bpermute_b32 v11, v5, v10
	ds_bpermute_b32 v12, v5, v9
	s_waitcnt lgkmcnt(1)
	v_cmp_eq_f32_e32 vcc_lo, v10, v11
	s_waitcnt lgkmcnt(0)
	v_cmp_lt_i32_e64 s7, v12, v9
	v_cmp_lt_f32_e64 s8, v10, v11
	s_delay_alu instid0(VALU_DEP_2)
	s_and_b32 s7, vcc_lo, s7
	s_delay_alu instid0(VALU_DEP_1) | instid1(SALU_CYCLE_1)
	s_or_b32 vcc_lo, s8, s7
	v_dual_cndmask_b32 v10, v10, v11 :: v_dual_cndmask_b32 v9, v9, v12
	ds_bpermute_b32 v11, v6, v10
	ds_bpermute_b32 v12, v6, v9
	s_waitcnt lgkmcnt(1)
	v_cmp_eq_f32_e32 vcc_lo, v10, v11
	s_waitcnt lgkmcnt(0)
	v_cmp_lt_i32_e64 s7, v12, v9
	v_cmp_lt_f32_e64 s8, v10, v11
	s_delay_alu instid0(VALU_DEP_2)
	s_and_b32 s7, vcc_lo, s7
	s_delay_alu instid0(VALU_DEP_1) | instid1(SALU_CYCLE_1)
	s_or_b32 vcc_lo, s8, s7
	v_dual_cndmask_b32 v10, v10, v11 :: v_dual_cndmask_b32 v11, v9, v12
	;; [unrolled: 12-line block ×3, first 2 shown]
.LBB104_18:                             ;   in Loop: Header=BB104_5 Depth=1
	s_or_b32 exec_lo, exec_lo, s9
	s_mov_b32 s34, -1
	s_mov_b32 s9, -1
                                        ; implicit-def: $sgpr7
	s_and_saveexec_b32 s35, s6
	s_cbranch_execz .LBB104_22
; %bb.19:                               ;   in Loop: Header=BB104_5 Depth=1
	v_cmp_le_i32_e32 vcc_lo, s26, v10
	v_cmp_gt_i32_e64 s7, s27, v10
	s_add_i32 s8, s33, s12
	v_subrev_nc_u32_e32 v10, s26, v10
	s_ashr_i32 s9, s8, 31
	s_mov_b32 s36, 0
	s_and_b32 s7, vcc_lo, s7
	s_lshl_b64 s[8:9], s[8:9], 2
	s_and_b32 vcc_lo, s28, s7
	s_add_u32 s38, s20, s8
	v_cndmask_b32_e32 v10, s24, v10, vcc_lo
	s_addc_u32 s39, s21, s9
	s_add_u32 s40, s22, s8
	s_mov_b32 s7, exec_lo
	s_addc_u32 s41, s23, s9
	s_clause 0x1
	global_store_b32 v8, v9, s[38:39]
	global_store_b32 v8, v10, s[40:41]
	v_cmpx_lt_i32_e32 -1, v10
	s_cbranch_execz .LBB104_21
; %bb.20:                               ;   in Loop: Header=BB104_5 Depth=1
	s_mul_i32 s37, s33, s30
	s_mov_b32 s36, exec_lo
	s_add_i32 s37, s37, s15
	s_delay_alu instid0(SALU_CYCLE_1) | instskip(SKIP_2) | instid1(VALU_DEP_1)
	v_dual_add_f32 v9, v1, v9 :: v_dual_mov_b32 v10, s37
	s_add_u32 s8, s10, s8
	s_addc_u32 s9, s11, s9
	v_cndmask_b32_e64 v1, v1, v9, s2
	global_store_b32 v8, v10, s[8:9]
.LBB104_21:                             ;   in Loop: Header=BB104_5 Depth=1
	s_or_b32 exec_lo, exec_lo, s7
	s_mov_b32 s7, -1
	s_or_not1_b32 s9, s36, exec_lo
.LBB104_22:                             ;   in Loop: Header=BB104_5 Depth=1
	s_or_b32 exec_lo, exec_lo, s35
	s_and_saveexec_b32 s8, s9
	s_cbranch_execz .LBB104_4
; %bb.23:                               ;   in Loop: Header=BB104_5 Depth=1
	s_add_i32 s33, s33, 1
	s_waitcnt_vscnt null, 0x0
	s_cmp_eq_u32 s33, s25
	s_barrier
	s_cselect_b32 s9, -1, 0
	s_and_not1_b32 s7, s7, exec_lo
	s_or_not1_b32 s34, s9, exec_lo
	buffer_gl0_inv
	s_branch .LBB104_4
.LBB104_24:
	s_or_b32 exec_lo, exec_lo, s29
	s_mov_b32 s4, -1
	s_and_saveexec_b32 s5, s13
	s_cbranch_execnz .LBB104_28
.LBB104_25:
	s_or_b32 exec_lo, exec_lo, s5
	s_and_saveexec_b32 s2, s4
	s_cbranch_execnz .LBB104_35
.LBB104_26:
	s_nop 0
	s_sendmsg sendmsg(MSG_DEALLOC_VGPRS)
	s_endpgm
.LBB104_27:
	v_mov_b32_e32 v1, 0
	s_mov_b32 s4, 0
	s_and_saveexec_b32 s5, s13
	s_cbranch_execz .LBB104_25
.LBB104_28:
	s_and_b32 vcc_lo, exec_lo, s2
	s_cbranch_vccz .LBB104_34
; %bb.29:
	v_cmp_eq_u32_e32 vcc_lo, 0, v0
	v_cmp_neq_f32_e64 s2, 0, v1
	s_delay_alu instid0(VALU_DEP_1) | instskip(NEXT) | instid1(SALU_CYCLE_1)
	s_and_b32 s2, vcc_lo, s2
	s_and_saveexec_b32 s6, s2
	s_cbranch_execz .LBB104_33
; %bb.30:
	s_and_not1_b32 vcc_lo, exec_lo, s14
	s_cbranch_vccnz .LBB104_33
; %bb.31:
	v_div_scale_f32 v0, null, v1, v1, 1.0
	v_div_scale_f32 v4, vcc_lo, 1.0, v1, 1.0
	s_mul_i32 s2, s15, s25
	s_delay_alu instid0(VALU_DEP_2) | instskip(SKIP_1) | instid1(SALU_CYCLE_1)
	v_rcp_f32_e32 v2, v0
	s_ashr_i32 s3, s2, 31
	s_lshl_b64 s[2:3], s[2:3], 2
	s_delay_alu instid0(SALU_CYCLE_1) | instskip(SKIP_3) | instid1(VALU_DEP_1)
	s_add_u32 s2, s20, s2
	s_addc_u32 s3, s21, s3
	s_waitcnt_depctr 0xfff
	v_fma_f32 v3, -v0, v2, 1.0
	v_fmac_f32_e32 v2, v3, v2
	s_delay_alu instid0(VALU_DEP_1) | instskip(NEXT) | instid1(VALU_DEP_1)
	v_mul_f32_e32 v3, v4, v2
	v_fma_f32 v5, -v0, v3, v4
	s_delay_alu instid0(VALU_DEP_1) | instskip(NEXT) | instid1(VALU_DEP_1)
	v_fmac_f32_e32 v3, v5, v2
	v_fma_f32 v0, -v0, v3, v4
	s_delay_alu instid0(VALU_DEP_1) | instskip(NEXT) | instid1(VALU_DEP_1)
	v_div_fmas_f32 v0, v0, v2, v3
	v_div_fixup_f32 v0, v0, v1, 1.0
	v_mov_b32_e32 v1, 0
.LBB104_32:                             ; =>This Inner Loop Header: Depth=1
	global_load_b32 v2, v1, s[2:3]
	s_add_i32 s25, s25, -1
	s_waitcnt vmcnt(0)
	v_mul_f32_e32 v2, v0, v2
	global_store_b32 v1, v2, s[2:3]
	s_add_u32 s2, s2, 4
	s_addc_u32 s3, s3, 0
	s_cmp_lg_u32 s25, 0
	s_cbranch_scc1 .LBB104_32
.LBB104_33:
	s_or_b32 exec_lo, exec_lo, s6
.LBB104_34:
	s_delay_alu instid0(SALU_CYCLE_1)
	s_and_not1_b32 s4, s4, exec_lo
	s_or_b32 exec_lo, exec_lo, s5
	s_and_saveexec_b32 s2, s4
	s_cbranch_execz .LBB104_26
.LBB104_35:
	s_add_u32 s8, s0, 64
	s_addc_u32 s9, s1, 0
	s_getpc_b64 s[0:1]
	s_add_u32 s0, s0, __assert_fail@rel32@lo+4
	s_addc_u32 s1, s1, __assert_fail@rel32@hi+12
	s_delay_alu instid0(SALU_CYCLE_1)
	s_swappc_b64 s[30:31], s[0:1]
	; divergent unreachable
	s_endpgm
	.section	.rodata,"a",@progbits
	.p2align	6, 0x0
	.amdhsa_kernel _ZN4vllm3moe7moeTopKILi256EEEvPKfPKbPfPiS7_iiiib
		.amdhsa_group_segment_fixed_size 64
		.amdhsa_private_segment_fixed_size 64
		.amdhsa_kernarg_size 320
		.amdhsa_user_sgpr_count 15
		.amdhsa_user_sgpr_dispatch_ptr 0
		.amdhsa_user_sgpr_queue_ptr 0
		.amdhsa_user_sgpr_kernarg_segment_ptr 1
		.amdhsa_user_sgpr_dispatch_id 0
		.amdhsa_user_sgpr_private_segment_size 0
		.amdhsa_wavefront_size32 1
		.amdhsa_uses_dynamic_stack 0
		.amdhsa_enable_private_segment 1
		.amdhsa_system_sgpr_workgroup_id_x 1
		.amdhsa_system_sgpr_workgroup_id_y 0
		.amdhsa_system_sgpr_workgroup_id_z 0
		.amdhsa_system_sgpr_workgroup_info 0
		.amdhsa_system_vgpr_workitem_id 0
		.amdhsa_next_free_vgpr 39
		.amdhsa_next_free_sgpr 42
		.amdhsa_reserve_vcc 1
		.amdhsa_float_round_mode_32 0
		.amdhsa_float_round_mode_16_64 0
		.amdhsa_float_denorm_mode_32 3
		.amdhsa_float_denorm_mode_16_64 3
		.amdhsa_dx10_clamp 1
		.amdhsa_ieee_mode 1
		.amdhsa_fp16_overflow 0
		.amdhsa_workgroup_processor_mode 1
		.amdhsa_memory_ordered 1
		.amdhsa_forward_progress 0
		.amdhsa_shared_vgpr_count 0
		.amdhsa_exception_fp_ieee_invalid_op 0
		.amdhsa_exception_fp_denorm_src 0
		.amdhsa_exception_fp_ieee_div_zero 0
		.amdhsa_exception_fp_ieee_overflow 0
		.amdhsa_exception_fp_ieee_underflow 0
		.amdhsa_exception_fp_ieee_inexact 0
		.amdhsa_exception_int_div_zero 0
	.end_amdhsa_kernel
	.section	.text._ZN4vllm3moe7moeTopKILi256EEEvPKfPKbPfPiS7_iiiib,"axG",@progbits,_ZN4vllm3moe7moeTopKILi256EEEvPKfPKbPfPiS7_iiiib,comdat
.Lfunc_end104:
	.size	_ZN4vllm3moe7moeTopKILi256EEEvPKfPKbPfPiS7_iiiib, .Lfunc_end104-_ZN4vllm3moe7moeTopKILi256EEEvPKfPKbPfPiS7_iiiib
                                        ; -- End function
	.section	.AMDGPU.csdata,"",@progbits
; Kernel info:
; codeLenInByte = 1824
; NumSgprs: 44
; NumVgprs: 39
; ScratchSize: 64
; MemoryBound: 0
; FloatMode: 240
; IeeeMode: 1
; LDSByteSize: 64 bytes/workgroup (compile time only)
; SGPRBlocks: 5
; VGPRBlocks: 4
; NumSGPRsForWavesPerEU: 44
; NumVGPRsForWavesPerEU: 39
; Occupancy: 16
; WaveLimiterHint : 1
; COMPUTE_PGM_RSRC2:SCRATCH_EN: 1
; COMPUTE_PGM_RSRC2:USER_SGPR: 15
; COMPUTE_PGM_RSRC2:TRAP_HANDLER: 0
; COMPUTE_PGM_RSRC2:TGID_X_EN: 1
; COMPUTE_PGM_RSRC2:TGID_Y_EN: 0
; COMPUTE_PGM_RSRC2:TGID_Z_EN: 0
; COMPUTE_PGM_RSRC2:TIDIG_COMP_CNT: 0
	.section	.text._ZN4vllm3moe24applySharedExpertSigmoidIfLi256EEEvPKT_Pfiiiii,"axG",@progbits,_ZN4vllm3moe24applySharedExpertSigmoidIfLi256EEEvPKT_Pfiiiii,comdat
	.protected	_ZN4vllm3moe24applySharedExpertSigmoidIfLi256EEEvPKT_Pfiiiii ; -- Begin function _ZN4vllm3moe24applySharedExpertSigmoidIfLi256EEEvPKT_Pfiiiii
	.globl	_ZN4vllm3moe24applySharedExpertSigmoidIfLi256EEEvPKT_Pfiiiii
	.p2align	8
	.type	_ZN4vllm3moe24applySharedExpertSigmoidIfLi256EEEvPKT_Pfiiiii,@function
_ZN4vllm3moe24applySharedExpertSigmoidIfLi256EEEvPKT_Pfiiiii: ; @_ZN4vllm3moe24applySharedExpertSigmoidIfLi256EEEvPKT_Pfiiiii
; %bb.0:
	s_load_b128 s[4:7], s[0:1], 0x10
	s_waitcnt lgkmcnt(0)
	s_cmp_ge_i32 s15, s4
	s_cbranch_scc1 .LBB105_4
; %bb.1:
	s_load_b32 s2, s[0:1], 0x20
	s_mov_b32 s3, exec_lo
	v_cmpx_gt_i32_e64 s5, v0
	s_cbranch_execz .LBB105_4
; %bb.2:
	s_load_b128 s[8:11], s[0:1], 0x0
	v_mad_u64_u32 v[1:2], null, s15, s7, v[0:1]
	s_mul_i32 s1, s15, s6
	s_waitcnt lgkmcnt(0)
	s_add_i32 s1, s1, s2
	s_mov_b32 s2, 0
	s_delay_alu instid0(VALU_DEP_1) | instskip(NEXT) | instid1(VALU_DEP_1)
	v_ashrrev_i32_e32 v2, 31, v1
	v_lshlrev_b64 v[1:2], 2, v[1:2]
	s_delay_alu instid0(VALU_DEP_1) | instskip(NEXT) | instid1(VALU_DEP_2)
	v_add_co_u32 v1, vcc_lo, s10, v1
	v_add_co_ci_u32_e32 v2, vcc_lo, s11, v2, vcc_lo
.LBB105_3:                              ; =>This Inner Loop Header: Depth=1
	v_add_nc_u32_e32 v3, s1, v0
	s_delay_alu instid0(VALU_DEP_1) | instskip(NEXT) | instid1(VALU_DEP_1)
	v_ashrrev_i32_e32 v4, 31, v3
	v_lshlrev_b64 v[3:4], 2, v[3:4]
	s_delay_alu instid0(VALU_DEP_1) | instskip(NEXT) | instid1(VALU_DEP_2)
	v_add_co_u32 v3, vcc_lo, s8, v3
	v_add_co_ci_u32_e32 v4, vcc_lo, s9, v4, vcc_lo
	global_load_b32 v3, v[3:4], off
	s_waitcnt vmcnt(0)
	v_mul_f32_e32 v4, 0xbfb8aa3b, v3
	v_cmp_nlt_f32_e32 vcc_lo, 0x42ce8ed0, v3
	s_delay_alu instid0(VALU_DEP_2) | instskip(SKIP_1) | instid1(VALU_DEP_1)
	v_fma_f32 v5, 0xbfb8aa3b, v3, -v4
	v_rndne_f32_e32 v6, v4
	v_dual_fmac_f32 v5, 0xb2a5705f, v3 :: v_dual_sub_f32 v4, v4, v6
	s_delay_alu instid0(VALU_DEP_1) | instskip(SKIP_1) | instid1(VALU_DEP_2)
	v_add_f32_e32 v4, v4, v5
	v_cvt_i32_f32_e32 v5, v6
	v_exp_f32_e32 v4, v4
	s_waitcnt_depctr 0xfff
	v_ldexp_f32 v4, v4, v5
	s_delay_alu instid0(VALU_DEP_1) | instskip(SKIP_1) | instid1(VALU_DEP_2)
	v_cndmask_b32_e32 v4, 0, v4, vcc_lo
	v_cmp_ngt_f32_e32 vcc_lo, 0xc2b17218, v3
	v_cndmask_b32_e32 v3, 0x7f800000, v4, vcc_lo
	s_delay_alu instid0(VALU_DEP_1) | instskip(NEXT) | instid1(VALU_DEP_1)
	v_add_f32_e32 v3, 1.0, v3
	v_div_scale_f32 v4, null, v3, v3, 1.0
	v_div_scale_f32 v6, vcc_lo, 1.0, v3, 1.0
	s_delay_alu instid0(VALU_DEP_2) | instskip(SKIP_2) | instid1(VALU_DEP_1)
	v_rcp_f32_e32 v5, v4
	s_waitcnt_depctr 0xfff
	v_fma_f32 v7, -v4, v5, 1.0
	v_dual_fmac_f32 v5, v7, v5 :: v_dual_add_nc_u32 v0, 0x100, v0
	s_delay_alu instid0(VALU_DEP_1) | instskip(NEXT) | instid1(VALU_DEP_2)
	v_mul_f32_e32 v7, v6, v5
	v_cmp_le_i32_e64 s0, s5, v0
	s_delay_alu instid0(VALU_DEP_2) | instskip(NEXT) | instid1(VALU_DEP_2)
	v_fma_f32 v8, -v4, v7, v6
	s_or_b32 s2, s0, s2
	s_delay_alu instid0(VALU_DEP_1) | instskip(NEXT) | instid1(VALU_DEP_1)
	v_fmac_f32_e32 v7, v8, v5
	v_fma_f32 v4, -v4, v7, v6
	s_delay_alu instid0(VALU_DEP_1) | instskip(NEXT) | instid1(VALU_DEP_1)
	v_div_fmas_f32 v4, v4, v5, v7
	v_div_fixup_f32 v3, v4, v3, 1.0
	global_store_b32 v[1:2], v3, off
	v_add_co_u32 v1, vcc_lo, 0x400, v1
	v_add_co_ci_u32_e32 v2, vcc_lo, 0, v2, vcc_lo
	s_and_not1_b32 exec_lo, exec_lo, s2
	s_cbranch_execnz .LBB105_3
.LBB105_4:
	s_nop 0
	s_sendmsg sendmsg(MSG_DEALLOC_VGPRS)
	s_endpgm
	.section	.rodata,"a",@progbits
	.p2align	6, 0x0
	.amdhsa_kernel _ZN4vllm3moe24applySharedExpertSigmoidIfLi256EEEvPKT_Pfiiiii
		.amdhsa_group_segment_fixed_size 0
		.amdhsa_private_segment_fixed_size 0
		.amdhsa_kernarg_size 36
		.amdhsa_user_sgpr_count 15
		.amdhsa_user_sgpr_dispatch_ptr 0
		.amdhsa_user_sgpr_queue_ptr 0
		.amdhsa_user_sgpr_kernarg_segment_ptr 1
		.amdhsa_user_sgpr_dispatch_id 0
		.amdhsa_user_sgpr_private_segment_size 0
		.amdhsa_wavefront_size32 1
		.amdhsa_uses_dynamic_stack 0
		.amdhsa_enable_private_segment 0
		.amdhsa_system_sgpr_workgroup_id_x 1
		.amdhsa_system_sgpr_workgroup_id_y 0
		.amdhsa_system_sgpr_workgroup_id_z 0
		.amdhsa_system_sgpr_workgroup_info 0
		.amdhsa_system_vgpr_workitem_id 0
		.amdhsa_next_free_vgpr 9
		.amdhsa_next_free_sgpr 16
		.amdhsa_reserve_vcc 1
		.amdhsa_float_round_mode_32 0
		.amdhsa_float_round_mode_16_64 0
		.amdhsa_float_denorm_mode_32 3
		.amdhsa_float_denorm_mode_16_64 3
		.amdhsa_dx10_clamp 1
		.amdhsa_ieee_mode 1
		.amdhsa_fp16_overflow 0
		.amdhsa_workgroup_processor_mode 1
		.amdhsa_memory_ordered 1
		.amdhsa_forward_progress 0
		.amdhsa_shared_vgpr_count 0
		.amdhsa_exception_fp_ieee_invalid_op 0
		.amdhsa_exception_fp_denorm_src 0
		.amdhsa_exception_fp_ieee_div_zero 0
		.amdhsa_exception_fp_ieee_overflow 0
		.amdhsa_exception_fp_ieee_underflow 0
		.amdhsa_exception_fp_ieee_inexact 0
		.amdhsa_exception_int_div_zero 0
	.end_amdhsa_kernel
	.section	.text._ZN4vllm3moe24applySharedExpertSigmoidIfLi256EEEvPKT_Pfiiiii,"axG",@progbits,_ZN4vllm3moe24applySharedExpertSigmoidIfLi256EEEvPKT_Pfiiiii,comdat
.Lfunc_end105:
	.size	_ZN4vllm3moe24applySharedExpertSigmoidIfLi256EEEvPKT_Pfiiiii, .Lfunc_end105-_ZN4vllm3moe24applySharedExpertSigmoidIfLi256EEEvPKT_Pfiiiii
                                        ; -- End function
	.section	.AMDGPU.csdata,"",@progbits
; Kernel info:
; codeLenInByte = 424
; NumSgprs: 18
; NumVgprs: 9
; ScratchSize: 0
; MemoryBound: 0
; FloatMode: 240
; IeeeMode: 1
; LDSByteSize: 0 bytes/workgroup (compile time only)
; SGPRBlocks: 2
; VGPRBlocks: 1
; NumSGPRsForWavesPerEU: 18
; NumVGPRsForWavesPerEU: 9
; Occupancy: 16
; WaveLimiterHint : 0
; COMPUTE_PGM_RSRC2:SCRATCH_EN: 0
; COMPUTE_PGM_RSRC2:USER_SGPR: 15
; COMPUTE_PGM_RSRC2:TRAP_HANDLER: 0
; COMPUTE_PGM_RSRC2:TGID_X_EN: 1
; COMPUTE_PGM_RSRC2:TGID_Y_EN: 0
; COMPUTE_PGM_RSRC2:TGID_Z_EN: 0
; COMPUTE_PGM_RSRC2:TIDIG_COMP_CNT: 0
	.section	.text._ZN4vllm3moe17topkGatingSoftmaxIDF16_Li1ELi1ELi8ELi2ELb1ELi0ELNS0_23SharedExpertScoringFuncE0EEEvPKT_PKbPfiPiS9_iiiiii,"axG",@progbits,_ZN4vllm3moe17topkGatingSoftmaxIDF16_Li1ELi1ELi8ELi2ELb1ELi0ELNS0_23SharedExpertScoringFuncE0EEEvPKT_PKbPfiPiS9_iiiiii,comdat
	.protected	_ZN4vllm3moe17topkGatingSoftmaxIDF16_Li1ELi1ELi8ELi2ELb1ELi0ELNS0_23SharedExpertScoringFuncE0EEEvPKT_PKbPfiPiS9_iiiiii ; -- Begin function _ZN4vllm3moe17topkGatingSoftmaxIDF16_Li1ELi1ELi8ELi2ELb1ELi0ELNS0_23SharedExpertScoringFuncE0EEEvPKT_PKbPfiPiS9_iiiiii
	.globl	_ZN4vllm3moe17topkGatingSoftmaxIDF16_Li1ELi1ELi8ELi2ELb1ELi0ELNS0_23SharedExpertScoringFuncE0EEEvPKT_PKbPfiPiS9_iiiiii
	.p2align	8
	.type	_ZN4vllm3moe17topkGatingSoftmaxIDF16_Li1ELi1ELi8ELi2ELb1ELi0ELNS0_23SharedExpertScoringFuncE0EEEvPKT_PKbPfiPiS9_iiiiii,@function
_ZN4vllm3moe17topkGatingSoftmaxIDF16_Li1ELi1ELi8ELi2ELb1ELi0ELNS0_23SharedExpertScoringFuncE0EEEvPKT_PKbPfiPiS9_iiiiii: ; @_ZN4vllm3moe17topkGatingSoftmaxIDF16_Li1ELi1ELi8ELi2ELb1ELi0ELNS0_23SharedExpertScoringFuncE0EEEvPKT_PKbPfiPiS9_iiiiii
; %bb.0:
	s_load_b32 s14, s[0:1], 0x18
	v_bfe_u32 v1, v0, 10, 10
	v_and_b32_e32 v8, 0x3ff, v0
	s_lshl_b32 s15, s15, 8
	s_mov_b32 s2, exec_lo
	s_delay_alu instid0(VALU_DEP_2) | instskip(NEXT) | instid1(VALU_DEP_1)
	v_lshlrev_b32_e32 v7, 5, v1
	v_add3_u32 v6, v7, v8, s15
	s_waitcnt lgkmcnt(0)
	s_delay_alu instid0(VALU_DEP_1)
	v_cmpx_gt_i32_e64 s14, v6
	s_cbranch_execz .LBB106_13
; %bb.1:
	s_clause 0x1
	s_load_b128 s[8:11], s[0:1], 0x0
	s_load_b64 s[12:13], s[0:1], 0x10
	s_waitcnt lgkmcnt(0)
	s_cmp_eq_u64 s[10:11], 0
	s_cbranch_scc1 .LBB106_3
; %bb.2:
	v_ashrrev_i32_e32 v1, 31, v6
	v_add_co_u32 v0, vcc_lo, s10, v6
	s_delay_alu instid0(VALU_DEP_2) | instskip(SKIP_3) | instid1(VALU_DEP_1)
	v_add_co_ci_u32_e32 v1, vcc_lo, s11, v1, vcc_lo
	global_load_u8 v0, v[0:1], off
	s_waitcnt vmcnt(0)
	v_and_b32_e32 v0, 1, v0
	v_cmp_eq_u32_e32 vcc_lo, 1, v0
	s_xor_b32 s2, vcc_lo, -1
	s_delay_alu instid0(SALU_CYCLE_1)
	s_or_not1_b32 s11, s2, exec_lo
	s_branch .LBB106_4
.LBB106_3:
	s_mov_b32 s11, -1
.LBB106_4:
	s_load_b128 s[4:7], s[0:1], 0x30
	s_waitcnt lgkmcnt(0)
	s_cmp_gt_i32 s4, 0
	s_cselect_b32 s10, -1, 0
	s_cmp_lt_i32 s4, 1
	s_cbranch_scc1 .LBB106_9
; %bb.5:
	s_clause 0x1
	s_load_b64 s[16:17], s[0:1], 0x40
	s_load_b128 s[0:3], s[0:1], 0x20
	v_mul_lo_u32 v2, v6, s4
	s_cmp_lt_i32 s5, 1
	s_waitcnt lgkmcnt(0)
	v_mul_lo_u32 v0, v6, s17
	v_mul_lo_u32 v12, v6, s16
	s_delay_alu instid0(VALU_DEP_2) | instskip(NEXT) | instid1(VALU_DEP_2)
	v_ashrrev_i32_e32 v1, 31, v0
	v_ashrrev_i32_e32 v13, 31, v12
	s_delay_alu instid0(VALU_DEP_2) | instskip(NEXT) | instid1(VALU_DEP_1)
	v_lshlrev_b64 v[0:1], 1, v[0:1]
	v_add_co_u32 v0, vcc_lo, s8, v0
	s_delay_alu instid0(VALU_DEP_2)
	v_add_co_ci_u32_e32 v1, vcc_lo, s9, v1, vcc_lo
	s_cselect_b32 s8, -1, 0
	s_cmp_gt_i32 s6, 0
	s_cselect_b32 s6, -1, 0
	global_load_u16 v0, v[0:1], off
	s_and_b32 s6, s8, s6
	s_sub_i32 s5, 0, s5
	s_and_b32 s6, s11, s6
	s_cmp_eq_u32 s4, 1
	v_cndmask_b32_e64 v10, 1, s5, s6
	s_waitcnt vmcnt(0)
	v_cvt_f32_f16_e32 v11, v0
	v_mul_lo_u32 v0, v6, s7
	s_delay_alu instid0(VALU_DEP_2) | instskip(NEXT) | instid1(VALU_DEP_1)
	v_sub_f32_e32 v9, v11, v11
	v_mul_f32_e32 v1, 0x3fb8aa3b, v9
	s_delay_alu instid0(VALU_DEP_1) | instskip(SKIP_1) | instid1(VALU_DEP_2)
	v_fma_f32 v3, 0x3fb8aa3b, v9, -v1
	v_rndne_f32_e32 v4, v1
	v_fmac_f32_e32 v3, 0x32a5705f, v9
	s_delay_alu instid0(VALU_DEP_2) | instskip(SKIP_1) | instid1(VALU_DEP_2)
	v_sub_f32_e32 v1, v1, v4
	v_cvt_i32_f32_e32 v15, v4
	v_add_f32_e32 v3, v1, v3
	v_ashrrev_i32_e32 v1, 31, v0
	s_delay_alu instid0(VALU_DEP_2) | instskip(NEXT) | instid1(VALU_DEP_1)
	v_exp_f32_e32 v14, v3
	v_lshlrev_b64 v[0:1], 2, v[0:1]
	v_ashrrev_i32_e32 v3, 31, v2
	s_delay_alu instid0(VALU_DEP_1) | instskip(NEXT) | instid1(VALU_DEP_3)
	v_lshlrev_b64 v[4:5], 2, v[2:3]
	v_add_co_u32 v0, vcc_lo, s12, v0
	v_lshlrev_b64 v[2:3], 2, v[12:13]
	v_add_co_ci_u32_e32 v1, vcc_lo, s13, v1, vcc_lo
	s_delay_alu instid0(TRANS32_DEP_1) | instskip(SKIP_1) | instid1(VALU_DEP_2)
	v_ldexp_f32 v12, v14, v15
	v_cmp_ngt_f32_e32 vcc_lo, 0xc2ce8ed0, v9
	v_cndmask_b32_e32 v14, 0, v12, vcc_lo
	v_add_co_u32 v12, vcc_lo, s0, v2
	v_add_co_ci_u32_e32 v13, vcc_lo, s1, v3, vcc_lo
	v_cmp_nlt_f32_e32 vcc_lo, 0x42b17218, v9
	s_delay_alu instid0(VALU_DEP_4)
	v_cndmask_b32_e32 v9, 0x7f800000, v14, vcc_lo
	v_add_co_u32 v14, vcc_lo, s2, v4
	v_add_co_ci_u32_e32 v15, vcc_lo, s3, v5, vcc_lo
	global_store_b32 v[12:13], v10, off
	global_store_b32 v[0:1], v9, off
	;; [unrolled: 1-line block ×3, first 2 shown]
	s_cbranch_scc1 .LBB106_8
; %bb.6:
	v_sub_f32_e32 v11, 0xff800000, v11
	v_add_co_u32 v4, vcc_lo, v4, s2
	v_add_co_ci_u32_e32 v5, vcc_lo, s3, v5, vcc_lo
	s_delay_alu instid0(VALU_DEP_3) | instskip(SKIP_1) | instid1(SALU_CYCLE_1)
	v_mul_f32_e32 v12, 0x3fb8aa3b, v11
	s_add_i32 s15, s15, s14
	v_add3_u32 v7, s15, v8, v7
	s_delay_alu instid0(VALU_DEP_2) | instskip(SKIP_1) | instid1(VALU_DEP_1)
	v_fma_f32 v13, 0x3fb8aa3b, v11, -v12
	v_rndne_f32_e32 v14, v12
	v_dual_sub_f32 v12, v12, v14 :: v_dual_fmac_f32 v13, 0x32a5705f, v11
	s_delay_alu instid0(VALU_DEP_1) | instskip(SKIP_3) | instid1(VALU_DEP_4)
	v_add_f32_e32 v12, v12, v13
	v_add_co_u32 v13, vcc_lo, v2, s0
	v_cvt_i32_f32_e32 v2, v14
	v_add_co_ci_u32_e32 v15, vcc_lo, s1, v3, vcc_lo
	v_exp_f32_e32 v12, v12
	v_add_co_u32 v0, vcc_lo, v0, 4
	v_add_co_ci_u32_e32 v1, vcc_lo, 0, v1, vcc_lo
	s_add_i32 s0, s4, -1
	s_waitcnt_depctr 0xfff
	v_ldexp_f32 v12, v12, v2
	v_add_co_u32 v2, vcc_lo, v4, 4
	v_add_co_ci_u32_e32 v3, vcc_lo, 0, v5, vcc_lo
	v_cmp_ngt_f32_e32 vcc_lo, 0xc2ce8ed0, v11
	s_delay_alu instid0(VALU_DEP_4) | instskip(SKIP_3) | instid1(VALU_DEP_4)
	v_cndmask_b32_e32 v12, 0, v12, vcc_lo
	v_add_co_u32 v4, vcc_lo, v13, 4
	v_add_co_ci_u32_e32 v5, vcc_lo, 0, v15, vcc_lo
	v_cmp_nlt_f32_e32 vcc_lo, 0x42b17218, v11
	v_cndmask_b32_e32 v11, 0x7f800000, v12, vcc_lo
	.p2align	6
.LBB106_7:                              ; =>This Inner Loop Header: Depth=1
	global_store_b32 v[0:1], v11, off
	global_store_b32 v[4:5], v10, off
	;; [unrolled: 1-line block ×3, first 2 shown]
	v_add_co_u32 v2, vcc_lo, v2, 4
	v_add_co_ci_u32_e32 v3, vcc_lo, 0, v3, vcc_lo
	v_add_co_u32 v4, vcc_lo, v4, 4
	v_add_co_ci_u32_e32 v5, vcc_lo, 0, v5, vcc_lo
	v_add_co_u32 v0, vcc_lo, v0, 4
	v_add_f32_e32 v9, v9, v11
	v_add_co_ci_u32_e32 v1, vcc_lo, 0, v1, vcc_lo
	v_add_nc_u32_e32 v7, s14, v7
	s_add_i32 s0, s0, -1
	s_delay_alu instid0(SALU_CYCLE_1)
	s_cmp_eq_u32 s0, 0
	s_cbranch_scc0 .LBB106_7
.LBB106_8:
	v_cmp_neq_f32_e32 vcc_lo, 0, v9
	s_and_b32 exec_lo, exec_lo, vcc_lo
	s_cbranch_execnz .LBB106_10
	s_branch .LBB106_13
.LBB106_9:
	v_mov_b32_e32 v9, 0
	s_delay_alu instid0(VALU_DEP_1)
	v_cmp_neq_f32_e32 vcc_lo, 0, v9
	s_and_b32 exec_lo, exec_lo, vcc_lo
	s_cbranch_execz .LBB106_13
.LBB106_10:
	s_and_not1_b32 vcc_lo, exec_lo, s10
	s_cbranch_vccnz .LBB106_13
; %bb.11:
	v_div_scale_f32 v1, null, v9, v9, 1.0
	v_div_scale_f32 v3, vcc_lo, 1.0, v9, 1.0
	s_delay_alu instid0(VALU_DEP_2) | instskip(SKIP_2) | instid1(VALU_DEP_1)
	v_rcp_f32_e32 v2, v1
	s_waitcnt_depctr 0xfff
	v_fma_f32 v0, -v1, v2, 1.0
	v_fmac_f32_e32 v2, v0, v2
	v_mul_lo_u32 v0, v6, s7
	s_delay_alu instid0(VALU_DEP_2) | instskip(NEXT) | instid1(VALU_DEP_1)
	v_mul_f32_e32 v4, v3, v2
	v_fma_f32 v5, -v1, v4, v3
	s_delay_alu instid0(VALU_DEP_1) | instskip(NEXT) | instid1(VALU_DEP_1)
	v_fmac_f32_e32 v4, v5, v2
	v_fma_f32 v3, -v1, v4, v3
	v_ashrrev_i32_e32 v1, 31, v0
	s_delay_alu instid0(VALU_DEP_2) | instskip(NEXT) | instid1(VALU_DEP_2)
	v_div_fmas_f32 v2, v3, v2, v4
	v_lshlrev_b64 v[0:1], 2, v[0:1]
	s_delay_alu instid0(VALU_DEP_2) | instskip(NEXT) | instid1(VALU_DEP_2)
	v_div_fixup_f32 v2, v2, v9, 1.0
	v_add_co_u32 v0, vcc_lo, s12, v0
	s_delay_alu instid0(VALU_DEP_3)
	v_add_co_ci_u32_e32 v1, vcc_lo, s13, v1, vcc_lo
.LBB106_12:                             ; =>This Inner Loop Header: Depth=1
	global_load_b32 v3, v[0:1], off
	s_add_i32 s4, s4, -1
	s_delay_alu instid0(SALU_CYCLE_1)
	s_cmp_lg_u32 s4, 0
	s_waitcnt vmcnt(0)
	v_mul_f32_e32 v3, v2, v3
	global_store_b32 v[0:1], v3, off
	v_add_co_u32 v0, vcc_lo, v0, 4
	v_add_co_ci_u32_e32 v1, vcc_lo, 0, v1, vcc_lo
	s_cbranch_scc1 .LBB106_12
.LBB106_13:
	s_nop 0
	s_sendmsg sendmsg(MSG_DEALLOC_VGPRS)
	s_endpgm
	.section	.rodata,"a",@progbits
	.p2align	6, 0x0
	.amdhsa_kernel _ZN4vllm3moe17topkGatingSoftmaxIDF16_Li1ELi1ELi8ELi2ELb1ELi0ELNS0_23SharedExpertScoringFuncE0EEEvPKT_PKbPfiPiS9_iiiiii
		.amdhsa_group_segment_fixed_size 0
		.amdhsa_private_segment_fixed_size 0
		.amdhsa_kernarg_size 72
		.amdhsa_user_sgpr_count 15
		.amdhsa_user_sgpr_dispatch_ptr 0
		.amdhsa_user_sgpr_queue_ptr 0
		.amdhsa_user_sgpr_kernarg_segment_ptr 1
		.amdhsa_user_sgpr_dispatch_id 0
		.amdhsa_user_sgpr_private_segment_size 0
		.amdhsa_wavefront_size32 1
		.amdhsa_uses_dynamic_stack 0
		.amdhsa_enable_private_segment 0
		.amdhsa_system_sgpr_workgroup_id_x 1
		.amdhsa_system_sgpr_workgroup_id_y 0
		.amdhsa_system_sgpr_workgroup_id_z 0
		.amdhsa_system_sgpr_workgroup_info 0
		.amdhsa_system_vgpr_workitem_id 1
		.amdhsa_next_free_vgpr 16
		.amdhsa_next_free_sgpr 18
		.amdhsa_reserve_vcc 1
		.amdhsa_float_round_mode_32 0
		.amdhsa_float_round_mode_16_64 0
		.amdhsa_float_denorm_mode_32 3
		.amdhsa_float_denorm_mode_16_64 3
		.amdhsa_dx10_clamp 1
		.amdhsa_ieee_mode 1
		.amdhsa_fp16_overflow 0
		.amdhsa_workgroup_processor_mode 1
		.amdhsa_memory_ordered 1
		.amdhsa_forward_progress 0
		.amdhsa_shared_vgpr_count 0
		.amdhsa_exception_fp_ieee_invalid_op 0
		.amdhsa_exception_fp_denorm_src 0
		.amdhsa_exception_fp_ieee_div_zero 0
		.amdhsa_exception_fp_ieee_overflow 0
		.amdhsa_exception_fp_ieee_underflow 0
		.amdhsa_exception_fp_ieee_inexact 0
		.amdhsa_exception_int_div_zero 0
	.end_amdhsa_kernel
	.section	.text._ZN4vllm3moe17topkGatingSoftmaxIDF16_Li1ELi1ELi8ELi2ELb1ELi0ELNS0_23SharedExpertScoringFuncE0EEEvPKT_PKbPfiPiS9_iiiiii,"axG",@progbits,_ZN4vllm3moe17topkGatingSoftmaxIDF16_Li1ELi1ELi8ELi2ELb1ELi0ELNS0_23SharedExpertScoringFuncE0EEEvPKT_PKbPfiPiS9_iiiiii,comdat
.Lfunc_end106:
	.size	_ZN4vllm3moe17topkGatingSoftmaxIDF16_Li1ELi1ELi8ELi2ELb1ELi0ELNS0_23SharedExpertScoringFuncE0EEEvPKT_PKbPfiPiS9_iiiiii, .Lfunc_end106-_ZN4vllm3moe17topkGatingSoftmaxIDF16_Li1ELi1ELi8ELi2ELb1ELi0ELNS0_23SharedExpertScoringFuncE0EEEvPKT_PKbPfiPiS9_iiiiii
                                        ; -- End function
	.section	.AMDGPU.csdata,"",@progbits
; Kernel info:
; codeLenInByte = 1064
; NumSgprs: 20
; NumVgprs: 16
; ScratchSize: 0
; MemoryBound: 0
; FloatMode: 240
; IeeeMode: 1
; LDSByteSize: 0 bytes/workgroup (compile time only)
; SGPRBlocks: 2
; VGPRBlocks: 1
; NumSGPRsForWavesPerEU: 20
; NumVGPRsForWavesPerEU: 16
; Occupancy: 16
; WaveLimiterHint : 0
; COMPUTE_PGM_RSRC2:SCRATCH_EN: 0
; COMPUTE_PGM_RSRC2:USER_SGPR: 15
; COMPUTE_PGM_RSRC2:TRAP_HANDLER: 0
; COMPUTE_PGM_RSRC2:TGID_X_EN: 1
; COMPUTE_PGM_RSRC2:TGID_Y_EN: 0
; COMPUTE_PGM_RSRC2:TGID_Z_EN: 0
; COMPUTE_PGM_RSRC2:TIDIG_COMP_CNT: 1
	.section	.text._ZN4vllm3moe17topkGatingSoftmaxIDF16_Li1ELi1ELi8ELi2ELb0ELi0ELNS0_23SharedExpertScoringFuncE0EEEvPKT_PKbPfiPiS9_iiiiii,"axG",@progbits,_ZN4vllm3moe17topkGatingSoftmaxIDF16_Li1ELi1ELi8ELi2ELb0ELi0ELNS0_23SharedExpertScoringFuncE0EEEvPKT_PKbPfiPiS9_iiiiii,comdat
	.protected	_ZN4vllm3moe17topkGatingSoftmaxIDF16_Li1ELi1ELi8ELi2ELb0ELi0ELNS0_23SharedExpertScoringFuncE0EEEvPKT_PKbPfiPiS9_iiiiii ; -- Begin function _ZN4vllm3moe17topkGatingSoftmaxIDF16_Li1ELi1ELi8ELi2ELb0ELi0ELNS0_23SharedExpertScoringFuncE0EEEvPKT_PKbPfiPiS9_iiiiii
	.globl	_ZN4vllm3moe17topkGatingSoftmaxIDF16_Li1ELi1ELi8ELi2ELb0ELi0ELNS0_23SharedExpertScoringFuncE0EEEvPKT_PKbPfiPiS9_iiiiii
	.p2align	8
	.type	_ZN4vllm3moe17topkGatingSoftmaxIDF16_Li1ELi1ELi8ELi2ELb0ELi0ELNS0_23SharedExpertScoringFuncE0EEEvPKT_PKbPfiPiS9_iiiiii,@function
_ZN4vllm3moe17topkGatingSoftmaxIDF16_Li1ELi1ELi8ELi2ELb0ELi0ELNS0_23SharedExpertScoringFuncE0EEEvPKT_PKbPfiPiS9_iiiiii: ; @_ZN4vllm3moe17topkGatingSoftmaxIDF16_Li1ELi1ELi8ELi2ELb0ELi0ELNS0_23SharedExpertScoringFuncE0EEEvPKT_PKbPfiPiS9_iiiiii
; %bb.0:
	s_load_b32 s10, s[0:1], 0x18
	v_bfe_u32 v1, v0, 10, 10
	v_and_b32_e32 v9, 0x3ff, v0
	s_lshl_b32 s12, s15, 8
	s_mov_b32 s2, exec_lo
	s_delay_alu instid0(VALU_DEP_2) | instskip(NEXT) | instid1(VALU_DEP_1)
	v_lshlrev_b32_e32 v8, 5, v1
	v_add3_u32 v6, v8, v9, s12
	s_waitcnt lgkmcnt(0)
	s_delay_alu instid0(VALU_DEP_1)
	v_cmpx_gt_i32_e64 s10, v6
	s_cbranch_execz .LBB107_14
; %bb.1:
	s_clause 0x1
	s_load_b128 s[4:7], s[0:1], 0x0
	s_load_b64 s[8:9], s[0:1], 0x10
	s_waitcnt lgkmcnt(0)
	s_cmp_eq_u64 s[6:7], 0
	s_cbranch_scc1 .LBB107_3
; %bb.2:
	v_ashrrev_i32_e32 v1, 31, v6
	v_add_co_u32 v0, vcc_lo, s6, v6
	s_delay_alu instid0(VALU_DEP_2) | instskip(SKIP_3) | instid1(VALU_DEP_1)
	v_add_co_ci_u32_e32 v1, vcc_lo, s7, v1, vcc_lo
	global_load_u8 v0, v[0:1], off
	s_waitcnt vmcnt(0)
	v_and_b32_e32 v0, 1, v0
	v_cmp_eq_u32_e32 vcc_lo, 1, v0
	s_xor_b32 s2, vcc_lo, -1
	s_delay_alu instid0(SALU_CYCLE_1)
	s_or_not1_b32 s13, s2, exec_lo
	s_branch .LBB107_4
.LBB107_3:
	s_mov_b32 s13, -1
.LBB107_4:
	s_load_b64 s[2:3], s[0:1], 0x40
	s_waitcnt lgkmcnt(0)
	v_mul_lo_u32 v0, v6, s3
	s_delay_alu instid0(VALU_DEP_1) | instskip(NEXT) | instid1(VALU_DEP_1)
	v_ashrrev_i32_e32 v1, 31, v0
	v_lshlrev_b64 v[0:1], 1, v[0:1]
	s_delay_alu instid0(VALU_DEP_1) | instskip(NEXT) | instid1(VALU_DEP_2)
	v_add_co_u32 v0, vcc_lo, s4, v0
	v_add_co_ci_u32_e32 v1, vcc_lo, s5, v1, vcc_lo
	s_load_b128 s[4:7], s[0:1], 0x30
	global_load_u16 v0, v[0:1], off
	s_waitcnt lgkmcnt(0)
	s_cmp_gt_i32 s4, 0
	s_cselect_b32 s11, -1, 0
	s_cmp_lt_i32 s4, 1
	s_waitcnt vmcnt(0)
	v_cvt_f32_f16_e32 v7, v0
	s_cbranch_scc1 .LBB107_9
; %bb.5:
	s_delay_alu instid0(VALU_DEP_1)
	v_sub_f32_e32 v10, v7, v7
	v_mul_lo_u32 v0, v6, s7
	v_mul_lo_u32 v2, v6, s2
	s_load_b128 s[0:3], s[0:1], 0x20
	v_mul_lo_u32 v4, v6, s4
	v_mul_f32_e32 v1, 0x3fb8aa3b, v10
	s_cmp_lt_i32 s5, 1
	s_cselect_b32 s14, -1, 0
	s_cmp_gt_i32 s6, 0
	s_delay_alu instid0(VALU_DEP_1) | instskip(SKIP_1) | instid1(VALU_DEP_4)
	v_rndne_f32_e32 v11, v1
	v_fma_f32 v3, 0x3fb8aa3b, v10, -v1
	v_ashrrev_i32_e32 v5, 31, v4
	s_cselect_b32 s6, -1, 0
	s_sub_i32 s5, 0, s5
	v_sub_f32_e32 v1, v1, v11
	v_fmac_f32_e32 v3, 0x32a5705f, v10
	v_cvt_i32_f32_e32 v13, v11
	v_lshlrev_b64 v[4:5], 2, v[4:5]
	s_and_b32 s6, s14, s6
	s_delay_alu instid0(VALU_DEP_3)
	v_add_f32_e32 v3, v1, v3
	v_ashrrev_i32_e32 v1, 31, v0
	s_and_b32 s6, s13, s6
	s_cmp_eq_u32 s4, 1
	v_cndmask_b32_e64 v11, 1, s5, s6
	v_exp_f32_e32 v12, v3
	v_lshlrev_b64 v[0:1], 2, v[0:1]
	v_ashrrev_i32_e32 v3, 31, v2
	s_delay_alu instid0(VALU_DEP_1) | instskip(NEXT) | instid1(VALU_DEP_3)
	v_lshlrev_b64 v[2:3], 2, v[2:3]
	v_add_co_u32 v0, vcc_lo, s8, v0
	s_delay_alu instid0(VALU_DEP_4) | instskip(SKIP_3) | instid1(VALU_DEP_2)
	v_add_co_ci_u32_e32 v1, vcc_lo, s9, v1, vcc_lo
	s_waitcnt_depctr 0xfff
	v_ldexp_f32 v12, v12, v13
	v_cmp_ngt_f32_e32 vcc_lo, 0xc2ce8ed0, v10
	v_cndmask_b32_e32 v14, 0, v12, vcc_lo
	s_waitcnt lgkmcnt(0)
	v_add_co_u32 v12, vcc_lo, s0, v2
	v_add_co_ci_u32_e32 v13, vcc_lo, s1, v3, vcc_lo
	v_cmp_nlt_f32_e32 vcc_lo, 0x42b17218, v10
	v_cndmask_b32_e32 v10, 0x7f800000, v14, vcc_lo
	v_add_co_u32 v14, vcc_lo, s2, v4
	v_add_co_ci_u32_e32 v15, vcc_lo, s3, v5, vcc_lo
	global_store_b32 v[12:13], v11, off
	global_store_b32 v[0:1], v10, off
	;; [unrolled: 1-line block ×3, first 2 shown]
	s_cbranch_scc1 .LBB107_8
; %bb.6:
	v_sub_f32_e32 v12, 0xff800000, v7
	v_add_co_u32 v4, vcc_lo, v4, s2
	v_add_co_ci_u32_e32 v5, vcc_lo, s3, v5, vcc_lo
	s_delay_alu instid0(VALU_DEP_3) | instskip(SKIP_1) | instid1(SALU_CYCLE_1)
	v_mul_f32_e32 v13, 0x3fb8aa3b, v12
	s_add_i32 s12, s12, s10
	v_add3_u32 v8, s12, v9, v8
	s_delay_alu instid0(VALU_DEP_2) | instskip(SKIP_1) | instid1(VALU_DEP_1)
	v_fma_f32 v14, 0x3fb8aa3b, v12, -v13
	v_rndne_f32_e32 v15, v13
	v_dual_fmac_f32 v14, 0x32a5705f, v12 :: v_dual_sub_f32 v13, v13, v15
	s_delay_alu instid0(VALU_DEP_1) | instskip(SKIP_3) | instid1(VALU_DEP_4)
	v_add_f32_e32 v13, v13, v14
	v_add_co_u32 v14, vcc_lo, v2, s0
	v_cvt_i32_f32_e32 v2, v15
	v_add_co_ci_u32_e32 v16, vcc_lo, s1, v3, vcc_lo
	v_exp_f32_e32 v13, v13
	v_add_co_u32 v0, vcc_lo, v0, 4
	v_add_co_ci_u32_e32 v1, vcc_lo, 0, v1, vcc_lo
	s_add_i32 s0, s4, -1
	s_waitcnt_depctr 0xfff
	v_ldexp_f32 v13, v13, v2
	v_add_co_u32 v2, vcc_lo, v4, 4
	v_add_co_ci_u32_e32 v3, vcc_lo, 0, v5, vcc_lo
	v_cmp_ngt_f32_e32 vcc_lo, 0xc2ce8ed0, v12
	s_delay_alu instid0(VALU_DEP_4) | instskip(SKIP_3) | instid1(VALU_DEP_4)
	v_cndmask_b32_e32 v13, 0, v13, vcc_lo
	v_add_co_u32 v4, vcc_lo, v14, 4
	v_add_co_ci_u32_e32 v5, vcc_lo, 0, v16, vcc_lo
	v_cmp_nlt_f32_e32 vcc_lo, 0x42b17218, v12
	v_cndmask_b32_e32 v12, 0x7f800000, v13, vcc_lo
	.p2align	6
.LBB107_7:                              ; =>This Inner Loop Header: Depth=1
	global_store_b32 v[0:1], v12, off
	global_store_b32 v[4:5], v11, off
	;; [unrolled: 1-line block ×3, first 2 shown]
	v_add_co_u32 v2, vcc_lo, v2, 4
	v_add_co_ci_u32_e32 v3, vcc_lo, 0, v3, vcc_lo
	v_add_co_u32 v4, vcc_lo, v4, 4
	v_add_co_ci_u32_e32 v5, vcc_lo, 0, v5, vcc_lo
	v_add_co_u32 v0, vcc_lo, v0, 4
	v_add_f32_e32 v10, v10, v12
	v_add_co_ci_u32_e32 v1, vcc_lo, 0, v1, vcc_lo
	v_add_nc_u32_e32 v8, s10, v8
	s_add_i32 s0, s0, -1
	s_delay_alu instid0(SALU_CYCLE_1)
	s_cmp_eq_u32 s0, 0
	s_cbranch_scc0 .LBB107_7
.LBB107_8:
	v_mov_b32_e32 v0, 0xff800000
	s_branch .LBB107_10
.LBB107_9:
	v_mov_b32_e32 v10, 0
	s_delay_alu instid0(VALU_DEP_2)
	v_mov_b32_e32 v0, v7
.LBB107_10:
	s_delay_alu instid0(VALU_DEP_1) | instskip(NEXT) | instid1(VALU_DEP_1)
	v_sub_f32_e32 v0, v0, v7
	v_mul_f32_e32 v1, 0x3fb8aa3b, v0
	s_delay_alu instid0(VALU_DEP_1) | instskip(SKIP_1) | instid1(VALU_DEP_1)
	v_fma_f32 v2, 0x3fb8aa3b, v0, -v1
	v_rndne_f32_e32 v3, v1
	v_dual_fmamk_f32 v2, v0, 0x32a5705f, v2 :: v_dual_sub_f32 v1, v1, v3
	s_delay_alu instid0(VALU_DEP_1) | instskip(SKIP_2) | instid1(VALU_DEP_3)
	v_add_f32_e32 v1, v1, v2
	v_cvt_i32_f32_e32 v2, v3
	v_cmp_ngt_f32_e32 vcc_lo, 0xc2ce8ed0, v0
	v_exp_f32_e32 v1, v1
	s_waitcnt_depctr 0xfff
	v_ldexp_f32 v1, v1, v2
	s_delay_alu instid0(VALU_DEP_1) | instskip(SKIP_1) | instid1(VALU_DEP_2)
	v_cndmask_b32_e32 v1, 0, v1, vcc_lo
	v_cmp_nlt_f32_e32 vcc_lo, 0x42b17218, v0
	v_cndmask_b32_e32 v0, 0x7f800000, v1, vcc_lo
	s_delay_alu instid0(VALU_DEP_1) | instskip(NEXT) | instid1(VALU_DEP_1)
	v_add_f32_e32 v0, v10, v0
	v_cmp_neq_f32_e32 vcc_lo, 0, v0
	s_and_b32 exec_lo, exec_lo, vcc_lo
	s_cbranch_execz .LBB107_14
; %bb.11:
	s_and_not1_b32 vcc_lo, exec_lo, s11
	s_cbranch_vccnz .LBB107_14
; %bb.12:
	v_div_scale_f32 v2, null, v0, v0, 1.0
	v_div_scale_f32 v4, vcc_lo, 1.0, v0, 1.0
	s_delay_alu instid0(VALU_DEP_2) | instskip(SKIP_2) | instid1(VALU_DEP_1)
	v_rcp_f32_e32 v3, v2
	s_waitcnt_depctr 0xfff
	v_fma_f32 v1, -v2, v3, 1.0
	v_fmac_f32_e32 v3, v1, v3
	v_mul_lo_u32 v1, v6, s7
	s_delay_alu instid0(VALU_DEP_2) | instskip(NEXT) | instid1(VALU_DEP_1)
	v_mul_f32_e32 v5, v4, v3
	v_fma_f32 v7, -v2, v5, v4
	s_delay_alu instid0(VALU_DEP_1) | instskip(NEXT) | instid1(VALU_DEP_1)
	v_fmac_f32_e32 v5, v7, v3
	v_fma_f32 v4, -v2, v5, v4
	v_ashrrev_i32_e32 v2, 31, v1
	s_delay_alu instid0(VALU_DEP_2) | instskip(NEXT) | instid1(VALU_DEP_2)
	v_div_fmas_f32 v5, v4, v3, v5
	v_lshlrev_b64 v[3:4], 2, v[1:2]
	s_delay_alu instid0(VALU_DEP_2) | instskip(NEXT) | instid1(VALU_DEP_2)
	v_div_fixup_f32 v2, v5, v0, 1.0
	v_add_co_u32 v0, vcc_lo, s8, v3
	s_delay_alu instid0(VALU_DEP_3)
	v_add_co_ci_u32_e32 v1, vcc_lo, s9, v4, vcc_lo
.LBB107_13:                             ; =>This Inner Loop Header: Depth=1
	global_load_b32 v3, v[0:1], off
	s_add_i32 s4, s4, -1
	s_delay_alu instid0(SALU_CYCLE_1)
	s_cmp_lg_u32 s4, 0
	s_waitcnt vmcnt(0)
	v_mul_f32_e32 v3, v2, v3
	global_store_b32 v[0:1], v3, off
	v_add_co_u32 v0, vcc_lo, v0, 4
	v_add_co_ci_u32_e32 v1, vcc_lo, 0, v1, vcc_lo
	s_cbranch_scc1 .LBB107_13
.LBB107_14:
	s_nop 0
	s_sendmsg sendmsg(MSG_DEALLOC_VGPRS)
	s_endpgm
	.section	.rodata,"a",@progbits
	.p2align	6, 0x0
	.amdhsa_kernel _ZN4vllm3moe17topkGatingSoftmaxIDF16_Li1ELi1ELi8ELi2ELb0ELi0ELNS0_23SharedExpertScoringFuncE0EEEvPKT_PKbPfiPiS9_iiiiii
		.amdhsa_group_segment_fixed_size 0
		.amdhsa_private_segment_fixed_size 0
		.amdhsa_kernarg_size 72
		.amdhsa_user_sgpr_count 15
		.amdhsa_user_sgpr_dispatch_ptr 0
		.amdhsa_user_sgpr_queue_ptr 0
		.amdhsa_user_sgpr_kernarg_segment_ptr 1
		.amdhsa_user_sgpr_dispatch_id 0
		.amdhsa_user_sgpr_private_segment_size 0
		.amdhsa_wavefront_size32 1
		.amdhsa_uses_dynamic_stack 0
		.amdhsa_enable_private_segment 0
		.amdhsa_system_sgpr_workgroup_id_x 1
		.amdhsa_system_sgpr_workgroup_id_y 0
		.amdhsa_system_sgpr_workgroup_id_z 0
		.amdhsa_system_sgpr_workgroup_info 0
		.amdhsa_system_vgpr_workitem_id 1
		.amdhsa_next_free_vgpr 17
		.amdhsa_next_free_sgpr 16
		.amdhsa_reserve_vcc 1
		.amdhsa_float_round_mode_32 0
		.amdhsa_float_round_mode_16_64 0
		.amdhsa_float_denorm_mode_32 3
		.amdhsa_float_denorm_mode_16_64 3
		.amdhsa_dx10_clamp 1
		.amdhsa_ieee_mode 1
		.amdhsa_fp16_overflow 0
		.amdhsa_workgroup_processor_mode 1
		.amdhsa_memory_ordered 1
		.amdhsa_forward_progress 0
		.amdhsa_shared_vgpr_count 0
		.amdhsa_exception_fp_ieee_invalid_op 0
		.amdhsa_exception_fp_denorm_src 0
		.amdhsa_exception_fp_ieee_div_zero 0
		.amdhsa_exception_fp_ieee_overflow 0
		.amdhsa_exception_fp_ieee_underflow 0
		.amdhsa_exception_fp_ieee_inexact 0
		.amdhsa_exception_int_div_zero 0
	.end_amdhsa_kernel
	.section	.text._ZN4vllm3moe17topkGatingSoftmaxIDF16_Li1ELi1ELi8ELi2ELb0ELi0ELNS0_23SharedExpertScoringFuncE0EEEvPKT_PKbPfiPiS9_iiiiii,"axG",@progbits,_ZN4vllm3moe17topkGatingSoftmaxIDF16_Li1ELi1ELi8ELi2ELb0ELi0ELNS0_23SharedExpertScoringFuncE0EEEvPKT_PKbPfiPiS9_iiiiii,comdat
.Lfunc_end107:
	.size	_ZN4vllm3moe17topkGatingSoftmaxIDF16_Li1ELi1ELi8ELi2ELb0ELi0ELNS0_23SharedExpertScoringFuncE0EEEvPKT_PKbPfiPiS9_iiiiii, .Lfunc_end107-_ZN4vllm3moe17topkGatingSoftmaxIDF16_Li1ELi1ELi8ELi2ELb0ELi0ELNS0_23SharedExpertScoringFuncE0EEEvPKT_PKbPfiPiS9_iiiiii
                                        ; -- End function
	.section	.AMDGPU.csdata,"",@progbits
; Kernel info:
; codeLenInByte = 1172
; NumSgprs: 18
; NumVgprs: 17
; ScratchSize: 0
; MemoryBound: 0
; FloatMode: 240
; IeeeMode: 1
; LDSByteSize: 0 bytes/workgroup (compile time only)
; SGPRBlocks: 2
; VGPRBlocks: 2
; NumSGPRsForWavesPerEU: 18
; NumVGPRsForWavesPerEU: 17
; Occupancy: 16
; WaveLimiterHint : 0
; COMPUTE_PGM_RSRC2:SCRATCH_EN: 0
; COMPUTE_PGM_RSRC2:USER_SGPR: 15
; COMPUTE_PGM_RSRC2:TRAP_HANDLER: 0
; COMPUTE_PGM_RSRC2:TGID_X_EN: 1
; COMPUTE_PGM_RSRC2:TGID_Y_EN: 0
; COMPUTE_PGM_RSRC2:TGID_Z_EN: 0
; COMPUTE_PGM_RSRC2:TIDIG_COMP_CNT: 1
	.section	.text._ZN4vllm3moe17topkGatingSoftmaxIDF16_Li1ELi1ELi8ELi2ELb1ELi1ELNS0_23SharedExpertScoringFuncE1EEEvPKT_PKbPfiPiS9_iiiiii,"axG",@progbits,_ZN4vllm3moe17topkGatingSoftmaxIDF16_Li1ELi1ELi8ELi2ELb1ELi1ELNS0_23SharedExpertScoringFuncE1EEEvPKT_PKbPfiPiS9_iiiiii,comdat
	.protected	_ZN4vllm3moe17topkGatingSoftmaxIDF16_Li1ELi1ELi8ELi2ELb1ELi1ELNS0_23SharedExpertScoringFuncE1EEEvPKT_PKbPfiPiS9_iiiiii ; -- Begin function _ZN4vllm3moe17topkGatingSoftmaxIDF16_Li1ELi1ELi8ELi2ELb1ELi1ELNS0_23SharedExpertScoringFuncE1EEEvPKT_PKbPfiPiS9_iiiiii
	.globl	_ZN4vllm3moe17topkGatingSoftmaxIDF16_Li1ELi1ELi8ELi2ELb1ELi1ELNS0_23SharedExpertScoringFuncE1EEEvPKT_PKbPfiPiS9_iiiiii
	.p2align	8
	.type	_ZN4vllm3moe17topkGatingSoftmaxIDF16_Li1ELi1ELi8ELi2ELb1ELi1ELNS0_23SharedExpertScoringFuncE1EEEvPKT_PKbPfiPiS9_iiiiii,@function
_ZN4vllm3moe17topkGatingSoftmaxIDF16_Li1ELi1ELi8ELi2ELb1ELi1ELNS0_23SharedExpertScoringFuncE1EEEvPKT_PKbPfiPiS9_iiiiii: ; @_ZN4vllm3moe17topkGatingSoftmaxIDF16_Li1ELi1ELi8ELi2ELb1ELi1ELNS0_23SharedExpertScoringFuncE1EEEvPKT_PKbPfiPiS9_iiiiii
; %bb.0:
	s_load_b32 s12, s[0:1], 0x18
	v_bfe_u32 v1, v0, 10, 10
	v_and_b32_e32 v8, 0x3ff, v0
	s_lshl_b32 s13, s15, 8
	s_mov_b32 s2, exec_lo
	s_delay_alu instid0(VALU_DEP_2) | instskip(NEXT) | instid1(VALU_DEP_1)
	v_lshlrev_b32_e32 v7, 5, v1
	v_add3_u32 v9, v7, v8, s13
	s_waitcnt lgkmcnt(0)
	s_delay_alu instid0(VALU_DEP_1)
	v_cmpx_gt_i32_e64 s12, v9
	s_cbranch_execz .LBB108_12
; %bb.1:
	s_clause 0x1
	s_load_b128 s[4:7], s[0:1], 0x0
	s_load_b64 s[8:9], s[0:1], 0x10
	s_waitcnt lgkmcnt(0)
	s_cmp_eq_u64 s[6:7], 0
	s_cbranch_scc1 .LBB108_3
; %bb.2:
	v_ashrrev_i32_e32 v1, 31, v9
	v_add_co_u32 v0, vcc_lo, s6, v9
	s_delay_alu instid0(VALU_DEP_2) | instskip(SKIP_3) | instid1(VALU_DEP_1)
	v_add_co_ci_u32_e32 v1, vcc_lo, s7, v1, vcc_lo
	global_load_u8 v0, v[0:1], off
	s_waitcnt vmcnt(0)
	v_and_b32_e32 v0, 1, v0
	v_cmp_eq_u32_e32 vcc_lo, 1, v0
	s_xor_b32 s2, vcc_lo, -1
	s_delay_alu instid0(SALU_CYCLE_1)
	s_or_not1_b32 s14, s2, exec_lo
	s_branch .LBB108_4
.LBB108_3:
	s_mov_b32 s14, -1
.LBB108_4:
	s_load_b64 s[10:11], s[0:1], 0x40
	s_mov_b32 s2, 0x3fb8aa3b
	s_waitcnt lgkmcnt(0)
	v_mul_lo_u32 v0, v9, s11
	s_delay_alu instid0(VALU_DEP_1) | instskip(NEXT) | instid1(VALU_DEP_1)
	v_ashrrev_i32_e32 v1, 31, v0
	v_lshlrev_b64 v[0:1], 1, v[0:1]
	s_delay_alu instid0(VALU_DEP_1) | instskip(NEXT) | instid1(VALU_DEP_2)
	v_add_co_u32 v0, vcc_lo, s4, v0
	v_add_co_ci_u32_e32 v1, vcc_lo, s5, v1, vcc_lo
	s_load_b128 s[4:7], s[0:1], 0x30
	global_load_b32 v1, v[0:1], off
	s_waitcnt lgkmcnt(0)
	s_cmp_gt_i32 s4, 0
	s_waitcnt vmcnt(0)
	v_lshrrev_b32_e32 v0, 16, v1
	s_delay_alu instid0(VALU_DEP_1) | instskip(NEXT) | instid1(VALU_DEP_1)
	v_cvt_f32_f16_e64 v0, -v0
	v_mul_f32_e32 v2, 0x3fb8aa3b, v0
	v_cmp_ngt_f32_e32 vcc_lo, 0xc2ce8ed0, v0
	s_delay_alu instid0(VALU_DEP_2)
	v_fma_mix_f32 v3, -v1, s2, -v2 op_sel:[1,0,0] op_sel_hi:[1,0,0]
	v_rndne_f32_e32 v4, v2
	s_mov_b32 s2, 0x32a5705f
	s_delay_alu instid0(VALU_DEP_2) | instid1(SALU_CYCLE_1)
	v_fma_mix_f32 v3, -v1, s2, v3 op_sel:[1,0,0] op_sel_hi:[1,0,0]
	s_delay_alu instid0(VALU_DEP_2) | instskip(NEXT) | instid1(VALU_DEP_1)
	v_sub_f32_e32 v2, v2, v4
	v_add_f32_e32 v2, v2, v3
	v_cvt_i32_f32_e32 v3, v4
	s_delay_alu instid0(VALU_DEP_2) | instskip(SKIP_2) | instid1(VALU_DEP_1)
	v_exp_f32_e32 v2, v2
	s_waitcnt_depctr 0xfff
	v_ldexp_f32 v2, v2, v3
	v_cndmask_b32_e32 v2, 0, v2, vcc_lo
	v_cmp_nlt_f32_e32 vcc_lo, 0x42b17218, v0
	s_delay_alu instid0(VALU_DEP_2) | instskip(NEXT) | instid1(VALU_DEP_1)
	v_cndmask_b32_e32 v0, 0x7f800000, v2, vcc_lo
	v_add_f32_e32 v4, 1.0, v0
	s_delay_alu instid0(VALU_DEP_1) | instskip(SKIP_1) | instid1(VALU_DEP_2)
	v_div_scale_f32 v5, null, v4, v4, 1.0
	v_div_scale_f32 v10, vcc_lo, 1.0, v4, 1.0
	v_rcp_f32_e32 v6, v5
	s_waitcnt_depctr 0xfff
	v_fma_f32 v0, -v5, v6, 1.0
	s_delay_alu instid0(VALU_DEP_1) | instskip(SKIP_3) | instid1(VALU_DEP_1)
	v_fmac_f32_e32 v6, v0, v6
	v_mul_lo_u32 v0, v9, s7
	s_cselect_b32 s7, -1, 0
	s_cmp_lt_i32 s4, 1
	v_dual_mul_f32 v11, v10, v6 :: v_dual_add_nc_u32 v2, s4, v0
	s_delay_alu instid0(VALU_DEP_1) | instskip(NEXT) | instid1(VALU_DEP_1)
	v_fma_f32 v3, -v5, v11, v10
	v_fmac_f32_e32 v11, v3, v6
	s_delay_alu instid0(VALU_DEP_3) | instskip(NEXT) | instid1(VALU_DEP_2)
	v_ashrrev_i32_e32 v3, 31, v2
	v_fma_f32 v5, -v5, v11, v10
	s_delay_alu instid0(VALU_DEP_2) | instskip(SKIP_1) | instid1(VALU_DEP_3)
	v_lshlrev_b64 v[2:3], 2, v[2:3]
	v_mov_b32_e32 v10, 0
	v_div_fmas_f32 v5, v5, v6, v11
	s_delay_alu instid0(VALU_DEP_3) | instskip(NEXT) | instid1(VALU_DEP_4)
	v_add_co_u32 v2, vcc_lo, s8, v2
	v_add_co_ci_u32_e32 v3, vcc_lo, s9, v3, vcc_lo
	s_delay_alu instid0(VALU_DEP_3)
	v_div_fixup_f32 v4, v5, v4, 1.0
	global_store_b32 v[2:3], v4, off
	s_cbranch_scc1 .LBB108_8
; %bb.5:
	v_cvt_f32_f16_e32 v12, v1
	s_load_b128 s[0:3], s[0:1], 0x20
	v_mul_lo_u32 v2, v9, s10
	s_cmp_lt_i32 s5, 1
	s_cselect_b32 s10, -1, 0
	v_sub_f32_e32 v10, v12, v12
	s_cmp_gt_i32 s6, 0
	s_cselect_b32 s6, -1, 0
	s_sub_i32 s5, 0, s5
	s_delay_alu instid0(VALU_DEP_1) | instskip(SKIP_1) | instid1(SALU_CYCLE_1)
	v_mul_f32_e32 v1, 0x3fb8aa3b, v10
	s_and_b32 s6, s10, s6
	s_and_b32 s6, s14, s6
	s_cmp_eq_u32 s4, 1
	s_delay_alu instid0(VALU_DEP_1) | instskip(SKIP_2) | instid1(VALU_DEP_3)
	v_rndne_f32_e32 v4, v1
	v_fma_f32 v3, 0x3fb8aa3b, v10, -v1
	v_cndmask_b32_e64 v11, 1, s5, s6
	v_sub_f32_e32 v5, v1, v4
	s_delay_alu instid0(VALU_DEP_3) | instskip(SKIP_1) | instid1(VALU_DEP_2)
	v_fmac_f32_e32 v3, 0x32a5705f, v10
	v_ashrrev_i32_e32 v1, 31, v0
	v_add_f32_e32 v3, v5, v3
	s_delay_alu instid0(VALU_DEP_2) | instskip(SKIP_2) | instid1(VALU_DEP_4)
	v_lshlrev_b64 v[13:14], 2, v[0:1]
	v_cvt_i32_f32_e32 v1, v4
	v_mul_lo_u32 v5, v9, s4
	v_exp_f32_e32 v15, v3
	v_ashrrev_i32_e32 v3, 31, v2
	s_delay_alu instid0(VALU_DEP_2) | instskip(NEXT) | instid1(VALU_DEP_2)
	v_ashrrev_i32_e32 v6, 31, v5
	v_lshlrev_b64 v[3:4], 2, v[2:3]
	s_waitcnt_depctr 0xfff
	v_ldexp_f32 v15, v15, v1
	v_add_co_u32 v1, vcc_lo, s8, v13
	v_add_co_ci_u32_e32 v2, vcc_lo, s9, v14, vcc_lo
	v_cmp_ngt_f32_e32 vcc_lo, 0xc2ce8ed0, v10
	v_lshlrev_b64 v[5:6], 2, v[5:6]
	v_cndmask_b32_e32 v15, 0, v15, vcc_lo
	s_waitcnt lgkmcnt(0)
	v_add_co_u32 v13, vcc_lo, s0, v3
	v_add_co_ci_u32_e32 v14, vcc_lo, s1, v4, vcc_lo
	v_cmp_nlt_f32_e32 vcc_lo, 0x42b17218, v10
	v_cndmask_b32_e32 v10, 0x7f800000, v15, vcc_lo
	v_add_co_u32 v15, vcc_lo, s2, v5
	v_add_co_ci_u32_e32 v16, vcc_lo, s3, v6, vcc_lo
	global_store_b32 v[13:14], v11, off
	global_store_b32 v[1:2], v10, off
	;; [unrolled: 1-line block ×3, first 2 shown]
	s_cbranch_scc1 .LBB108_8
; %bb.6:
	v_sub_f32_e32 v9, 0xff800000, v12
	v_add_co_u32 v5, vcc_lo, v5, s2
	v_add_co_ci_u32_e32 v6, vcc_lo, s3, v6, vcc_lo
	s_delay_alu instid0(VALU_DEP_3) | instskip(SKIP_1) | instid1(SALU_CYCLE_1)
	v_mul_f32_e32 v12, 0x3fb8aa3b, v9
	s_add_i32 s13, s13, s12
	v_add3_u32 v7, s13, v8, v7
	s_delay_alu instid0(VALU_DEP_2) | instskip(SKIP_1) | instid1(VALU_DEP_1)
	v_fma_f32 v13, 0x3fb8aa3b, v9, -v12
	v_rndne_f32_e32 v14, v12
	v_dual_sub_f32 v12, v12, v14 :: v_dual_fmamk_f32 v13, v9, 0x32a5705f, v13
	s_delay_alu instid0(VALU_DEP_1) | instskip(SKIP_3) | instid1(VALU_DEP_4)
	v_add_f32_e32 v12, v12, v13
	v_add_co_u32 v13, vcc_lo, v3, s0
	v_cvt_i32_f32_e32 v3, v14
	v_add_co_ci_u32_e32 v15, vcc_lo, s1, v4, vcc_lo
	v_exp_f32_e32 v12, v12
	v_add_co_u32 v1, vcc_lo, v1, 4
	v_add_co_ci_u32_e32 v2, vcc_lo, 0, v2, vcc_lo
	s_add_i32 s0, s4, -1
	s_waitcnt_depctr 0xfff
	v_ldexp_f32 v12, v12, v3
	v_add_co_u32 v3, vcc_lo, v5, 4
	v_add_co_ci_u32_e32 v4, vcc_lo, 0, v6, vcc_lo
	v_cmp_ngt_f32_e32 vcc_lo, 0xc2ce8ed0, v9
	s_delay_alu instid0(VALU_DEP_4) | instskip(SKIP_3) | instid1(VALU_DEP_4)
	v_cndmask_b32_e32 v12, 0, v12, vcc_lo
	v_add_co_u32 v5, vcc_lo, v13, 4
	v_add_co_ci_u32_e32 v6, vcc_lo, 0, v15, vcc_lo
	v_cmp_nlt_f32_e32 vcc_lo, 0x42b17218, v9
	v_cndmask_b32_e32 v9, 0x7f800000, v12, vcc_lo
	.p2align	6
.LBB108_7:                              ; =>This Inner Loop Header: Depth=1
	global_store_b32 v[1:2], v9, off
	global_store_b32 v[5:6], v11, off
	;; [unrolled: 1-line block ×3, first 2 shown]
	v_add_co_u32 v3, vcc_lo, v3, 4
	v_add_co_ci_u32_e32 v4, vcc_lo, 0, v4, vcc_lo
	v_add_co_u32 v5, vcc_lo, v5, 4
	v_add_co_ci_u32_e32 v6, vcc_lo, 0, v6, vcc_lo
	v_add_co_u32 v1, vcc_lo, v1, 4
	v_dual_add_f32 v10, v10, v9 :: v_dual_add_nc_u32 v7, s12, v7
	v_add_co_ci_u32_e32 v2, vcc_lo, 0, v2, vcc_lo
	s_add_i32 s0, s0, -1
	s_delay_alu instid0(SALU_CYCLE_1)
	s_cmp_eq_u32 s0, 0
	s_cbranch_scc0 .LBB108_7
.LBB108_8:
	v_cmp_neq_f32_e32 vcc_lo, 0, v10
	s_and_b32 exec_lo, exec_lo, vcc_lo
	s_cbranch_execz .LBB108_12
; %bb.9:
	s_and_not1_b32 vcc_lo, exec_lo, s7
	s_cbranch_vccnz .LBB108_12
; %bb.10:
	v_div_scale_f32 v1, null, v10, v10, 1.0
	v_div_scale_f32 v4, vcc_lo, 1.0, v10, 1.0
	s_delay_alu instid0(VALU_DEP_2) | instskip(SKIP_2) | instid1(VALU_DEP_1)
	v_rcp_f32_e32 v2, v1
	s_waitcnt_depctr 0xfff
	v_fma_f32 v3, -v1, v2, 1.0
	v_fmac_f32_e32 v2, v3, v2
	s_delay_alu instid0(VALU_DEP_1) | instskip(NEXT) | instid1(VALU_DEP_1)
	v_mul_f32_e32 v3, v4, v2
	v_fma_f32 v5, -v1, v3, v4
	s_delay_alu instid0(VALU_DEP_1) | instskip(NEXT) | instid1(VALU_DEP_1)
	v_fmac_f32_e32 v3, v5, v2
	v_fma_f32 v4, -v1, v3, v4
	v_ashrrev_i32_e32 v1, 31, v0
	s_delay_alu instid0(VALU_DEP_2) | instskip(NEXT) | instid1(VALU_DEP_2)
	v_div_fmas_f32 v2, v4, v2, v3
	v_lshlrev_b64 v[0:1], 2, v[0:1]
	s_delay_alu instid0(VALU_DEP_2) | instskip(NEXT) | instid1(VALU_DEP_2)
	v_div_fixup_f32 v2, v2, v10, 1.0
	v_add_co_u32 v0, vcc_lo, s8, v0
	s_delay_alu instid0(VALU_DEP_3)
	v_add_co_ci_u32_e32 v1, vcc_lo, s9, v1, vcc_lo
.LBB108_11:                             ; =>This Inner Loop Header: Depth=1
	global_load_b32 v3, v[0:1], off
	s_add_i32 s4, s4, -1
	s_delay_alu instid0(SALU_CYCLE_1)
	s_cmp_lg_u32 s4, 0
	s_waitcnt vmcnt(0)
	v_mul_f32_e32 v3, v2, v3
	global_store_b32 v[0:1], v3, off
	v_add_co_u32 v0, vcc_lo, v0, 4
	v_add_co_ci_u32_e32 v1, vcc_lo, 0, v1, vcc_lo
	s_cbranch_scc1 .LBB108_11
.LBB108_12:
	s_nop 0
	s_sendmsg sendmsg(MSG_DEALLOC_VGPRS)
	s_endpgm
	.section	.rodata,"a",@progbits
	.p2align	6, 0x0
	.amdhsa_kernel _ZN4vllm3moe17topkGatingSoftmaxIDF16_Li1ELi1ELi8ELi2ELb1ELi1ELNS0_23SharedExpertScoringFuncE1EEEvPKT_PKbPfiPiS9_iiiiii
		.amdhsa_group_segment_fixed_size 0
		.amdhsa_private_segment_fixed_size 0
		.amdhsa_kernarg_size 72
		.amdhsa_user_sgpr_count 15
		.amdhsa_user_sgpr_dispatch_ptr 0
		.amdhsa_user_sgpr_queue_ptr 0
		.amdhsa_user_sgpr_kernarg_segment_ptr 1
		.amdhsa_user_sgpr_dispatch_id 0
		.amdhsa_user_sgpr_private_segment_size 0
		.amdhsa_wavefront_size32 1
		.amdhsa_uses_dynamic_stack 0
		.amdhsa_enable_private_segment 0
		.amdhsa_system_sgpr_workgroup_id_x 1
		.amdhsa_system_sgpr_workgroup_id_y 0
		.amdhsa_system_sgpr_workgroup_id_z 0
		.amdhsa_system_sgpr_workgroup_info 0
		.amdhsa_system_vgpr_workitem_id 1
		.amdhsa_next_free_vgpr 17
		.amdhsa_next_free_sgpr 16
		.amdhsa_reserve_vcc 1
		.amdhsa_float_round_mode_32 0
		.amdhsa_float_round_mode_16_64 0
		.amdhsa_float_denorm_mode_32 3
		.amdhsa_float_denorm_mode_16_64 3
		.amdhsa_dx10_clamp 1
		.amdhsa_ieee_mode 1
		.amdhsa_fp16_overflow 0
		.amdhsa_workgroup_processor_mode 1
		.amdhsa_memory_ordered 1
		.amdhsa_forward_progress 0
		.amdhsa_shared_vgpr_count 0
		.amdhsa_exception_fp_ieee_invalid_op 0
		.amdhsa_exception_fp_denorm_src 0
		.amdhsa_exception_fp_ieee_div_zero 0
		.amdhsa_exception_fp_ieee_overflow 0
		.amdhsa_exception_fp_ieee_underflow 0
		.amdhsa_exception_fp_ieee_inexact 0
		.amdhsa_exception_int_div_zero 0
	.end_amdhsa_kernel
	.section	.text._ZN4vllm3moe17topkGatingSoftmaxIDF16_Li1ELi1ELi8ELi2ELb1ELi1ELNS0_23SharedExpertScoringFuncE1EEEvPKT_PKbPfiPiS9_iiiiii,"axG",@progbits,_ZN4vllm3moe17topkGatingSoftmaxIDF16_Li1ELi1ELi8ELi2ELb1ELi1ELNS0_23SharedExpertScoringFuncE1EEEvPKT_PKbPfiPiS9_iiiiii,comdat
.Lfunc_end108:
	.size	_ZN4vllm3moe17topkGatingSoftmaxIDF16_Li1ELi1ELi8ELi2ELb1ELi1ELNS0_23SharedExpertScoringFuncE1EEEvPKT_PKbPfiPiS9_iiiiii, .Lfunc_end108-_ZN4vllm3moe17topkGatingSoftmaxIDF16_Li1ELi1ELi8ELi2ELb1ELi1ELNS0_23SharedExpertScoringFuncE1EEEvPKT_PKbPfiPiS9_iiiiii
                                        ; -- End function
	.section	.AMDGPU.csdata,"",@progbits
; Kernel info:
; codeLenInByte = 1308
; NumSgprs: 18
; NumVgprs: 17
; ScratchSize: 0
; MemoryBound: 0
; FloatMode: 240
; IeeeMode: 1
; LDSByteSize: 0 bytes/workgroup (compile time only)
; SGPRBlocks: 2
; VGPRBlocks: 2
; NumSGPRsForWavesPerEU: 18
; NumVGPRsForWavesPerEU: 17
; Occupancy: 16
; WaveLimiterHint : 0
; COMPUTE_PGM_RSRC2:SCRATCH_EN: 0
; COMPUTE_PGM_RSRC2:USER_SGPR: 15
; COMPUTE_PGM_RSRC2:TRAP_HANDLER: 0
; COMPUTE_PGM_RSRC2:TGID_X_EN: 1
; COMPUTE_PGM_RSRC2:TGID_Y_EN: 0
; COMPUTE_PGM_RSRC2:TGID_Z_EN: 0
; COMPUTE_PGM_RSRC2:TIDIG_COMP_CNT: 1
	.section	.text._ZN4vllm3moe17topkGatingSoftmaxIDF16_Li1ELi1ELi8ELi2ELb0ELi1ELNS0_23SharedExpertScoringFuncE1EEEvPKT_PKbPfiPiS9_iiiiii,"axG",@progbits,_ZN4vllm3moe17topkGatingSoftmaxIDF16_Li1ELi1ELi8ELi2ELb0ELi1ELNS0_23SharedExpertScoringFuncE1EEEvPKT_PKbPfiPiS9_iiiiii,comdat
	.protected	_ZN4vllm3moe17topkGatingSoftmaxIDF16_Li1ELi1ELi8ELi2ELb0ELi1ELNS0_23SharedExpertScoringFuncE1EEEvPKT_PKbPfiPiS9_iiiiii ; -- Begin function _ZN4vllm3moe17topkGatingSoftmaxIDF16_Li1ELi1ELi8ELi2ELb0ELi1ELNS0_23SharedExpertScoringFuncE1EEEvPKT_PKbPfiPiS9_iiiiii
	.globl	_ZN4vllm3moe17topkGatingSoftmaxIDF16_Li1ELi1ELi8ELi2ELb0ELi1ELNS0_23SharedExpertScoringFuncE1EEEvPKT_PKbPfiPiS9_iiiiii
	.p2align	8
	.type	_ZN4vllm3moe17topkGatingSoftmaxIDF16_Li1ELi1ELi8ELi2ELb0ELi1ELNS0_23SharedExpertScoringFuncE1EEEvPKT_PKbPfiPiS9_iiiiii,@function
_ZN4vllm3moe17topkGatingSoftmaxIDF16_Li1ELi1ELi8ELi2ELb0ELi1ELNS0_23SharedExpertScoringFuncE1EEEvPKT_PKbPfiPiS9_iiiiii: ; @_ZN4vllm3moe17topkGatingSoftmaxIDF16_Li1ELi1ELi8ELi2ELb0ELi1ELNS0_23SharedExpertScoringFuncE1EEEvPKT_PKbPfiPiS9_iiiiii
; %bb.0:
	s_load_b32 s12, s[0:1], 0x18
	v_bfe_u32 v1, v0, 10, 10
	v_and_b32_e32 v8, 0x3ff, v0
	s_lshl_b32 s13, s15, 8
	s_mov_b32 s2, exec_lo
	s_delay_alu instid0(VALU_DEP_2) | instskip(NEXT) | instid1(VALU_DEP_1)
	v_lshlrev_b32_e32 v7, 5, v1
	v_add3_u32 v9, v7, v8, s13
	s_waitcnt lgkmcnt(0)
	s_delay_alu instid0(VALU_DEP_1)
	v_cmpx_gt_i32_e64 s12, v9
	s_cbranch_execz .LBB109_13
; %bb.1:
	s_clause 0x1
	s_load_b128 s[4:7], s[0:1], 0x0
	s_load_b64 s[8:9], s[0:1], 0x10
	s_waitcnt lgkmcnt(0)
	s_cmp_eq_u64 s[6:7], 0
	s_cbranch_scc1 .LBB109_3
; %bb.2:
	v_ashrrev_i32_e32 v1, 31, v9
	v_add_co_u32 v0, vcc_lo, s6, v9
	s_delay_alu instid0(VALU_DEP_2) | instskip(SKIP_3) | instid1(VALU_DEP_1)
	v_add_co_ci_u32_e32 v1, vcc_lo, s7, v1, vcc_lo
	global_load_u8 v0, v[0:1], off
	s_waitcnt vmcnt(0)
	v_and_b32_e32 v0, 1, v0
	v_cmp_eq_u32_e32 vcc_lo, 1, v0
	s_xor_b32 s2, vcc_lo, -1
	s_delay_alu instid0(SALU_CYCLE_1)
	s_or_not1_b32 s14, s2, exec_lo
	s_branch .LBB109_4
.LBB109_3:
	s_mov_b32 s14, -1
.LBB109_4:
	s_load_b64 s[10:11], s[0:1], 0x40
	s_mov_b32 s2, 0x3fb8aa3b
	s_waitcnt lgkmcnt(0)
	v_mul_lo_u32 v0, v9, s11
	s_delay_alu instid0(VALU_DEP_1) | instskip(NEXT) | instid1(VALU_DEP_1)
	v_ashrrev_i32_e32 v1, 31, v0
	v_lshlrev_b64 v[0:1], 1, v[0:1]
	s_delay_alu instid0(VALU_DEP_1) | instskip(NEXT) | instid1(VALU_DEP_2)
	v_add_co_u32 v0, vcc_lo, s4, v0
	v_add_co_ci_u32_e32 v1, vcc_lo, s5, v1, vcc_lo
	s_load_b128 s[4:7], s[0:1], 0x30
	global_load_b32 v3, v[0:1], off
	s_waitcnt lgkmcnt(0)
	s_cmp_gt_i32 s4, 0
	s_waitcnt vmcnt(0)
	v_lshrrev_b32_e32 v0, 16, v3
	s_delay_alu instid0(VALU_DEP_1) | instskip(NEXT) | instid1(VALU_DEP_1)
	v_cvt_f32_f16_e64 v0, -v0
	v_mul_f32_e32 v1, 0x3fb8aa3b, v0
	v_cmp_ngt_f32_e32 vcc_lo, 0xc2ce8ed0, v0
	s_delay_alu instid0(VALU_DEP_2)
	v_fma_mix_f32 v2, -v3, s2, -v1 op_sel:[1,0,0] op_sel_hi:[1,0,0]
	v_rndne_f32_e32 v4, v1
	s_mov_b32 s2, 0x32a5705f
	s_delay_alu instid0(VALU_DEP_2) | instid1(SALU_CYCLE_1)
	v_fma_mix_f32 v2, -v3, s2, v2 op_sel:[1,0,0] op_sel_hi:[1,0,0]
	s_delay_alu instid0(VALU_DEP_2) | instskip(NEXT) | instid1(VALU_DEP_1)
	v_sub_f32_e32 v1, v1, v4
	v_add_f32_e32 v1, v1, v2
	v_cvt_i32_f32_e32 v2, v4
	s_delay_alu instid0(VALU_DEP_2) | instskip(SKIP_2) | instid1(VALU_DEP_1)
	v_exp_f32_e32 v1, v1
	s_waitcnt_depctr 0xfff
	v_ldexp_f32 v1, v1, v2
	v_cndmask_b32_e32 v1, 0, v1, vcc_lo
	v_cmp_nlt_f32_e32 vcc_lo, 0x42b17218, v0
	s_delay_alu instid0(VALU_DEP_2) | instskip(NEXT) | instid1(VALU_DEP_1)
	v_cndmask_b32_e32 v0, 0x7f800000, v1, vcc_lo
	v_add_f32_e32 v5, 1.0, v0
	s_delay_alu instid0(VALU_DEP_1) | instskip(SKIP_1) | instid1(VALU_DEP_2)
	v_div_scale_f32 v4, null, v5, v5, 1.0
	v_div_scale_f32 v10, vcc_lo, 1.0, v5, 1.0
	v_rcp_f32_e32 v6, v4
	s_waitcnt_depctr 0xfff
	v_fma_f32 v0, -v4, v6, 1.0
	s_delay_alu instid0(VALU_DEP_1) | instskip(SKIP_3) | instid1(VALU_DEP_2)
	v_fmac_f32_e32 v6, v0, v6
	v_mul_lo_u32 v0, v9, s7
	s_cselect_b32 s7, -1, 0
	s_cmp_lt_i32 s4, 1
	v_mul_f32_e32 v11, v10, v6
	s_delay_alu instid0(VALU_DEP_2) | instskip(NEXT) | instid1(VALU_DEP_2)
	v_add_nc_u32_e32 v1, s4, v0
	v_fma_f32 v2, -v4, v11, v10
	s_delay_alu instid0(VALU_DEP_1) | instskip(NEXT) | instid1(VALU_DEP_3)
	v_fmac_f32_e32 v11, v2, v6
	v_ashrrev_i32_e32 v2, 31, v1
	s_delay_alu instid0(VALU_DEP_2) | instskip(NEXT) | instid1(VALU_DEP_2)
	v_fma_f32 v4, -v4, v11, v10
	v_lshlrev_b64 v[1:2], 2, v[1:2]
	v_cvt_f32_f16_e32 v10, v3
	s_delay_alu instid0(VALU_DEP_3) | instskip(SKIP_1) | instid1(VALU_DEP_4)
	v_div_fmas_f32 v6, v4, v6, v11
	v_mov_b32_e32 v11, 0
	v_add_co_u32 v3, vcc_lo, s8, v1
	v_add_co_ci_u32_e32 v4, vcc_lo, s9, v2, vcc_lo
	s_delay_alu instid0(VALU_DEP_4)
	v_div_fixup_f32 v2, v6, v5, 1.0
	v_mov_b32_e32 v1, v10
	global_store_b32 v[3:4], v2, off
	s_cbranch_scc1 .LBB109_9
; %bb.5:
	v_sub_f32_e32 v11, v10, v10
	s_load_b128 s[0:3], s[0:1], 0x20
	v_mul_lo_u32 v2, v9, s10
	s_cmp_lt_i32 s5, 1
	s_cselect_b32 s10, -1, 0
	v_mul_f32_e32 v1, 0x3fb8aa3b, v11
	s_cmp_gt_i32 s6, 0
	s_cselect_b32 s6, -1, 0
	s_sub_i32 s5, 0, s5
	s_delay_alu instid0(VALU_DEP_1) | instskip(SKIP_2) | instid1(SALU_CYCLE_1)
	v_rndne_f32_e32 v4, v1
	v_fma_f32 v3, 0x3fb8aa3b, v11, -v1
	s_and_b32 s6, s10, s6
	s_and_b32 s6, s14, s6
	s_delay_alu instid0(VALU_DEP_2) | instskip(NEXT) | instid1(VALU_DEP_2)
	v_sub_f32_e32 v5, v1, v4
	v_fmac_f32_e32 v3, 0x32a5705f, v11
	v_ashrrev_i32_e32 v1, 31, v0
	v_cndmask_b32_e64 v12, 1, s5, s6
	s_cmp_eq_u32 s4, 1
	s_delay_alu instid0(VALU_DEP_3) | instskip(NEXT) | instid1(VALU_DEP_3)
	v_add_f32_e32 v3, v5, v3
	v_lshlrev_b64 v[13:14], 2, v[0:1]
	v_cvt_i32_f32_e32 v1, v4
	v_mul_lo_u32 v5, v9, s4
	s_delay_alu instid0(VALU_DEP_4) | instskip(SKIP_1) | instid1(VALU_DEP_2)
	v_exp_f32_e32 v15, v3
	v_ashrrev_i32_e32 v3, 31, v2
	v_ashrrev_i32_e32 v6, 31, v5
	s_delay_alu instid0(VALU_DEP_2)
	v_lshlrev_b64 v[3:4], 2, v[2:3]
	s_waitcnt_depctr 0xfff
	v_ldexp_f32 v15, v15, v1
	v_add_co_u32 v1, vcc_lo, s8, v13
	v_add_co_ci_u32_e32 v2, vcc_lo, s9, v14, vcc_lo
	v_cmp_ngt_f32_e32 vcc_lo, 0xc2ce8ed0, v11
	v_lshlrev_b64 v[5:6], 2, v[5:6]
	v_cndmask_b32_e32 v15, 0, v15, vcc_lo
	s_waitcnt lgkmcnt(0)
	v_add_co_u32 v13, vcc_lo, s0, v3
	v_add_co_ci_u32_e32 v14, vcc_lo, s1, v4, vcc_lo
	v_cmp_nlt_f32_e32 vcc_lo, 0x42b17218, v11
	v_cndmask_b32_e32 v11, 0x7f800000, v15, vcc_lo
	v_add_co_u32 v15, vcc_lo, s2, v5
	v_add_co_ci_u32_e32 v16, vcc_lo, s3, v6, vcc_lo
	global_store_b32 v[13:14], v12, off
	global_store_b32 v[1:2], v11, off
	;; [unrolled: 1-line block ×3, first 2 shown]
	s_cbranch_scc1 .LBB109_8
; %bb.6:
	v_sub_f32_e32 v9, 0xff800000, v10
	v_add_co_u32 v5, vcc_lo, v5, s2
	v_add_co_ci_u32_e32 v6, vcc_lo, s3, v6, vcc_lo
	s_delay_alu instid0(VALU_DEP_3) | instskip(SKIP_1) | instid1(SALU_CYCLE_1)
	v_mul_f32_e32 v13, 0x3fb8aa3b, v9
	s_add_i32 s13, s13, s12
	v_add3_u32 v7, s13, v8, v7
	s_delay_alu instid0(VALU_DEP_2) | instskip(SKIP_1) | instid1(VALU_DEP_2)
	v_fma_f32 v14, 0x3fb8aa3b, v9, -v13
	v_rndne_f32_e32 v15, v13
	v_fmamk_f32 v14, v9, 0x32a5705f, v14
	s_delay_alu instid0(VALU_DEP_2) | instskip(NEXT) | instid1(VALU_DEP_1)
	v_sub_f32_e32 v13, v13, v15
	v_add_f32_e32 v13, v13, v14
	v_add_co_u32 v14, vcc_lo, v3, s0
	v_cvt_i32_f32_e32 v3, v15
	v_add_co_ci_u32_e32 v16, vcc_lo, s1, v4, vcc_lo
	s_delay_alu instid0(VALU_DEP_4)
	v_exp_f32_e32 v13, v13
	v_add_co_u32 v1, vcc_lo, v1, 4
	v_add_co_ci_u32_e32 v2, vcc_lo, 0, v2, vcc_lo
	s_add_i32 s0, s4, -1
	s_waitcnt_depctr 0xfff
	v_ldexp_f32 v13, v13, v3
	v_add_co_u32 v3, vcc_lo, v5, 4
	v_add_co_ci_u32_e32 v4, vcc_lo, 0, v6, vcc_lo
	v_cmp_ngt_f32_e32 vcc_lo, 0xc2ce8ed0, v9
	s_delay_alu instid0(VALU_DEP_4) | instskip(SKIP_3) | instid1(VALU_DEP_4)
	v_cndmask_b32_e32 v13, 0, v13, vcc_lo
	v_add_co_u32 v5, vcc_lo, v14, 4
	v_add_co_ci_u32_e32 v6, vcc_lo, 0, v16, vcc_lo
	v_cmp_nlt_f32_e32 vcc_lo, 0x42b17218, v9
	v_cndmask_b32_e32 v9, 0x7f800000, v13, vcc_lo
	.p2align	6
.LBB109_7:                              ; =>This Inner Loop Header: Depth=1
	global_store_b32 v[1:2], v9, off
	global_store_b32 v[5:6], v12, off
	;; [unrolled: 1-line block ×3, first 2 shown]
	v_add_co_u32 v3, vcc_lo, v3, 4
	v_add_co_ci_u32_e32 v4, vcc_lo, 0, v4, vcc_lo
	v_add_co_u32 v5, vcc_lo, v5, 4
	v_add_co_ci_u32_e32 v6, vcc_lo, 0, v6, vcc_lo
	v_add_co_u32 v1, vcc_lo, v1, 4
	v_add_f32_e32 v11, v11, v9
	v_add_co_ci_u32_e32 v2, vcc_lo, 0, v2, vcc_lo
	v_add_nc_u32_e32 v7, s12, v7
	s_add_i32 s0, s0, -1
	s_delay_alu instid0(SALU_CYCLE_1)
	s_cmp_eq_u32 s0, 0
	s_cbranch_scc0 .LBB109_7
.LBB109_8:
	v_mov_b32_e32 v1, 0xff800000
.LBB109_9:
	s_delay_alu instid0(VALU_DEP_1) | instskip(NEXT) | instid1(VALU_DEP_1)
	v_sub_f32_e32 v1, v1, v10
	v_mul_f32_e32 v2, 0x3fb8aa3b, v1
	s_delay_alu instid0(VALU_DEP_1) | instskip(SKIP_1) | instid1(VALU_DEP_1)
	v_fma_f32 v3, 0x3fb8aa3b, v1, -v2
	v_rndne_f32_e32 v4, v2
	v_sub_f32_e32 v2, v2, v4
	v_cmp_ngt_f32_e32 vcc_lo, 0xc2ce8ed0, v1
	s_delay_alu instid0(VALU_DEP_4) | instskip(NEXT) | instid1(VALU_DEP_1)
	v_fmac_f32_e32 v3, 0x32a5705f, v1
	v_add_f32_e32 v2, v2, v3
	v_cvt_i32_f32_e32 v3, v4
	s_delay_alu instid0(VALU_DEP_2) | instskip(SKIP_2) | instid1(VALU_DEP_1)
	v_exp_f32_e32 v2, v2
	s_waitcnt_depctr 0xfff
	v_ldexp_f32 v2, v2, v3
	v_cndmask_b32_e32 v2, 0, v2, vcc_lo
	v_cmp_nlt_f32_e32 vcc_lo, 0x42b17218, v1
	s_delay_alu instid0(VALU_DEP_2) | instskip(NEXT) | instid1(VALU_DEP_1)
	v_cndmask_b32_e32 v1, 0x7f800000, v2, vcc_lo
	v_add_f32_e32 v2, v11, v1
	s_delay_alu instid0(VALU_DEP_1)
	v_cmp_neq_f32_e32 vcc_lo, 0, v2
	s_and_b32 exec_lo, exec_lo, vcc_lo
	s_cbranch_execz .LBB109_13
; %bb.10:
	s_and_not1_b32 vcc_lo, exec_lo, s7
	s_cbranch_vccnz .LBB109_13
; %bb.11:
	v_div_scale_f32 v1, null, v2, v2, 1.0
	v_div_scale_f32 v5, vcc_lo, 1.0, v2, 1.0
	s_delay_alu instid0(VALU_DEP_2) | instskip(SKIP_2) | instid1(VALU_DEP_1)
	v_rcp_f32_e32 v3, v1
	s_waitcnt_depctr 0xfff
	v_fma_f32 v4, -v1, v3, 1.0
	v_fmac_f32_e32 v3, v4, v3
	s_delay_alu instid0(VALU_DEP_1) | instskip(NEXT) | instid1(VALU_DEP_1)
	v_mul_f32_e32 v4, v5, v3
	v_fma_f32 v6, -v1, v4, v5
	s_delay_alu instid0(VALU_DEP_1) | instskip(NEXT) | instid1(VALU_DEP_1)
	v_fmac_f32_e32 v4, v6, v3
	v_fma_f32 v5, -v1, v4, v5
	v_ashrrev_i32_e32 v1, 31, v0
	s_delay_alu instid0(VALU_DEP_2) | instskip(NEXT) | instid1(VALU_DEP_2)
	v_div_fmas_f32 v3, v5, v3, v4
	v_lshlrev_b64 v[0:1], 2, v[0:1]
	s_delay_alu instid0(VALU_DEP_2) | instskip(NEXT) | instid1(VALU_DEP_2)
	v_div_fixup_f32 v2, v3, v2, 1.0
	v_add_co_u32 v0, vcc_lo, s8, v0
	s_delay_alu instid0(VALU_DEP_3)
	v_add_co_ci_u32_e32 v1, vcc_lo, s9, v1, vcc_lo
.LBB109_12:                             ; =>This Inner Loop Header: Depth=1
	global_load_b32 v3, v[0:1], off
	s_add_i32 s4, s4, -1
	s_delay_alu instid0(SALU_CYCLE_1)
	s_cmp_lg_u32 s4, 0
	s_waitcnt vmcnt(0)
	v_mul_f32_e32 v3, v2, v3
	global_store_b32 v[0:1], v3, off
	v_add_co_u32 v0, vcc_lo, v0, 4
	v_add_co_ci_u32_e32 v1, vcc_lo, 0, v1, vcc_lo
	s_cbranch_scc1 .LBB109_12
.LBB109_13:
	s_nop 0
	s_sendmsg sendmsg(MSG_DEALLOC_VGPRS)
	s_endpgm
	.section	.rodata,"a",@progbits
	.p2align	6, 0x0
	.amdhsa_kernel _ZN4vllm3moe17topkGatingSoftmaxIDF16_Li1ELi1ELi8ELi2ELb0ELi1ELNS0_23SharedExpertScoringFuncE1EEEvPKT_PKbPfiPiS9_iiiiii
		.amdhsa_group_segment_fixed_size 0
		.amdhsa_private_segment_fixed_size 0
		.amdhsa_kernarg_size 72
		.amdhsa_user_sgpr_count 15
		.amdhsa_user_sgpr_dispatch_ptr 0
		.amdhsa_user_sgpr_queue_ptr 0
		.amdhsa_user_sgpr_kernarg_segment_ptr 1
		.amdhsa_user_sgpr_dispatch_id 0
		.amdhsa_user_sgpr_private_segment_size 0
		.amdhsa_wavefront_size32 1
		.amdhsa_uses_dynamic_stack 0
		.amdhsa_enable_private_segment 0
		.amdhsa_system_sgpr_workgroup_id_x 1
		.amdhsa_system_sgpr_workgroup_id_y 0
		.amdhsa_system_sgpr_workgroup_id_z 0
		.amdhsa_system_sgpr_workgroup_info 0
		.amdhsa_system_vgpr_workitem_id 1
		.amdhsa_next_free_vgpr 17
		.amdhsa_next_free_sgpr 16
		.amdhsa_reserve_vcc 1
		.amdhsa_float_round_mode_32 0
		.amdhsa_float_round_mode_16_64 0
		.amdhsa_float_denorm_mode_32 3
		.amdhsa_float_denorm_mode_16_64 3
		.amdhsa_dx10_clamp 1
		.amdhsa_ieee_mode 1
		.amdhsa_fp16_overflow 0
		.amdhsa_workgroup_processor_mode 1
		.amdhsa_memory_ordered 1
		.amdhsa_forward_progress 0
		.amdhsa_shared_vgpr_count 0
		.amdhsa_exception_fp_ieee_invalid_op 0
		.amdhsa_exception_fp_denorm_src 0
		.amdhsa_exception_fp_ieee_div_zero 0
		.amdhsa_exception_fp_ieee_overflow 0
		.amdhsa_exception_fp_ieee_underflow 0
		.amdhsa_exception_fp_ieee_inexact 0
		.amdhsa_exception_int_div_zero 0
	.end_amdhsa_kernel
	.section	.text._ZN4vllm3moe17topkGatingSoftmaxIDF16_Li1ELi1ELi8ELi2ELb0ELi1ELNS0_23SharedExpertScoringFuncE1EEEvPKT_PKbPfiPiS9_iiiiii,"axG",@progbits,_ZN4vllm3moe17topkGatingSoftmaxIDF16_Li1ELi1ELi8ELi2ELb0ELi1ELNS0_23SharedExpertScoringFuncE1EEEvPKT_PKbPfiPiS9_iiiiii,comdat
.Lfunc_end109:
	.size	_ZN4vllm3moe17topkGatingSoftmaxIDF16_Li1ELi1ELi8ELi2ELb0ELi1ELNS0_23SharedExpertScoringFuncE1EEEvPKT_PKbPfiPiS9_iiiiii, .Lfunc_end109-_ZN4vllm3moe17topkGatingSoftmaxIDF16_Li1ELi1ELi8ELi2ELb0ELi1ELNS0_23SharedExpertScoringFuncE1EEEvPKT_PKbPfiPiS9_iiiiii
                                        ; -- End function
	.section	.AMDGPU.csdata,"",@progbits
; Kernel info:
; codeLenInByte = 1444
; NumSgprs: 18
; NumVgprs: 17
; ScratchSize: 0
; MemoryBound: 0
; FloatMode: 240
; IeeeMode: 1
; LDSByteSize: 0 bytes/workgroup (compile time only)
; SGPRBlocks: 2
; VGPRBlocks: 2
; NumSGPRsForWavesPerEU: 18
; NumVGPRsForWavesPerEU: 17
; Occupancy: 16
; WaveLimiterHint : 0
; COMPUTE_PGM_RSRC2:SCRATCH_EN: 0
; COMPUTE_PGM_RSRC2:USER_SGPR: 15
; COMPUTE_PGM_RSRC2:TRAP_HANDLER: 0
; COMPUTE_PGM_RSRC2:TGID_X_EN: 1
; COMPUTE_PGM_RSRC2:TGID_Y_EN: 0
; COMPUTE_PGM_RSRC2:TGID_Z_EN: 0
; COMPUTE_PGM_RSRC2:TIDIG_COMP_CNT: 1
	.section	.text._ZN4vllm3moe17topkGatingSoftmaxIDF16_Li1ELi1ELi8ELi2ELb1ELi2ELNS0_23SharedExpertScoringFuncE1EEEvPKT_PKbPfiPiS9_iiiiii,"axG",@progbits,_ZN4vllm3moe17topkGatingSoftmaxIDF16_Li1ELi1ELi8ELi2ELb1ELi2ELNS0_23SharedExpertScoringFuncE1EEEvPKT_PKbPfiPiS9_iiiiii,comdat
	.protected	_ZN4vllm3moe17topkGatingSoftmaxIDF16_Li1ELi1ELi8ELi2ELb1ELi2ELNS0_23SharedExpertScoringFuncE1EEEvPKT_PKbPfiPiS9_iiiiii ; -- Begin function _ZN4vllm3moe17topkGatingSoftmaxIDF16_Li1ELi1ELi8ELi2ELb1ELi2ELNS0_23SharedExpertScoringFuncE1EEEvPKT_PKbPfiPiS9_iiiiii
	.globl	_ZN4vllm3moe17topkGatingSoftmaxIDF16_Li1ELi1ELi8ELi2ELb1ELi2ELNS0_23SharedExpertScoringFuncE1EEEvPKT_PKbPfiPiS9_iiiiii
	.p2align	8
	.type	_ZN4vllm3moe17topkGatingSoftmaxIDF16_Li1ELi1ELi8ELi2ELb1ELi2ELNS0_23SharedExpertScoringFuncE1EEEvPKT_PKbPfiPiS9_iiiiii,@function
_ZN4vllm3moe17topkGatingSoftmaxIDF16_Li1ELi1ELi8ELi2ELb1ELi2ELNS0_23SharedExpertScoringFuncE1EEEvPKT_PKbPfiPiS9_iiiiii: ; @_ZN4vllm3moe17topkGatingSoftmaxIDF16_Li1ELi1ELi8ELi2ELb1ELi2ELNS0_23SharedExpertScoringFuncE1EEEvPKT_PKbPfiPiS9_iiiiii
; %bb.0:
	s_load_b32 s12, s[0:1], 0x18
	v_bfe_u32 v1, v0, 10, 10
	v_and_b32_e32 v8, 0x3ff, v0
	s_lshl_b32 s13, s15, 8
	s_mov_b32 s2, exec_lo
	s_delay_alu instid0(VALU_DEP_2) | instskip(NEXT) | instid1(VALU_DEP_1)
	v_lshlrev_b32_e32 v7, 5, v1
	v_add3_u32 v9, v7, v8, s13
	s_waitcnt lgkmcnt(0)
	s_delay_alu instid0(VALU_DEP_1)
	v_cmpx_gt_i32_e64 s12, v9
	s_cbranch_execz .LBB110_12
; %bb.1:
	s_clause 0x1
	s_load_b128 s[4:7], s[0:1], 0x0
	s_load_b64 s[8:9], s[0:1], 0x10
	s_waitcnt lgkmcnt(0)
	s_cmp_eq_u64 s[6:7], 0
	s_cbranch_scc1 .LBB110_3
; %bb.2:
	v_ashrrev_i32_e32 v1, 31, v9
	v_add_co_u32 v0, vcc_lo, s6, v9
	s_delay_alu instid0(VALU_DEP_2) | instskip(SKIP_3) | instid1(VALU_DEP_1)
	v_add_co_ci_u32_e32 v1, vcc_lo, s7, v1, vcc_lo
	global_load_u8 v0, v[0:1], off
	s_waitcnt vmcnt(0)
	v_and_b32_e32 v0, 1, v0
	v_cmp_eq_u32_e32 vcc_lo, 1, v0
	s_xor_b32 s2, vcc_lo, -1
	s_delay_alu instid0(SALU_CYCLE_1)
	s_or_not1_b32 s14, s2, exec_lo
	s_branch .LBB110_4
.LBB110_3:
	s_mov_b32 s14, -1
.LBB110_4:
	s_load_b64 s[10:11], s[0:1], 0x40
	s_mov_b32 s2, 0x3fb8aa3b
	s_mov_b32 s3, 0x32a5705f
	s_waitcnt lgkmcnt(0)
	v_mul_lo_u32 v0, v9, s11
	s_delay_alu instid0(VALU_DEP_1) | instskip(NEXT) | instid1(VALU_DEP_1)
	v_ashrrev_i32_e32 v1, 31, v0
	v_lshlrev_b64 v[0:1], 1, v[0:1]
	s_delay_alu instid0(VALU_DEP_1) | instskip(NEXT) | instid1(VALU_DEP_2)
	v_add_co_u32 v2, vcc_lo, s4, v0
	v_add_co_ci_u32_e32 v3, vcc_lo, s5, v1, vcc_lo
	s_load_b128 s[4:7], s[0:1], 0x30
	s_clause 0x1
	global_load_b32 v1, v[2:3], off
	global_load_u16 v0, v[2:3], off offset:4
	s_waitcnt lgkmcnt(0)
	s_cmp_gt_i32 s4, 0
	s_waitcnt vmcnt(1)
	v_lshrrev_b32_e32 v2, 16, v1
	s_waitcnt vmcnt(0)
	v_cvt_f32_f16_e64 v3, -v0
	s_delay_alu instid0(VALU_DEP_2) | instskip(NEXT) | instid1(VALU_DEP_1)
	v_cvt_f32_f16_e64 v2, -v2
	v_dual_mul_f32 v5, 0x3fb8aa3b, v3 :: v_dual_mul_f32 v4, 0x3fb8aa3b, v2
	v_cmp_ngt_f32_e32 vcc_lo, 0xc2ce8ed0, v2
	s_delay_alu instid0(VALU_DEP_2) | instskip(SKIP_1) | instid1(VALU_DEP_4)
	v_fma_mix_f32 v11, -v0, s2, -v5 op_sel_hi:[1,0,0]
	v_rndne_f32_e32 v12, v5
	v_fma_mix_f32 v6, -v1, s2, -v4 op_sel:[1,0,0] op_sel_hi:[1,0,0]
	v_rndne_f32_e32 v10, v4
	s_delay_alu instid0(VALU_DEP_4) | instskip(NEXT) | instid1(VALU_DEP_4)
	v_fma_mix_f32 v0, -v0, s3, v11 op_sel_hi:[1,0,0]
	v_sub_f32_e32 v5, v5, v12
	s_delay_alu instid0(VALU_DEP_4) | instskip(NEXT) | instid1(VALU_DEP_4)
	v_fma_mix_f32 v6, -v1, s3, v6 op_sel:[1,0,0] op_sel_hi:[1,0,0]
	v_sub_f32_e32 v4, v4, v10
	s_delay_alu instid0(VALU_DEP_3) | instskip(SKIP_1) | instid1(VALU_DEP_3)
	v_add_f32_e32 v0, v5, v0
	v_cvt_i32_f32_e32 v5, v10
	v_add_f32_e32 v4, v4, v6
	v_cvt_i32_f32_e32 v6, v12
	s_delay_alu instid0(VALU_DEP_4) | instskip(NEXT) | instid1(VALU_DEP_2)
	v_exp_f32_e32 v0, v0
	v_exp_f32_e32 v4, v4
	s_waitcnt_depctr 0xfff
	v_ldexp_f32 v0, v0, v6
	v_ldexp_f32 v4, v4, v5
	s_delay_alu instid0(VALU_DEP_1) | instskip(SKIP_1) | instid1(VALU_DEP_4)
	v_cndmask_b32_e32 v4, 0, v4, vcc_lo
	v_cmp_ngt_f32_e32 vcc_lo, 0xc2ce8ed0, v3
	v_cndmask_b32_e32 v0, 0, v0, vcc_lo
	v_cmp_nlt_f32_e32 vcc_lo, 0x42b17218, v2
	s_delay_alu instid0(VALU_DEP_4) | instskip(SKIP_1) | instid1(VALU_DEP_2)
	v_cndmask_b32_e32 v2, 0x7f800000, v4, vcc_lo
	v_cmp_nlt_f32_e32 vcc_lo, 0x42b17218, v3
	v_add_f32_e32 v4, 1.0, v2
	v_cndmask_b32_e32 v0, 0x7f800000, v0, vcc_lo
	s_delay_alu instid0(VALU_DEP_2) | instskip(NEXT) | instid1(VALU_DEP_2)
	v_div_scale_f32 v6, null, v4, v4, 1.0
	v_add_f32_e32 v5, 1.0, v0
	v_div_scale_f32 v13, vcc_lo, 1.0, v4, 1.0
	s_delay_alu instid0(VALU_DEP_3) | instskip(NEXT) | instid1(VALU_DEP_2)
	v_rcp_f32_e32 v11, v6
	v_div_scale_f32 v10, null, v5, v5, 1.0
	v_div_scale_f32 v14, s2, 1.0, v5, 1.0
	s_delay_alu instid0(VALU_DEP_2) | instskip(SKIP_2) | instid1(VALU_DEP_1)
	v_rcp_f32_e32 v12, v10
	s_waitcnt_depctr 0xfff
	v_fma_f32 v0, -v6, v11, 1.0
	v_fmac_f32_e32 v11, v0, v11
	v_mul_lo_u32 v0, v9, s7
	v_fma_f32 v2, -v10, v12, 1.0
	s_cselect_b32 s7, -1, 0
	s_cmp_lt_i32 s4, 1
	s_delay_alu instid0(VALU_DEP_1) | instskip(NEXT) | instid1(VALU_DEP_3)
	v_dual_mul_f32 v15, v13, v11 :: v_dual_fmac_f32 v12, v2, v12
	v_add_nc_u32_e32 v2, s4, v0
	s_delay_alu instid0(VALU_DEP_2) | instskip(NEXT) | instid1(VALU_DEP_1)
	v_fma_f32 v3, -v6, v15, v13
	v_dual_mul_f32 v16, v14, v12 :: v_dual_fmac_f32 v15, v3, v11
	s_delay_alu instid0(VALU_DEP_3) | instskip(NEXT) | instid1(VALU_DEP_2)
	v_ashrrev_i32_e32 v3, 31, v2
	v_fma_f32 v17, -v10, v16, v14
	s_delay_alu instid0(VALU_DEP_3) | instskip(NEXT) | instid1(VALU_DEP_3)
	v_fma_f32 v6, -v6, v15, v13
	v_lshlrev_b64 v[2:3], 2, v[2:3]
	s_delay_alu instid0(VALU_DEP_3) | instskip(NEXT) | instid1(VALU_DEP_3)
	v_fmac_f32_e32 v16, v17, v12
	v_div_fmas_f32 v6, v6, v11, v15
	s_mov_b32 vcc_lo, s2
	s_delay_alu instid0(VALU_DEP_2) | instskip(NEXT) | instid1(VALU_DEP_2)
	v_fma_f32 v10, -v10, v16, v14
	v_div_fixup_f32 v4, v6, v4, 1.0
	s_delay_alu instid0(VALU_DEP_2) | instskip(SKIP_2) | instid1(VALU_DEP_3)
	v_div_fmas_f32 v10, v10, v12, v16
	v_add_co_u32 v2, vcc_lo, s8, v2
	v_add_co_ci_u32_e32 v3, vcc_lo, s9, v3, vcc_lo
	v_div_fixup_f32 v5, v10, v5, 1.0
	v_mov_b32_e32 v10, 0
	global_store_b64 v[2:3], v[4:5], off
	s_cbranch_scc1 .LBB110_8
; %bb.5:
	v_cvt_f32_f16_e32 v12, v1
	s_load_b128 s[0:3], s[0:1], 0x20
	v_mul_lo_u32 v2, v9, s10
	s_cmp_lt_i32 s5, 1
	s_cselect_b32 s10, -1, 0
	v_sub_f32_e32 v10, v12, v12
	s_cmp_gt_i32 s6, 0
	s_cselect_b32 s6, -1, 0
	s_sub_i32 s5, 0, s5
	s_delay_alu instid0(VALU_DEP_1) | instskip(SKIP_1) | instid1(SALU_CYCLE_1)
	v_mul_f32_e32 v1, 0x3fb8aa3b, v10
	s_and_b32 s6, s10, s6
	s_and_b32 s6, s14, s6
	s_cmp_eq_u32 s4, 1
	s_delay_alu instid0(VALU_DEP_1) | instskip(SKIP_2) | instid1(VALU_DEP_3)
	v_rndne_f32_e32 v4, v1
	v_fma_f32 v3, 0x3fb8aa3b, v10, -v1
	v_cndmask_b32_e64 v11, 1, s5, s6
	v_sub_f32_e32 v5, v1, v4
	s_delay_alu instid0(VALU_DEP_3) | instskip(SKIP_1) | instid1(VALU_DEP_2)
	v_fmac_f32_e32 v3, 0x32a5705f, v10
	v_ashrrev_i32_e32 v1, 31, v0
	v_add_f32_e32 v3, v5, v3
	s_delay_alu instid0(VALU_DEP_2) | instskip(SKIP_2) | instid1(VALU_DEP_4)
	v_lshlrev_b64 v[13:14], 2, v[0:1]
	v_cvt_i32_f32_e32 v1, v4
	v_mul_lo_u32 v5, v9, s4
	v_exp_f32_e32 v15, v3
	v_ashrrev_i32_e32 v3, 31, v2
	s_delay_alu instid0(VALU_DEP_2) | instskip(NEXT) | instid1(VALU_DEP_2)
	v_ashrrev_i32_e32 v6, 31, v5
	v_lshlrev_b64 v[3:4], 2, v[2:3]
	s_waitcnt_depctr 0xfff
	v_ldexp_f32 v15, v15, v1
	v_add_co_u32 v1, vcc_lo, s8, v13
	v_add_co_ci_u32_e32 v2, vcc_lo, s9, v14, vcc_lo
	v_cmp_ngt_f32_e32 vcc_lo, 0xc2ce8ed0, v10
	v_lshlrev_b64 v[5:6], 2, v[5:6]
	v_cndmask_b32_e32 v15, 0, v15, vcc_lo
	s_waitcnt lgkmcnt(0)
	v_add_co_u32 v13, vcc_lo, s0, v3
	v_add_co_ci_u32_e32 v14, vcc_lo, s1, v4, vcc_lo
	v_cmp_nlt_f32_e32 vcc_lo, 0x42b17218, v10
	v_cndmask_b32_e32 v10, 0x7f800000, v15, vcc_lo
	v_add_co_u32 v15, vcc_lo, s2, v5
	v_add_co_ci_u32_e32 v16, vcc_lo, s3, v6, vcc_lo
	global_store_b32 v[13:14], v11, off
	global_store_b32 v[1:2], v10, off
	;; [unrolled: 1-line block ×3, first 2 shown]
	s_cbranch_scc1 .LBB110_8
; %bb.6:
	v_sub_f32_e32 v9, 0xff800000, v12
	v_add_co_u32 v5, vcc_lo, v5, s2
	v_add_co_ci_u32_e32 v6, vcc_lo, s3, v6, vcc_lo
	s_delay_alu instid0(VALU_DEP_3) | instskip(SKIP_1) | instid1(SALU_CYCLE_1)
	v_mul_f32_e32 v12, 0x3fb8aa3b, v9
	s_add_i32 s13, s13, s12
	v_add3_u32 v7, s13, v8, v7
	s_delay_alu instid0(VALU_DEP_2) | instskip(SKIP_1) | instid1(VALU_DEP_1)
	v_fma_f32 v13, 0x3fb8aa3b, v9, -v12
	v_rndne_f32_e32 v14, v12
	v_dual_sub_f32 v12, v12, v14 :: v_dual_fmamk_f32 v13, v9, 0x32a5705f, v13
	s_delay_alu instid0(VALU_DEP_1) | instskip(SKIP_3) | instid1(VALU_DEP_4)
	v_add_f32_e32 v12, v12, v13
	v_add_co_u32 v13, vcc_lo, v3, s0
	v_cvt_i32_f32_e32 v3, v14
	v_add_co_ci_u32_e32 v15, vcc_lo, s1, v4, vcc_lo
	v_exp_f32_e32 v12, v12
	v_add_co_u32 v1, vcc_lo, v1, 4
	v_add_co_ci_u32_e32 v2, vcc_lo, 0, v2, vcc_lo
	s_add_i32 s0, s4, -1
	s_waitcnt_depctr 0xfff
	v_ldexp_f32 v12, v12, v3
	v_add_co_u32 v3, vcc_lo, v5, 4
	v_add_co_ci_u32_e32 v4, vcc_lo, 0, v6, vcc_lo
	v_cmp_ngt_f32_e32 vcc_lo, 0xc2ce8ed0, v9
	s_delay_alu instid0(VALU_DEP_4) | instskip(SKIP_3) | instid1(VALU_DEP_4)
	v_cndmask_b32_e32 v12, 0, v12, vcc_lo
	v_add_co_u32 v5, vcc_lo, v13, 4
	v_add_co_ci_u32_e32 v6, vcc_lo, 0, v15, vcc_lo
	v_cmp_nlt_f32_e32 vcc_lo, 0x42b17218, v9
	v_cndmask_b32_e32 v9, 0x7f800000, v12, vcc_lo
	.p2align	6
.LBB110_7:                              ; =>This Inner Loop Header: Depth=1
	global_store_b32 v[1:2], v9, off
	global_store_b32 v[5:6], v11, off
	;; [unrolled: 1-line block ×3, first 2 shown]
	v_add_co_u32 v3, vcc_lo, v3, 4
	v_add_co_ci_u32_e32 v4, vcc_lo, 0, v4, vcc_lo
	v_add_co_u32 v5, vcc_lo, v5, 4
	v_add_co_ci_u32_e32 v6, vcc_lo, 0, v6, vcc_lo
	v_add_co_u32 v1, vcc_lo, v1, 4
	v_dual_add_f32 v10, v10, v9 :: v_dual_add_nc_u32 v7, s12, v7
	v_add_co_ci_u32_e32 v2, vcc_lo, 0, v2, vcc_lo
	s_add_i32 s0, s0, -1
	s_delay_alu instid0(SALU_CYCLE_1)
	s_cmp_eq_u32 s0, 0
	s_cbranch_scc0 .LBB110_7
.LBB110_8:
	v_cmp_neq_f32_e32 vcc_lo, 0, v10
	s_and_b32 exec_lo, exec_lo, vcc_lo
	s_cbranch_execz .LBB110_12
; %bb.9:
	s_and_not1_b32 vcc_lo, exec_lo, s7
	s_cbranch_vccnz .LBB110_12
; %bb.10:
	v_div_scale_f32 v1, null, v10, v10, 1.0
	v_div_scale_f32 v4, vcc_lo, 1.0, v10, 1.0
	s_delay_alu instid0(VALU_DEP_2) | instskip(SKIP_2) | instid1(VALU_DEP_1)
	v_rcp_f32_e32 v2, v1
	s_waitcnt_depctr 0xfff
	v_fma_f32 v3, -v1, v2, 1.0
	v_fmac_f32_e32 v2, v3, v2
	s_delay_alu instid0(VALU_DEP_1) | instskip(NEXT) | instid1(VALU_DEP_1)
	v_mul_f32_e32 v3, v4, v2
	v_fma_f32 v5, -v1, v3, v4
	s_delay_alu instid0(VALU_DEP_1) | instskip(NEXT) | instid1(VALU_DEP_1)
	v_fmac_f32_e32 v3, v5, v2
	v_fma_f32 v4, -v1, v3, v4
	v_ashrrev_i32_e32 v1, 31, v0
	s_delay_alu instid0(VALU_DEP_2) | instskip(NEXT) | instid1(VALU_DEP_2)
	v_div_fmas_f32 v2, v4, v2, v3
	v_lshlrev_b64 v[0:1], 2, v[0:1]
	s_delay_alu instid0(VALU_DEP_2) | instskip(NEXT) | instid1(VALU_DEP_2)
	v_div_fixup_f32 v2, v2, v10, 1.0
	v_add_co_u32 v0, vcc_lo, s8, v0
	s_delay_alu instid0(VALU_DEP_3)
	v_add_co_ci_u32_e32 v1, vcc_lo, s9, v1, vcc_lo
.LBB110_11:                             ; =>This Inner Loop Header: Depth=1
	global_load_b32 v3, v[0:1], off
	s_add_i32 s4, s4, -1
	s_delay_alu instid0(SALU_CYCLE_1)
	s_cmp_lg_u32 s4, 0
	s_waitcnt vmcnt(0)
	v_mul_f32_e32 v3, v2, v3
	global_store_b32 v[0:1], v3, off
	v_add_co_u32 v0, vcc_lo, v0, 4
	v_add_co_ci_u32_e32 v1, vcc_lo, 0, v1, vcc_lo
	s_cbranch_scc1 .LBB110_11
.LBB110_12:
	s_nop 0
	s_sendmsg sendmsg(MSG_DEALLOC_VGPRS)
	s_endpgm
	.section	.rodata,"a",@progbits
	.p2align	6, 0x0
	.amdhsa_kernel _ZN4vllm3moe17topkGatingSoftmaxIDF16_Li1ELi1ELi8ELi2ELb1ELi2ELNS0_23SharedExpertScoringFuncE1EEEvPKT_PKbPfiPiS9_iiiiii
		.amdhsa_group_segment_fixed_size 0
		.amdhsa_private_segment_fixed_size 0
		.amdhsa_kernarg_size 72
		.amdhsa_user_sgpr_count 15
		.amdhsa_user_sgpr_dispatch_ptr 0
		.amdhsa_user_sgpr_queue_ptr 0
		.amdhsa_user_sgpr_kernarg_segment_ptr 1
		.amdhsa_user_sgpr_dispatch_id 0
		.amdhsa_user_sgpr_private_segment_size 0
		.amdhsa_wavefront_size32 1
		.amdhsa_uses_dynamic_stack 0
		.amdhsa_enable_private_segment 0
		.amdhsa_system_sgpr_workgroup_id_x 1
		.amdhsa_system_sgpr_workgroup_id_y 0
		.amdhsa_system_sgpr_workgroup_id_z 0
		.amdhsa_system_sgpr_workgroup_info 0
		.amdhsa_system_vgpr_workitem_id 1
		.amdhsa_next_free_vgpr 18
		.amdhsa_next_free_sgpr 16
		.amdhsa_reserve_vcc 1
		.amdhsa_float_round_mode_32 0
		.amdhsa_float_round_mode_16_64 0
		.amdhsa_float_denorm_mode_32 3
		.amdhsa_float_denorm_mode_16_64 3
		.amdhsa_dx10_clamp 1
		.amdhsa_ieee_mode 1
		.amdhsa_fp16_overflow 0
		.amdhsa_workgroup_processor_mode 1
		.amdhsa_memory_ordered 1
		.amdhsa_forward_progress 0
		.amdhsa_shared_vgpr_count 0
		.amdhsa_exception_fp_ieee_invalid_op 0
		.amdhsa_exception_fp_denorm_src 0
		.amdhsa_exception_fp_ieee_div_zero 0
		.amdhsa_exception_fp_ieee_overflow 0
		.amdhsa_exception_fp_ieee_underflow 0
		.amdhsa_exception_fp_ieee_inexact 0
		.amdhsa_exception_int_div_zero 0
	.end_amdhsa_kernel
	.section	.text._ZN4vllm3moe17topkGatingSoftmaxIDF16_Li1ELi1ELi8ELi2ELb1ELi2ELNS0_23SharedExpertScoringFuncE1EEEvPKT_PKbPfiPiS9_iiiiii,"axG",@progbits,_ZN4vllm3moe17topkGatingSoftmaxIDF16_Li1ELi1ELi8ELi2ELb1ELi2ELNS0_23SharedExpertScoringFuncE1EEEvPKT_PKbPfiPiS9_iiiiii,comdat
.Lfunc_end110:
	.size	_ZN4vllm3moe17topkGatingSoftmaxIDF16_Li1ELi1ELi8ELi2ELb1ELi2ELNS0_23SharedExpertScoringFuncE1EEEvPKT_PKbPfiPiS9_iiiiii, .Lfunc_end110-_ZN4vllm3moe17topkGatingSoftmaxIDF16_Li1ELi1ELi8ELi2ELb1ELi2ELNS0_23SharedExpertScoringFuncE1EEEvPKT_PKbPfiPiS9_iiiiii
                                        ; -- End function
	.section	.AMDGPU.csdata,"",@progbits
; Kernel info:
; codeLenInByte = 1508
; NumSgprs: 18
; NumVgprs: 18
; ScratchSize: 0
; MemoryBound: 0
; FloatMode: 240
; IeeeMode: 1
; LDSByteSize: 0 bytes/workgroup (compile time only)
; SGPRBlocks: 2
; VGPRBlocks: 2
; NumSGPRsForWavesPerEU: 18
; NumVGPRsForWavesPerEU: 18
; Occupancy: 16
; WaveLimiterHint : 0
; COMPUTE_PGM_RSRC2:SCRATCH_EN: 0
; COMPUTE_PGM_RSRC2:USER_SGPR: 15
; COMPUTE_PGM_RSRC2:TRAP_HANDLER: 0
; COMPUTE_PGM_RSRC2:TGID_X_EN: 1
; COMPUTE_PGM_RSRC2:TGID_Y_EN: 0
; COMPUTE_PGM_RSRC2:TGID_Z_EN: 0
; COMPUTE_PGM_RSRC2:TIDIG_COMP_CNT: 1
	.section	.text._ZN4vllm3moe17topkGatingSoftmaxIDF16_Li1ELi1ELi8ELi2ELb0ELi2ELNS0_23SharedExpertScoringFuncE1EEEvPKT_PKbPfiPiS9_iiiiii,"axG",@progbits,_ZN4vllm3moe17topkGatingSoftmaxIDF16_Li1ELi1ELi8ELi2ELb0ELi2ELNS0_23SharedExpertScoringFuncE1EEEvPKT_PKbPfiPiS9_iiiiii,comdat
	.protected	_ZN4vllm3moe17topkGatingSoftmaxIDF16_Li1ELi1ELi8ELi2ELb0ELi2ELNS0_23SharedExpertScoringFuncE1EEEvPKT_PKbPfiPiS9_iiiiii ; -- Begin function _ZN4vllm3moe17topkGatingSoftmaxIDF16_Li1ELi1ELi8ELi2ELb0ELi2ELNS0_23SharedExpertScoringFuncE1EEEvPKT_PKbPfiPiS9_iiiiii
	.globl	_ZN4vllm3moe17topkGatingSoftmaxIDF16_Li1ELi1ELi8ELi2ELb0ELi2ELNS0_23SharedExpertScoringFuncE1EEEvPKT_PKbPfiPiS9_iiiiii
	.p2align	8
	.type	_ZN4vllm3moe17topkGatingSoftmaxIDF16_Li1ELi1ELi8ELi2ELb0ELi2ELNS0_23SharedExpertScoringFuncE1EEEvPKT_PKbPfiPiS9_iiiiii,@function
_ZN4vllm3moe17topkGatingSoftmaxIDF16_Li1ELi1ELi8ELi2ELb0ELi2ELNS0_23SharedExpertScoringFuncE1EEEvPKT_PKbPfiPiS9_iiiiii: ; @_ZN4vllm3moe17topkGatingSoftmaxIDF16_Li1ELi1ELi8ELi2ELb0ELi2ELNS0_23SharedExpertScoringFuncE1EEEvPKT_PKbPfiPiS9_iiiiii
; %bb.0:
	s_load_b32 s12, s[0:1], 0x18
	v_bfe_u32 v1, v0, 10, 10
	v_and_b32_e32 v8, 0x3ff, v0
	s_lshl_b32 s13, s15, 8
	s_mov_b32 s2, exec_lo
	s_delay_alu instid0(VALU_DEP_2) | instskip(NEXT) | instid1(VALU_DEP_1)
	v_lshlrev_b32_e32 v7, 5, v1
	v_add3_u32 v9, v7, v8, s13
	s_waitcnt lgkmcnt(0)
	s_delay_alu instid0(VALU_DEP_1)
	v_cmpx_gt_i32_e64 s12, v9
	s_cbranch_execz .LBB111_13
; %bb.1:
	s_clause 0x1
	s_load_b128 s[4:7], s[0:1], 0x0
	s_load_b64 s[8:9], s[0:1], 0x10
	s_waitcnt lgkmcnt(0)
	s_cmp_eq_u64 s[6:7], 0
	s_cbranch_scc1 .LBB111_3
; %bb.2:
	v_ashrrev_i32_e32 v1, 31, v9
	v_add_co_u32 v0, vcc_lo, s6, v9
	s_delay_alu instid0(VALU_DEP_2) | instskip(SKIP_3) | instid1(VALU_DEP_1)
	v_add_co_ci_u32_e32 v1, vcc_lo, s7, v1, vcc_lo
	global_load_u8 v0, v[0:1], off
	s_waitcnt vmcnt(0)
	v_and_b32_e32 v0, 1, v0
	v_cmp_eq_u32_e32 vcc_lo, 1, v0
	s_xor_b32 s2, vcc_lo, -1
	s_delay_alu instid0(SALU_CYCLE_1)
	s_or_not1_b32 s14, s2, exec_lo
	s_branch .LBB111_4
.LBB111_3:
	s_mov_b32 s14, -1
.LBB111_4:
	s_load_b64 s[10:11], s[0:1], 0x40
	s_mov_b32 s2, 0x3fb8aa3b
	s_mov_b32 s3, 0x32a5705f
	s_waitcnt lgkmcnt(0)
	v_mul_lo_u32 v0, v9, s11
	s_delay_alu instid0(VALU_DEP_1) | instskip(NEXT) | instid1(VALU_DEP_1)
	v_ashrrev_i32_e32 v1, 31, v0
	v_lshlrev_b64 v[0:1], 1, v[0:1]
	s_delay_alu instid0(VALU_DEP_1) | instskip(NEXT) | instid1(VALU_DEP_2)
	v_add_co_u32 v0, vcc_lo, s4, v0
	v_add_co_ci_u32_e32 v1, vcc_lo, s5, v1, vcc_lo
	s_load_b128 s[4:7], s[0:1], 0x30
	s_clause 0x1
	global_load_b32 v3, v[0:1], off
	global_load_u16 v0, v[0:1], off offset:4
	s_waitcnt lgkmcnt(0)
	s_cmp_gt_i32 s4, 0
	s_waitcnt vmcnt(1)
	v_lshrrev_b32_e32 v1, 16, v3
	s_waitcnt vmcnt(0)
	v_cvt_f32_f16_e64 v2, -v0
	s_delay_alu instid0(VALU_DEP_2) | instskip(NEXT) | instid1(VALU_DEP_1)
	v_cvt_f32_f16_e64 v1, -v1
	v_dual_mul_f32 v5, 0x3fb8aa3b, v2 :: v_dual_mul_f32 v4, 0x3fb8aa3b, v1
	v_cmp_ngt_f32_e32 vcc_lo, 0xc2ce8ed0, v1
	s_delay_alu instid0(VALU_DEP_2) | instskip(SKIP_1) | instid1(VALU_DEP_4)
	v_fma_mix_f32 v11, -v0, s2, -v5 op_sel_hi:[1,0,0]
	v_rndne_f32_e32 v12, v5
	v_fma_mix_f32 v6, -v3, s2, -v4 op_sel:[1,0,0] op_sel_hi:[1,0,0]
	v_rndne_f32_e32 v10, v4
	s_delay_alu instid0(VALU_DEP_4) | instskip(NEXT) | instid1(VALU_DEP_4)
	v_fma_mix_f32 v0, -v0, s3, v11 op_sel_hi:[1,0,0]
	v_sub_f32_e32 v5, v5, v12
	s_delay_alu instid0(VALU_DEP_4) | instskip(NEXT) | instid1(VALU_DEP_4)
	v_fma_mix_f32 v6, -v3, s3, v6 op_sel:[1,0,0] op_sel_hi:[1,0,0]
	v_sub_f32_e32 v4, v4, v10
	s_delay_alu instid0(VALU_DEP_3) | instskip(SKIP_1) | instid1(VALU_DEP_3)
	v_add_f32_e32 v0, v5, v0
	v_cvt_i32_f32_e32 v5, v10
	v_add_f32_e32 v4, v4, v6
	v_cvt_i32_f32_e32 v6, v12
	s_delay_alu instid0(VALU_DEP_4) | instskip(NEXT) | instid1(VALU_DEP_2)
	v_exp_f32_e32 v0, v0
	v_exp_f32_e32 v4, v4
	s_waitcnt_depctr 0xfff
	v_ldexp_f32 v0, v0, v6
	v_ldexp_f32 v4, v4, v5
	s_delay_alu instid0(VALU_DEP_1) | instskip(SKIP_1) | instid1(VALU_DEP_4)
	v_cndmask_b32_e32 v4, 0, v4, vcc_lo
	v_cmp_ngt_f32_e32 vcc_lo, 0xc2ce8ed0, v2
	v_cndmask_b32_e32 v0, 0, v0, vcc_lo
	v_cmp_nlt_f32_e32 vcc_lo, 0x42b17218, v1
	s_delay_alu instid0(VALU_DEP_4) | instskip(SKIP_1) | instid1(VALU_DEP_4)
	v_cndmask_b32_e32 v1, 0x7f800000, v4, vcc_lo
	v_cmp_nlt_f32_e32 vcc_lo, 0x42b17218, v2
	v_cndmask_b32_e32 v0, 0x7f800000, v0, vcc_lo
	s_delay_alu instid0(VALU_DEP_1) | instskip(SKIP_3) | instid1(VALU_DEP_2)
	v_add_f32_e32 v6, 1.0, v0
	v_mul_lo_u32 v0, v9, s7
	s_cselect_b32 s7, -1, 0
	s_cmp_lt_i32 s4, 1
	v_div_scale_f32 v11, null, v6, v6, 1.0
	v_div_scale_f32 v14, s2, 1.0, v6, 1.0
	s_delay_alu instid0(VALU_DEP_2) | instskip(SKIP_2) | instid1(VALU_DEP_1)
	v_rcp_f32_e32 v13, v11
	s_waitcnt_depctr 0xfff
	v_fma_f32 v2, -v11, v13, 1.0
	v_fmac_f32_e32 v13, v2, v13
	s_delay_alu instid0(VALU_DEP_1) | instskip(SKIP_1) | instid1(VALU_DEP_2)
	v_mul_f32_e32 v16, v14, v13
	v_add_f32_e32 v5, 1.0, v1
	v_fma_f32 v18, -v11, v16, v14
	s_delay_alu instid0(VALU_DEP_2) | instskip(SKIP_1) | instid1(VALU_DEP_3)
	v_div_scale_f32 v4, null, v5, v5, 1.0
	v_div_scale_f32 v10, vcc_lo, 1.0, v5, 1.0
	v_fmac_f32_e32 v16, v18, v13
	s_delay_alu instid0(VALU_DEP_3) | instskip(SKIP_2) | instid1(VALU_DEP_1)
	v_rcp_f32_e32 v12, v4
	s_waitcnt_depctr 0xfff
	v_fma_f32 v1, -v4, v12, 1.0
	v_fmac_f32_e32 v12, v1, v12
	v_add_nc_u32_e32 v1, s4, v0
	s_delay_alu instid0(VALU_DEP_2) | instskip(NEXT) | instid1(VALU_DEP_2)
	v_mul_f32_e32 v15, v10, v12
	v_ashrrev_i32_e32 v2, 31, v1
	s_delay_alu instid0(VALU_DEP_2) | instskip(NEXT) | instid1(VALU_DEP_2)
	v_fma_f32 v17, -v4, v15, v10
	v_lshlrev_b64 v[1:2], 2, v[1:2]
	s_delay_alu instid0(VALU_DEP_2) | instskip(NEXT) | instid1(VALU_DEP_1)
	v_fmac_f32_e32 v15, v17, v12
	v_fma_f32 v4, -v4, v15, v10
	v_cvt_f32_f16_e32 v10, v3
	v_fma_f32 v3, -v11, v16, v14
	s_delay_alu instid0(VALU_DEP_3) | instskip(SKIP_1) | instid1(VALU_DEP_2)
	v_div_fmas_f32 v11, v4, v12, v15
	s_mov_b32 vcc_lo, s2
	v_div_fmas_f32 v12, v3, v13, v16
	v_add_co_u32 v3, vcc_lo, s8, v1
	v_add_co_ci_u32_e32 v4, vcc_lo, s9, v2, vcc_lo
	v_div_fixup_f32 v5, v11, v5, 1.0
	s_delay_alu instid0(VALU_DEP_4)
	v_div_fixup_f32 v6, v12, v6, 1.0
	v_mov_b32_e32 v11, 0
	v_mov_b32_e32 v1, v10
	global_store_b64 v[3:4], v[5:6], off
	s_cbranch_scc1 .LBB111_9
; %bb.5:
	v_sub_f32_e32 v11, v10, v10
	s_load_b128 s[0:3], s[0:1], 0x20
	v_mul_lo_u32 v2, v9, s10
	s_cmp_lt_i32 s5, 1
	s_cselect_b32 s10, -1, 0
	v_mul_f32_e32 v1, 0x3fb8aa3b, v11
	s_cmp_gt_i32 s6, 0
	s_cselect_b32 s6, -1, 0
	s_sub_i32 s5, 0, s5
	s_delay_alu instid0(VALU_DEP_1) | instskip(SKIP_2) | instid1(SALU_CYCLE_1)
	v_rndne_f32_e32 v4, v1
	v_fma_f32 v3, 0x3fb8aa3b, v11, -v1
	s_and_b32 s6, s10, s6
	s_and_b32 s6, s14, s6
	s_delay_alu instid0(VALU_DEP_2) | instskip(NEXT) | instid1(VALU_DEP_2)
	v_sub_f32_e32 v5, v1, v4
	v_fmac_f32_e32 v3, 0x32a5705f, v11
	v_ashrrev_i32_e32 v1, 31, v0
	v_cndmask_b32_e64 v12, 1, s5, s6
	s_cmp_eq_u32 s4, 1
	s_delay_alu instid0(VALU_DEP_3) | instskip(NEXT) | instid1(VALU_DEP_3)
	v_add_f32_e32 v3, v5, v3
	v_lshlrev_b64 v[13:14], 2, v[0:1]
	v_cvt_i32_f32_e32 v1, v4
	v_mul_lo_u32 v5, v9, s4
	s_delay_alu instid0(VALU_DEP_4) | instskip(SKIP_1) | instid1(VALU_DEP_2)
	v_exp_f32_e32 v15, v3
	v_ashrrev_i32_e32 v3, 31, v2
	v_ashrrev_i32_e32 v6, 31, v5
	s_delay_alu instid0(VALU_DEP_2)
	v_lshlrev_b64 v[3:4], 2, v[2:3]
	s_waitcnt_depctr 0xfff
	v_ldexp_f32 v15, v15, v1
	v_add_co_u32 v1, vcc_lo, s8, v13
	v_add_co_ci_u32_e32 v2, vcc_lo, s9, v14, vcc_lo
	v_cmp_ngt_f32_e32 vcc_lo, 0xc2ce8ed0, v11
	v_lshlrev_b64 v[5:6], 2, v[5:6]
	v_cndmask_b32_e32 v15, 0, v15, vcc_lo
	s_waitcnt lgkmcnt(0)
	v_add_co_u32 v13, vcc_lo, s0, v3
	v_add_co_ci_u32_e32 v14, vcc_lo, s1, v4, vcc_lo
	v_cmp_nlt_f32_e32 vcc_lo, 0x42b17218, v11
	v_cndmask_b32_e32 v11, 0x7f800000, v15, vcc_lo
	v_add_co_u32 v15, vcc_lo, s2, v5
	v_add_co_ci_u32_e32 v16, vcc_lo, s3, v6, vcc_lo
	global_store_b32 v[13:14], v12, off
	global_store_b32 v[1:2], v11, off
	;; [unrolled: 1-line block ×3, first 2 shown]
	s_cbranch_scc1 .LBB111_8
; %bb.6:
	v_sub_f32_e32 v9, 0xff800000, v10
	v_add_co_u32 v5, vcc_lo, v5, s2
	v_add_co_ci_u32_e32 v6, vcc_lo, s3, v6, vcc_lo
	s_delay_alu instid0(VALU_DEP_3) | instskip(SKIP_1) | instid1(SALU_CYCLE_1)
	v_mul_f32_e32 v13, 0x3fb8aa3b, v9
	s_add_i32 s13, s13, s12
	v_add3_u32 v7, s13, v8, v7
	s_delay_alu instid0(VALU_DEP_2) | instskip(SKIP_1) | instid1(VALU_DEP_2)
	v_fma_f32 v14, 0x3fb8aa3b, v9, -v13
	v_rndne_f32_e32 v15, v13
	v_fmamk_f32 v14, v9, 0x32a5705f, v14
	s_delay_alu instid0(VALU_DEP_2) | instskip(NEXT) | instid1(VALU_DEP_1)
	v_sub_f32_e32 v13, v13, v15
	v_add_f32_e32 v13, v13, v14
	v_add_co_u32 v14, vcc_lo, v3, s0
	v_cvt_i32_f32_e32 v3, v15
	v_add_co_ci_u32_e32 v16, vcc_lo, s1, v4, vcc_lo
	s_delay_alu instid0(VALU_DEP_4)
	v_exp_f32_e32 v13, v13
	v_add_co_u32 v1, vcc_lo, v1, 4
	v_add_co_ci_u32_e32 v2, vcc_lo, 0, v2, vcc_lo
	s_add_i32 s0, s4, -1
	s_waitcnt_depctr 0xfff
	v_ldexp_f32 v13, v13, v3
	v_add_co_u32 v3, vcc_lo, v5, 4
	v_add_co_ci_u32_e32 v4, vcc_lo, 0, v6, vcc_lo
	v_cmp_ngt_f32_e32 vcc_lo, 0xc2ce8ed0, v9
	s_delay_alu instid0(VALU_DEP_4) | instskip(SKIP_3) | instid1(VALU_DEP_4)
	v_cndmask_b32_e32 v13, 0, v13, vcc_lo
	v_add_co_u32 v5, vcc_lo, v14, 4
	v_add_co_ci_u32_e32 v6, vcc_lo, 0, v16, vcc_lo
	v_cmp_nlt_f32_e32 vcc_lo, 0x42b17218, v9
	v_cndmask_b32_e32 v9, 0x7f800000, v13, vcc_lo
	.p2align	6
.LBB111_7:                              ; =>This Inner Loop Header: Depth=1
	global_store_b32 v[1:2], v9, off
	global_store_b32 v[5:6], v12, off
	;; [unrolled: 1-line block ×3, first 2 shown]
	v_add_co_u32 v3, vcc_lo, v3, 4
	v_add_co_ci_u32_e32 v4, vcc_lo, 0, v4, vcc_lo
	v_add_co_u32 v5, vcc_lo, v5, 4
	v_add_co_ci_u32_e32 v6, vcc_lo, 0, v6, vcc_lo
	v_add_co_u32 v1, vcc_lo, v1, 4
	v_add_f32_e32 v11, v11, v9
	v_add_co_ci_u32_e32 v2, vcc_lo, 0, v2, vcc_lo
	v_add_nc_u32_e32 v7, s12, v7
	s_add_i32 s0, s0, -1
	s_delay_alu instid0(SALU_CYCLE_1)
	s_cmp_eq_u32 s0, 0
	s_cbranch_scc0 .LBB111_7
.LBB111_8:
	v_mov_b32_e32 v1, 0xff800000
.LBB111_9:
	s_delay_alu instid0(VALU_DEP_1) | instskip(NEXT) | instid1(VALU_DEP_1)
	v_sub_f32_e32 v1, v1, v10
	v_mul_f32_e32 v2, 0x3fb8aa3b, v1
	s_delay_alu instid0(VALU_DEP_1) | instskip(SKIP_1) | instid1(VALU_DEP_1)
	v_fma_f32 v3, 0x3fb8aa3b, v1, -v2
	v_rndne_f32_e32 v4, v2
	v_sub_f32_e32 v2, v2, v4
	v_cmp_ngt_f32_e32 vcc_lo, 0xc2ce8ed0, v1
	s_delay_alu instid0(VALU_DEP_4) | instskip(NEXT) | instid1(VALU_DEP_1)
	v_fmac_f32_e32 v3, 0x32a5705f, v1
	v_add_f32_e32 v2, v2, v3
	v_cvt_i32_f32_e32 v3, v4
	s_delay_alu instid0(VALU_DEP_2) | instskip(SKIP_2) | instid1(VALU_DEP_1)
	v_exp_f32_e32 v2, v2
	s_waitcnt_depctr 0xfff
	v_ldexp_f32 v2, v2, v3
	v_cndmask_b32_e32 v2, 0, v2, vcc_lo
	v_cmp_nlt_f32_e32 vcc_lo, 0x42b17218, v1
	s_delay_alu instid0(VALU_DEP_2) | instskip(NEXT) | instid1(VALU_DEP_1)
	v_cndmask_b32_e32 v1, 0x7f800000, v2, vcc_lo
	v_add_f32_e32 v2, v11, v1
	s_delay_alu instid0(VALU_DEP_1)
	v_cmp_neq_f32_e32 vcc_lo, 0, v2
	s_and_b32 exec_lo, exec_lo, vcc_lo
	s_cbranch_execz .LBB111_13
; %bb.10:
	s_and_not1_b32 vcc_lo, exec_lo, s7
	s_cbranch_vccnz .LBB111_13
; %bb.11:
	v_div_scale_f32 v1, null, v2, v2, 1.0
	v_div_scale_f32 v5, vcc_lo, 1.0, v2, 1.0
	s_delay_alu instid0(VALU_DEP_2) | instskip(SKIP_2) | instid1(VALU_DEP_1)
	v_rcp_f32_e32 v3, v1
	s_waitcnt_depctr 0xfff
	v_fma_f32 v4, -v1, v3, 1.0
	v_fmac_f32_e32 v3, v4, v3
	s_delay_alu instid0(VALU_DEP_1) | instskip(NEXT) | instid1(VALU_DEP_1)
	v_mul_f32_e32 v4, v5, v3
	v_fma_f32 v6, -v1, v4, v5
	s_delay_alu instid0(VALU_DEP_1) | instskip(NEXT) | instid1(VALU_DEP_1)
	v_fmac_f32_e32 v4, v6, v3
	v_fma_f32 v5, -v1, v4, v5
	v_ashrrev_i32_e32 v1, 31, v0
	s_delay_alu instid0(VALU_DEP_2) | instskip(NEXT) | instid1(VALU_DEP_2)
	v_div_fmas_f32 v3, v5, v3, v4
	v_lshlrev_b64 v[0:1], 2, v[0:1]
	s_delay_alu instid0(VALU_DEP_2) | instskip(NEXT) | instid1(VALU_DEP_2)
	v_div_fixup_f32 v2, v3, v2, 1.0
	v_add_co_u32 v0, vcc_lo, s8, v0
	s_delay_alu instid0(VALU_DEP_3)
	v_add_co_ci_u32_e32 v1, vcc_lo, s9, v1, vcc_lo
.LBB111_12:                             ; =>This Inner Loop Header: Depth=1
	global_load_b32 v3, v[0:1], off
	s_add_i32 s4, s4, -1
	s_delay_alu instid0(SALU_CYCLE_1)
	s_cmp_lg_u32 s4, 0
	s_waitcnt vmcnt(0)
	v_mul_f32_e32 v3, v2, v3
	global_store_b32 v[0:1], v3, off
	v_add_co_u32 v0, vcc_lo, v0, 4
	v_add_co_ci_u32_e32 v1, vcc_lo, 0, v1, vcc_lo
	s_cbranch_scc1 .LBB111_12
.LBB111_13:
	s_nop 0
	s_sendmsg sendmsg(MSG_DEALLOC_VGPRS)
	s_endpgm
	.section	.rodata,"a",@progbits
	.p2align	6, 0x0
	.amdhsa_kernel _ZN4vllm3moe17topkGatingSoftmaxIDF16_Li1ELi1ELi8ELi2ELb0ELi2ELNS0_23SharedExpertScoringFuncE1EEEvPKT_PKbPfiPiS9_iiiiii
		.amdhsa_group_segment_fixed_size 0
		.amdhsa_private_segment_fixed_size 0
		.amdhsa_kernarg_size 72
		.amdhsa_user_sgpr_count 15
		.amdhsa_user_sgpr_dispatch_ptr 0
		.amdhsa_user_sgpr_queue_ptr 0
		.amdhsa_user_sgpr_kernarg_segment_ptr 1
		.amdhsa_user_sgpr_dispatch_id 0
		.amdhsa_user_sgpr_private_segment_size 0
		.amdhsa_wavefront_size32 1
		.amdhsa_uses_dynamic_stack 0
		.amdhsa_enable_private_segment 0
		.amdhsa_system_sgpr_workgroup_id_x 1
		.amdhsa_system_sgpr_workgroup_id_y 0
		.amdhsa_system_sgpr_workgroup_id_z 0
		.amdhsa_system_sgpr_workgroup_info 0
		.amdhsa_system_vgpr_workitem_id 1
		.amdhsa_next_free_vgpr 19
		.amdhsa_next_free_sgpr 16
		.amdhsa_reserve_vcc 1
		.amdhsa_float_round_mode_32 0
		.amdhsa_float_round_mode_16_64 0
		.amdhsa_float_denorm_mode_32 3
		.amdhsa_float_denorm_mode_16_64 3
		.amdhsa_dx10_clamp 1
		.amdhsa_ieee_mode 1
		.amdhsa_fp16_overflow 0
		.amdhsa_workgroup_processor_mode 1
		.amdhsa_memory_ordered 1
		.amdhsa_forward_progress 0
		.amdhsa_shared_vgpr_count 0
		.amdhsa_exception_fp_ieee_invalid_op 0
		.amdhsa_exception_fp_denorm_src 0
		.amdhsa_exception_fp_ieee_div_zero 0
		.amdhsa_exception_fp_ieee_overflow 0
		.amdhsa_exception_fp_ieee_underflow 0
		.amdhsa_exception_fp_ieee_inexact 0
		.amdhsa_exception_int_div_zero 0
	.end_amdhsa_kernel
	.section	.text._ZN4vllm3moe17topkGatingSoftmaxIDF16_Li1ELi1ELi8ELi2ELb0ELi2ELNS0_23SharedExpertScoringFuncE1EEEvPKT_PKbPfiPiS9_iiiiii,"axG",@progbits,_ZN4vllm3moe17topkGatingSoftmaxIDF16_Li1ELi1ELi8ELi2ELb0ELi2ELNS0_23SharedExpertScoringFuncE1EEEvPKT_PKbPfiPiS9_iiiiii,comdat
.Lfunc_end111:
	.size	_ZN4vllm3moe17topkGatingSoftmaxIDF16_Li1ELi1ELi8ELi2ELb0ELi2ELNS0_23SharedExpertScoringFuncE1EEEvPKT_PKbPfiPiS9_iiiiii, .Lfunc_end111-_ZN4vllm3moe17topkGatingSoftmaxIDF16_Li1ELi1ELi8ELi2ELb0ELi2ELNS0_23SharedExpertScoringFuncE1EEEvPKT_PKbPfiPiS9_iiiiii
                                        ; -- End function
	.section	.AMDGPU.csdata,"",@progbits
; Kernel info:
; codeLenInByte = 1648
; NumSgprs: 18
; NumVgprs: 19
; ScratchSize: 0
; MemoryBound: 0
; FloatMode: 240
; IeeeMode: 1
; LDSByteSize: 0 bytes/workgroup (compile time only)
; SGPRBlocks: 2
; VGPRBlocks: 2
; NumSGPRsForWavesPerEU: 18
; NumVGPRsForWavesPerEU: 19
; Occupancy: 16
; WaveLimiterHint : 0
; COMPUTE_PGM_RSRC2:SCRATCH_EN: 0
; COMPUTE_PGM_RSRC2:USER_SGPR: 15
; COMPUTE_PGM_RSRC2:TRAP_HANDLER: 0
; COMPUTE_PGM_RSRC2:TGID_X_EN: 1
; COMPUTE_PGM_RSRC2:TGID_Y_EN: 0
; COMPUTE_PGM_RSRC2:TGID_Z_EN: 0
; COMPUTE_PGM_RSRC2:TIDIG_COMP_CNT: 1
	.section	.text._ZN4vllm3moe17topkGatingSoftmaxIDF16_Li1ELi1ELi8ELi2ELb1ELi4ELNS0_23SharedExpertScoringFuncE1EEEvPKT_PKbPfiPiS9_iiiiii,"axG",@progbits,_ZN4vllm3moe17topkGatingSoftmaxIDF16_Li1ELi1ELi8ELi2ELb1ELi4ELNS0_23SharedExpertScoringFuncE1EEEvPKT_PKbPfiPiS9_iiiiii,comdat
	.protected	_ZN4vllm3moe17topkGatingSoftmaxIDF16_Li1ELi1ELi8ELi2ELb1ELi4ELNS0_23SharedExpertScoringFuncE1EEEvPKT_PKbPfiPiS9_iiiiii ; -- Begin function _ZN4vllm3moe17topkGatingSoftmaxIDF16_Li1ELi1ELi8ELi2ELb1ELi4ELNS0_23SharedExpertScoringFuncE1EEEvPKT_PKbPfiPiS9_iiiiii
	.globl	_ZN4vllm3moe17topkGatingSoftmaxIDF16_Li1ELi1ELi8ELi2ELb1ELi4ELNS0_23SharedExpertScoringFuncE1EEEvPKT_PKbPfiPiS9_iiiiii
	.p2align	8
	.type	_ZN4vllm3moe17topkGatingSoftmaxIDF16_Li1ELi1ELi8ELi2ELb1ELi4ELNS0_23SharedExpertScoringFuncE1EEEvPKT_PKbPfiPiS9_iiiiii,@function
_ZN4vllm3moe17topkGatingSoftmaxIDF16_Li1ELi1ELi8ELi2ELb1ELi4ELNS0_23SharedExpertScoringFuncE1EEEvPKT_PKbPfiPiS9_iiiiii: ; @_ZN4vllm3moe17topkGatingSoftmaxIDF16_Li1ELi1ELi8ELi2ELb1ELi4ELNS0_23SharedExpertScoringFuncE1EEEvPKT_PKbPfiPiS9_iiiiii
; %bb.0:
	s_load_b32 s14, s[0:1], 0x18
	v_bfe_u32 v1, v0, 10, 10
	v_and_b32_e32 v8, 0x3ff, v0
	s_lshl_b32 s15, s15, 8
	s_mov_b32 s2, exec_lo
	s_delay_alu instid0(VALU_DEP_2) | instskip(NEXT) | instid1(VALU_DEP_1)
	v_lshlrev_b32_e32 v7, 5, v1
	v_add3_u32 v9, v7, v8, s15
	s_waitcnt lgkmcnt(0)
	s_delay_alu instid0(VALU_DEP_1)
	v_cmpx_gt_i32_e64 s14, v9
	s_cbranch_execz .LBB112_12
; %bb.1:
	s_clause 0x1
	s_load_b128 s[4:7], s[0:1], 0x0
	s_load_b64 s[12:13], s[0:1], 0x10
	s_waitcnt lgkmcnt(0)
	s_cmp_eq_u64 s[6:7], 0
	s_cbranch_scc1 .LBB112_3
; %bb.2:
	v_ashrrev_i32_e32 v1, 31, v9
	v_add_co_u32 v0, vcc_lo, s6, v9
	s_delay_alu instid0(VALU_DEP_2) | instskip(SKIP_3) | instid1(VALU_DEP_1)
	v_add_co_ci_u32_e32 v1, vcc_lo, s7, v1, vcc_lo
	global_load_u8 v0, v[0:1], off
	s_waitcnt vmcnt(0)
	v_and_b32_e32 v0, 1, v0
	v_cmp_eq_u32_e32 vcc_lo, 1, v0
	s_xor_b32 s2, vcc_lo, -1
	s_delay_alu instid0(SALU_CYCLE_1)
	s_or_not1_b32 s16, s2, exec_lo
	s_branch .LBB112_4
.LBB112_3:
	s_mov_b32 s16, -1
.LBB112_4:
	s_clause 0x1
	s_load_b64 s[6:7], s[0:1], 0x40
	s_load_b128 s[8:11], s[0:1], 0x30
	s_mov_b32 s2, 0x3fb8aa3b
	s_mov_b32 s3, 0x32a5705f
	s_waitcnt lgkmcnt(0)
	v_mul_lo_u32 v0, v9, s7
	s_cmp_gt_i32 s8, 0
	s_delay_alu instid0(VALU_DEP_1) | instskip(NEXT) | instid1(VALU_DEP_1)
	v_ashrrev_i32_e32 v1, 31, v0
	v_lshlrev_b64 v[0:1], 1, v[0:1]
	s_delay_alu instid0(VALU_DEP_1) | instskip(NEXT) | instid1(VALU_DEP_2)
	v_add_co_u32 v3, vcc_lo, s4, v0
	v_add_co_ci_u32_e32 v4, vcc_lo, s5, v1, vcc_lo
	s_clause 0x1
	global_load_b64 v[1:2], v[3:4], off
	global_load_u16 v0, v[3:4], off offset:8
	s_waitcnt vmcnt(1)
	v_lshrrev_b32_e32 v3, 16, v1
	v_cvt_f32_f16_e64 v4, -v2
	v_lshrrev_b32_e32 v5, 16, v2
	s_waitcnt vmcnt(0)
	v_cvt_f32_f16_e64 v6, -v0
	v_cvt_f32_f16_e64 v3, -v3
	v_mul_f32_e32 v10, 0x3fb8aa3b, v4
	v_cvt_f32_f16_e64 v5, -v5
	s_delay_alu instid0(VALU_DEP_4)
	v_mul_f32_e32 v11, 0x3fb8aa3b, v6
	v_cmp_ngt_f32_e32 vcc_lo, 0xc2ce8ed0, v4
	v_mul_f32_e32 v12, 0x3fb8aa3b, v3
	v_fma_mix_f32 v13, -v2, s2, -v10 op_sel_hi:[1,0,0]
	v_mul_f32_e32 v15, 0x3fb8aa3b, v5
	v_rndne_f32_e32 v14, v10
	v_fma_mix_f32 v16, -v0, s2, -v11 op_sel_hi:[1,0,0]
	v_rndne_f32_e32 v17, v11
	v_fma_mix_f32 v18, -v1, s2, -v12 op_sel:[1,0,0] op_sel_hi:[1,0,0]
	v_rndne_f32_e32 v19, v12
	v_fma_mix_f32 v13, -v2, s3, v13 op_sel_hi:[1,0,0]
	s_delay_alu instid0(VALU_DEP_4)
	v_dual_sub_f32 v10, v10, v14 :: v_dual_sub_f32 v11, v11, v17
	v_rndne_f32_e32 v21, v15
	v_fma_mix_f32 v0, -v0, s3, v16 op_sel_hi:[1,0,0]
	v_fma_mix_f32 v16, -v1, s3, v18 op_sel:[1,0,0] op_sel_hi:[1,0,0]
	v_sub_f32_e32 v12, v12, v19
	v_add_f32_e32 v10, v10, v13
	v_fma_mix_f32 v20, -v2, s2, -v15 op_sel:[1,0,0] op_sel_hi:[1,0,0]
	v_sub_f32_e32 v13, v15, v21
	v_add_f32_e32 v0, v11, v0
	v_add_f32_e32 v11, v12, v16
	v_exp_f32_e32 v10, v10
	v_fma_mix_f32 v2, -v2, s3, v20 op_sel:[1,0,0] op_sel_hi:[1,0,0]
	v_cvt_i32_f32_e32 v12, v14
	v_exp_f32_e32 v0, v0
	v_exp_f32_e32 v11, v11
	v_cvt_i32_f32_e32 v14, v19
	v_add_f32_e32 v2, v13, v2
	v_cvt_i32_f32_e32 v13, v17
	s_delay_alu instid0(TRANS32_DEP_3) | instskip(NEXT) | instid1(VALU_DEP_3)
	v_ldexp_f32 v10, v10, v12
	v_exp_f32_e32 v2, v2
	v_cvt_i32_f32_e32 v12, v21
	s_delay_alu instid0(TRANS32_DEP_3) | instid1(VALU_DEP_3)
	v_ldexp_f32 v0, v0, v13
	s_delay_alu instid0(TRANS32_DEP_2) | instskip(SKIP_2) | instid1(VALU_DEP_4)
	v_ldexp_f32 v11, v11, v14
	v_cndmask_b32_e32 v10, 0, v10, vcc_lo
	v_cmp_ngt_f32_e32 vcc_lo, 0xc2ce8ed0, v6
	v_cndmask_b32_e32 v0, 0, v0, vcc_lo
	v_cmp_ngt_f32_e32 vcc_lo, 0xc2ce8ed0, v3
	s_delay_alu instid0(TRANS32_DEP_1)
	v_ldexp_f32 v2, v2, v12
	v_cndmask_b32_e32 v11, 0, v11, vcc_lo
	v_cmp_nlt_f32_e32 vcc_lo, 0x42b17218, v4
	v_cndmask_b32_e32 v4, 0x7f800000, v10, vcc_lo
	v_cmp_ngt_f32_e32 vcc_lo, 0xc2ce8ed0, v5
	v_cndmask_b32_e32 v2, 0, v2, vcc_lo
	v_cmp_nlt_f32_e32 vcc_lo, 0x42b17218, v6
	v_cndmask_b32_e32 v0, 0x7f800000, v0, vcc_lo
	v_cmp_nlt_f32_e32 vcc_lo, 0x42b17218, v3
	;; [unrolled: 2-line block ×3, first 2 shown]
	s_delay_alu instid0(VALU_DEP_2) | instskip(NEXT) | instid1(VALU_DEP_1)
	v_add_f32_e32 v6, 1.0, v3
	v_div_scale_f32 v12, null, v6, v6, 1.0
	s_delay_alu instid0(VALU_DEP_1) | instskip(SKIP_2) | instid1(VALU_DEP_1)
	v_rcp_f32_e32 v17, v12
	s_waitcnt_depctr 0xfff
	v_fma_f32 v22, -v12, v17, 1.0
	v_dual_fmac_f32 v17, v22, v17 :: v_dual_cndmask_b32 v2, 0x7f800000, v2
	v_div_scale_f32 v21, vcc_lo, 1.0, v6, 1.0
	s_delay_alu instid0(VALU_DEP_2) | instskip(NEXT) | instid1(VALU_DEP_1)
	v_add_f32_e32 v13, 1.0, v2
	v_div_scale_f32 v14, null, v13, v13, 1.0
	v_div_scale_f32 v24, s4, 1.0, v13, 1.0
	s_delay_alu instid0(VALU_DEP_2) | instskip(SKIP_2) | instid1(VALU_DEP_1)
	v_rcp_f32_e32 v18, v14
	s_waitcnt_depctr 0xfff
	v_fma_f32 v23, -v14, v18, 1.0
	v_dual_fmac_f32 v18, v23, v18 :: v_dual_mul_f32 v23, v21, v17
	v_add_f32_e32 v5, 1.0, v0
	v_mul_lo_u32 v0, v9, s11
	s_delay_alu instid0(VALU_DEP_3) | instskip(NEXT) | instid1(VALU_DEP_4)
	v_mul_f32_e32 v26, v24, v18
	v_fma_f32 v28, -v12, v23, v21
	v_add_f32_e32 v4, 1.0, v4
	v_div_scale_f32 v11, null, v5, v5, 1.0
	v_div_scale_f32 v20, s3, 1.0, v5, 1.0
	s_delay_alu instid0(VALU_DEP_4) | instskip(NEXT) | instid1(VALU_DEP_4)
	v_fmac_f32_e32 v23, v28, v17
	v_div_scale_f32 v10, null, v4, v4, 1.0
	s_delay_alu instid0(VALU_DEP_4) | instskip(SKIP_1) | instid1(VALU_DEP_2)
	v_rcp_f32_e32 v16, v11
	v_div_scale_f32 v19, s2, 1.0, v4, 1.0
	v_rcp_f32_e32 v15, v10
	v_fma_f32 v30, -v14, v26, v24
	v_fma_f32 v12, -v12, v23, v21
	s_delay_alu instid0(VALU_DEP_2)
	v_fmac_f32_e32 v26, v30, v18
	s_waitcnt_depctr 0xfff
	v_fma_f32 v3, -v11, v16, 1.0
	v_div_fmas_f32 v17, v12, v17, v23
	s_mov_b32 vcc_lo, s2
	v_fma_f32 v2, -v10, v15, 1.0
	v_fma_f32 v14, -v14, v26, v24
	s_delay_alu instid0(VALU_DEP_2) | instskip(SKIP_1) | instid1(VALU_DEP_2)
	v_dual_fmac_f32 v16, v3, v16 :: v_dual_fmac_f32 v15, v2, v15
	v_add_nc_u32_e32 v2, s8, v0
	v_dual_mul_f32 v25, v20, v16 :: v_dual_mul_f32 v22, v19, v15
	s_delay_alu instid0(VALU_DEP_2) | instskip(NEXT) | instid1(VALU_DEP_2)
	v_ashrrev_i32_e32 v3, 31, v2
	v_fma_f32 v29, -v11, v25, v20
	s_delay_alu instid0(VALU_DEP_3) | instskip(NEXT) | instid1(VALU_DEP_3)
	v_fma_f32 v27, -v10, v22, v19
	v_lshlrev_b64 v[2:3], 2, v[2:3]
	s_delay_alu instid0(VALU_DEP_2) | instskip(NEXT) | instid1(VALU_DEP_1)
	v_dual_fmac_f32 v25, v29, v16 :: v_dual_fmac_f32 v22, v27, v15
	v_fma_f32 v11, -v11, v25, v20
	s_delay_alu instid0(VALU_DEP_2) | instskip(NEXT) | instid1(VALU_DEP_1)
	v_fma_f32 v10, -v10, v22, v19
	v_div_fmas_f32 v10, v10, v15, v22
	s_mov_b32 vcc_lo, s4
	s_cselect_b32 s4, -1, 0
	v_div_fmas_f32 v14, v14, v18, v26
	s_mov_b32 vcc_lo, s3
	s_cmp_lt_i32 s8, 1
	v_div_fmas_f32 v15, v11, v16, v25
	v_add_co_u32 v11, vcc_lo, s12, v2
	v_add_co_ci_u32_e32 v12, vcc_lo, s13, v3, vcc_lo
	v_div_fixup_f32 v2, v17, v6, 1.0
	v_div_fixup_f32 v3, v10, v4, 1.0
	;; [unrolled: 1-line block ×4, first 2 shown]
	v_mov_b32_e32 v10, 0
	global_store_b128 v[11:12], v[2:5], off
	s_cbranch_scc1 .LBB112_8
; %bb.5:
	v_bfi_b32 v1, 0xffff, v1, v1
	s_load_b128 s[0:3], s[0:1], 0x20
	v_mul_lo_u32 v2, v9, s6
	s_cmp_lt_i32 s9, 1
	s_cselect_b32 s5, -1, 0
	v_cvt_f32_f16_e32 v12, v1
	s_cmp_gt_i32 s10, 0
	s_cselect_b32 s6, -1, 0
	s_sub_i32 s7, 0, s9
	s_delay_alu instid0(VALU_DEP_1) | instskip(SKIP_1) | instid1(SALU_CYCLE_1)
	v_sub_f32_e32 v10, v12, v12
	s_and_b32 s5, s5, s6
	s_and_b32 s5, s16, s5
	s_cmp_eq_u32 s8, 1
	s_delay_alu instid0(VALU_DEP_1) | instskip(SKIP_1) | instid1(VALU_DEP_2)
	v_mul_f32_e32 v1, 0x3fb8aa3b, v10
	v_cndmask_b32_e64 v11, 1, s7, s5
	v_rndne_f32_e32 v4, v1
	v_fma_f32 v3, 0x3fb8aa3b, v10, -v1
	s_delay_alu instid0(VALU_DEP_2) | instskip(NEXT) | instid1(VALU_DEP_2)
	v_sub_f32_e32 v5, v1, v4
	v_fmac_f32_e32 v3, 0x32a5705f, v10
	v_ashrrev_i32_e32 v1, 31, v0
	s_delay_alu instid0(VALU_DEP_2) | instskip(NEXT) | instid1(VALU_DEP_2)
	v_add_f32_e32 v3, v5, v3
	v_lshlrev_b64 v[13:14], 2, v[0:1]
	v_cvt_i32_f32_e32 v1, v4
	v_mul_lo_u32 v5, v9, s8
	s_delay_alu instid0(VALU_DEP_4) | instskip(SKIP_1) | instid1(VALU_DEP_2)
	v_exp_f32_e32 v15, v3
	v_ashrrev_i32_e32 v3, 31, v2
	v_ashrrev_i32_e32 v6, 31, v5
	s_delay_alu instid0(VALU_DEP_2)
	v_lshlrev_b64 v[3:4], 2, v[2:3]
	s_waitcnt_depctr 0xfff
	v_ldexp_f32 v15, v15, v1
	v_add_co_u32 v1, vcc_lo, s12, v13
	v_add_co_ci_u32_e32 v2, vcc_lo, s13, v14, vcc_lo
	v_cmp_ngt_f32_e32 vcc_lo, 0xc2ce8ed0, v10
	v_lshlrev_b64 v[5:6], 2, v[5:6]
	v_cndmask_b32_e32 v15, 0, v15, vcc_lo
	s_waitcnt lgkmcnt(0)
	v_add_co_u32 v13, vcc_lo, s0, v3
	v_add_co_ci_u32_e32 v14, vcc_lo, s1, v4, vcc_lo
	v_cmp_nlt_f32_e32 vcc_lo, 0x42b17218, v10
	v_cndmask_b32_e32 v10, 0x7f800000, v15, vcc_lo
	v_add_co_u32 v15, vcc_lo, s2, v5
	v_add_co_ci_u32_e32 v16, vcc_lo, s3, v6, vcc_lo
	global_store_b32 v[13:14], v11, off
	global_store_b32 v[1:2], v10, off
	;; [unrolled: 1-line block ×3, first 2 shown]
	s_cbranch_scc1 .LBB112_8
; %bb.6:
	v_sub_f32_e32 v9, 0xff800000, v12
	v_add_co_u32 v5, vcc_lo, v5, s2
	v_add_co_ci_u32_e32 v6, vcc_lo, s3, v6, vcc_lo
	s_delay_alu instid0(VALU_DEP_3) | instskip(SKIP_1) | instid1(SALU_CYCLE_1)
	v_mul_f32_e32 v12, 0x3fb8aa3b, v9
	s_add_i32 s15, s15, s14
	v_add3_u32 v7, s15, v8, v7
	s_delay_alu instid0(VALU_DEP_2) | instskip(SKIP_1) | instid1(VALU_DEP_1)
	v_fma_f32 v13, 0x3fb8aa3b, v9, -v12
	v_rndne_f32_e32 v14, v12
	v_dual_sub_f32 v12, v12, v14 :: v_dual_fmamk_f32 v13, v9, 0x32a5705f, v13
	s_delay_alu instid0(VALU_DEP_1) | instskip(SKIP_3) | instid1(VALU_DEP_4)
	v_add_f32_e32 v12, v12, v13
	v_add_co_u32 v13, vcc_lo, v3, s0
	v_cvt_i32_f32_e32 v3, v14
	v_add_co_ci_u32_e32 v15, vcc_lo, s1, v4, vcc_lo
	v_exp_f32_e32 v12, v12
	v_add_co_u32 v1, vcc_lo, v1, 4
	v_add_co_ci_u32_e32 v2, vcc_lo, 0, v2, vcc_lo
	s_add_i32 s0, s8, -1
	s_waitcnt_depctr 0xfff
	v_ldexp_f32 v12, v12, v3
	v_add_co_u32 v3, vcc_lo, v5, 4
	v_add_co_ci_u32_e32 v4, vcc_lo, 0, v6, vcc_lo
	v_cmp_ngt_f32_e32 vcc_lo, 0xc2ce8ed0, v9
	s_delay_alu instid0(VALU_DEP_4) | instskip(SKIP_3) | instid1(VALU_DEP_4)
	v_cndmask_b32_e32 v12, 0, v12, vcc_lo
	v_add_co_u32 v5, vcc_lo, v13, 4
	v_add_co_ci_u32_e32 v6, vcc_lo, 0, v15, vcc_lo
	v_cmp_nlt_f32_e32 vcc_lo, 0x42b17218, v9
	v_cndmask_b32_e32 v9, 0x7f800000, v12, vcc_lo
	.p2align	6
.LBB112_7:                              ; =>This Inner Loop Header: Depth=1
	global_store_b32 v[1:2], v9, off
	global_store_b32 v[5:6], v11, off
	;; [unrolled: 1-line block ×3, first 2 shown]
	v_add_co_u32 v3, vcc_lo, v3, 4
	v_add_co_ci_u32_e32 v4, vcc_lo, 0, v4, vcc_lo
	v_add_co_u32 v5, vcc_lo, v5, 4
	v_add_co_ci_u32_e32 v6, vcc_lo, 0, v6, vcc_lo
	v_add_co_u32 v1, vcc_lo, v1, 4
	v_dual_add_f32 v10, v10, v9 :: v_dual_add_nc_u32 v7, s14, v7
	v_add_co_ci_u32_e32 v2, vcc_lo, 0, v2, vcc_lo
	s_add_i32 s0, s0, -1
	s_delay_alu instid0(SALU_CYCLE_1)
	s_cmp_eq_u32 s0, 0
	s_cbranch_scc0 .LBB112_7
.LBB112_8:
	v_cmp_neq_f32_e32 vcc_lo, 0, v10
	s_and_b32 exec_lo, exec_lo, vcc_lo
	s_cbranch_execz .LBB112_12
; %bb.9:
	s_and_not1_b32 vcc_lo, exec_lo, s4
	s_cbranch_vccnz .LBB112_12
; %bb.10:
	v_div_scale_f32 v1, null, v10, v10, 1.0
	v_div_scale_f32 v4, vcc_lo, 1.0, v10, 1.0
	s_delay_alu instid0(VALU_DEP_2) | instskip(SKIP_2) | instid1(VALU_DEP_1)
	v_rcp_f32_e32 v2, v1
	s_waitcnt_depctr 0xfff
	v_fma_f32 v3, -v1, v2, 1.0
	v_fmac_f32_e32 v2, v3, v2
	s_delay_alu instid0(VALU_DEP_1) | instskip(NEXT) | instid1(VALU_DEP_1)
	v_mul_f32_e32 v3, v4, v2
	v_fma_f32 v5, -v1, v3, v4
	s_delay_alu instid0(VALU_DEP_1) | instskip(NEXT) | instid1(VALU_DEP_1)
	v_fmac_f32_e32 v3, v5, v2
	v_fma_f32 v4, -v1, v3, v4
	v_ashrrev_i32_e32 v1, 31, v0
	s_delay_alu instid0(VALU_DEP_2) | instskip(NEXT) | instid1(VALU_DEP_2)
	v_div_fmas_f32 v2, v4, v2, v3
	v_lshlrev_b64 v[0:1], 2, v[0:1]
	s_delay_alu instid0(VALU_DEP_2) | instskip(NEXT) | instid1(VALU_DEP_2)
	v_div_fixup_f32 v2, v2, v10, 1.0
	v_add_co_u32 v0, vcc_lo, s12, v0
	s_delay_alu instid0(VALU_DEP_3)
	v_add_co_ci_u32_e32 v1, vcc_lo, s13, v1, vcc_lo
.LBB112_11:                             ; =>This Inner Loop Header: Depth=1
	global_load_b32 v3, v[0:1], off
	s_add_i32 s8, s8, -1
	s_delay_alu instid0(SALU_CYCLE_1)
	s_cmp_lg_u32 s8, 0
	s_waitcnt vmcnt(0)
	v_mul_f32_e32 v3, v2, v3
	global_store_b32 v[0:1], v3, off
	v_add_co_u32 v0, vcc_lo, v0, 4
	v_add_co_ci_u32_e32 v1, vcc_lo, 0, v1, vcc_lo
	s_cbranch_scc1 .LBB112_11
.LBB112_12:
	s_nop 0
	s_sendmsg sendmsg(MSG_DEALLOC_VGPRS)
	s_endpgm
	.section	.rodata,"a",@progbits
	.p2align	6, 0x0
	.amdhsa_kernel _ZN4vllm3moe17topkGatingSoftmaxIDF16_Li1ELi1ELi8ELi2ELb1ELi4ELNS0_23SharedExpertScoringFuncE1EEEvPKT_PKbPfiPiS9_iiiiii
		.amdhsa_group_segment_fixed_size 0
		.amdhsa_private_segment_fixed_size 0
		.amdhsa_kernarg_size 72
		.amdhsa_user_sgpr_count 15
		.amdhsa_user_sgpr_dispatch_ptr 0
		.amdhsa_user_sgpr_queue_ptr 0
		.amdhsa_user_sgpr_kernarg_segment_ptr 1
		.amdhsa_user_sgpr_dispatch_id 0
		.amdhsa_user_sgpr_private_segment_size 0
		.amdhsa_wavefront_size32 1
		.amdhsa_uses_dynamic_stack 0
		.amdhsa_enable_private_segment 0
		.amdhsa_system_sgpr_workgroup_id_x 1
		.amdhsa_system_sgpr_workgroup_id_y 0
		.amdhsa_system_sgpr_workgroup_id_z 0
		.amdhsa_system_sgpr_workgroup_info 0
		.amdhsa_system_vgpr_workitem_id 1
		.amdhsa_next_free_vgpr 31
		.amdhsa_next_free_sgpr 17
		.amdhsa_reserve_vcc 1
		.amdhsa_float_round_mode_32 0
		.amdhsa_float_round_mode_16_64 0
		.amdhsa_float_denorm_mode_32 3
		.amdhsa_float_denorm_mode_16_64 3
		.amdhsa_dx10_clamp 1
		.amdhsa_ieee_mode 1
		.amdhsa_fp16_overflow 0
		.amdhsa_workgroup_processor_mode 1
		.amdhsa_memory_ordered 1
		.amdhsa_forward_progress 0
		.amdhsa_shared_vgpr_count 0
		.amdhsa_exception_fp_ieee_invalid_op 0
		.amdhsa_exception_fp_denorm_src 0
		.amdhsa_exception_fp_ieee_div_zero 0
		.amdhsa_exception_fp_ieee_overflow 0
		.amdhsa_exception_fp_ieee_underflow 0
		.amdhsa_exception_fp_ieee_inexact 0
		.amdhsa_exception_int_div_zero 0
	.end_amdhsa_kernel
	.section	.text._ZN4vllm3moe17topkGatingSoftmaxIDF16_Li1ELi1ELi8ELi2ELb1ELi4ELNS0_23SharedExpertScoringFuncE1EEEvPKT_PKbPfiPiS9_iiiiii,"axG",@progbits,_ZN4vllm3moe17topkGatingSoftmaxIDF16_Li1ELi1ELi8ELi2ELb1ELi4ELNS0_23SharedExpertScoringFuncE1EEEvPKT_PKbPfiPiS9_iiiiii,comdat
.Lfunc_end112:
	.size	_ZN4vllm3moe17topkGatingSoftmaxIDF16_Li1ELi1ELi8ELi2ELb1ELi4ELNS0_23SharedExpertScoringFuncE1EEEvPKT_PKbPfiPiS9_iiiiii, .Lfunc_end112-_ZN4vllm3moe17topkGatingSoftmaxIDF16_Li1ELi1ELi8ELi2ELb1ELi4ELNS0_23SharedExpertScoringFuncE1EEEvPKT_PKbPfiPiS9_iiiiii
                                        ; -- End function
	.section	.AMDGPU.csdata,"",@progbits
; Kernel info:
; codeLenInByte = 1876
; NumSgprs: 19
; NumVgprs: 31
; ScratchSize: 0
; MemoryBound: 0
; FloatMode: 240
; IeeeMode: 1
; LDSByteSize: 0 bytes/workgroup (compile time only)
; SGPRBlocks: 2
; VGPRBlocks: 3
; NumSGPRsForWavesPerEU: 19
; NumVGPRsForWavesPerEU: 31
; Occupancy: 16
; WaveLimiterHint : 0
; COMPUTE_PGM_RSRC2:SCRATCH_EN: 0
; COMPUTE_PGM_RSRC2:USER_SGPR: 15
; COMPUTE_PGM_RSRC2:TRAP_HANDLER: 0
; COMPUTE_PGM_RSRC2:TGID_X_EN: 1
; COMPUTE_PGM_RSRC2:TGID_Y_EN: 0
; COMPUTE_PGM_RSRC2:TGID_Z_EN: 0
; COMPUTE_PGM_RSRC2:TIDIG_COMP_CNT: 1
	.section	.text._ZN4vllm3moe17topkGatingSoftmaxIDF16_Li1ELi1ELi8ELi2ELb0ELi4ELNS0_23SharedExpertScoringFuncE1EEEvPKT_PKbPfiPiS9_iiiiii,"axG",@progbits,_ZN4vllm3moe17topkGatingSoftmaxIDF16_Li1ELi1ELi8ELi2ELb0ELi4ELNS0_23SharedExpertScoringFuncE1EEEvPKT_PKbPfiPiS9_iiiiii,comdat
	.protected	_ZN4vllm3moe17topkGatingSoftmaxIDF16_Li1ELi1ELi8ELi2ELb0ELi4ELNS0_23SharedExpertScoringFuncE1EEEvPKT_PKbPfiPiS9_iiiiii ; -- Begin function _ZN4vllm3moe17topkGatingSoftmaxIDF16_Li1ELi1ELi8ELi2ELb0ELi4ELNS0_23SharedExpertScoringFuncE1EEEvPKT_PKbPfiPiS9_iiiiii
	.globl	_ZN4vllm3moe17topkGatingSoftmaxIDF16_Li1ELi1ELi8ELi2ELb0ELi4ELNS0_23SharedExpertScoringFuncE1EEEvPKT_PKbPfiPiS9_iiiiii
	.p2align	8
	.type	_ZN4vllm3moe17topkGatingSoftmaxIDF16_Li1ELi1ELi8ELi2ELb0ELi4ELNS0_23SharedExpertScoringFuncE1EEEvPKT_PKbPfiPiS9_iiiiii,@function
_ZN4vllm3moe17topkGatingSoftmaxIDF16_Li1ELi1ELi8ELi2ELb0ELi4ELNS0_23SharedExpertScoringFuncE1EEEvPKT_PKbPfiPiS9_iiiiii: ; @_ZN4vllm3moe17topkGatingSoftmaxIDF16_Li1ELi1ELi8ELi2ELb0ELi4ELNS0_23SharedExpertScoringFuncE1EEEvPKT_PKbPfiPiS9_iiiiii
; %bb.0:
	s_load_b32 s14, s[0:1], 0x18
	v_bfe_u32 v1, v0, 10, 10
	v_and_b32_e32 v8, 0x3ff, v0
	s_lshl_b32 s15, s15, 8
	s_mov_b32 s2, exec_lo
	s_delay_alu instid0(VALU_DEP_2) | instskip(NEXT) | instid1(VALU_DEP_1)
	v_lshlrev_b32_e32 v7, 5, v1
	v_add3_u32 v9, v7, v8, s15
	s_waitcnt lgkmcnt(0)
	s_delay_alu instid0(VALU_DEP_1)
	v_cmpx_gt_i32_e64 s14, v9
	s_cbranch_execz .LBB113_13
; %bb.1:
	s_clause 0x1
	s_load_b128 s[4:7], s[0:1], 0x0
	s_load_b64 s[12:13], s[0:1], 0x10
	s_waitcnt lgkmcnt(0)
	s_cmp_eq_u64 s[6:7], 0
	s_cbranch_scc1 .LBB113_3
; %bb.2:
	v_ashrrev_i32_e32 v1, 31, v9
	v_add_co_u32 v0, vcc_lo, s6, v9
	s_delay_alu instid0(VALU_DEP_2) | instskip(SKIP_3) | instid1(VALU_DEP_1)
	v_add_co_ci_u32_e32 v1, vcc_lo, s7, v1, vcc_lo
	global_load_u8 v0, v[0:1], off
	s_waitcnt vmcnt(0)
	v_and_b32_e32 v0, 1, v0
	v_cmp_eq_u32_e32 vcc_lo, 1, v0
	s_xor_b32 s2, vcc_lo, -1
	s_delay_alu instid0(SALU_CYCLE_1)
	s_or_not1_b32 s16, s2, exec_lo
	s_branch .LBB113_4
.LBB113_3:
	s_mov_b32 s16, -1
.LBB113_4:
	s_clause 0x1
	s_load_b64 s[6:7], s[0:1], 0x40
	s_load_b128 s[8:11], s[0:1], 0x30
	s_mov_b32 s2, 0x3fb8aa3b
	s_mov_b32 s3, 0x32a5705f
	s_waitcnt lgkmcnt(0)
	v_mul_lo_u32 v0, v9, s7
	s_cmp_gt_i32 s8, 0
	s_delay_alu instid0(VALU_DEP_1) | instskip(NEXT) | instid1(VALU_DEP_1)
	v_ashrrev_i32_e32 v1, 31, v0
	v_lshlrev_b64 v[0:1], 1, v[0:1]
	s_delay_alu instid0(VALU_DEP_1) | instskip(NEXT) | instid1(VALU_DEP_2)
	v_add_co_u32 v0, vcc_lo, s4, v0
	v_add_co_ci_u32_e32 v1, vcc_lo, s5, v1, vcc_lo
	s_clause 0x1
	global_load_b64 v[2:3], v[0:1], off
	global_load_u16 v0, v[0:1], off offset:8
	s_waitcnt vmcnt(1)
	v_cvt_f32_f16_e64 v4, -v3
	v_lshrrev_b32_e32 v5, 16, v3
	s_waitcnt vmcnt(0)
	v_cvt_f32_f16_e64 v6, -v0
	v_lshrrev_b32_e32 v1, 16, v2
	v_mul_f32_e32 v10, 0x3fb8aa3b, v4
	v_cvt_f32_f16_e64 v5, -v5
	s_delay_alu instid0(VALU_DEP_4) | instskip(NEXT) | instid1(VALU_DEP_4)
	v_mul_f32_e32 v11, 0x3fb8aa3b, v6
	v_cvt_f32_f16_e64 v1, -v1
	v_cmp_ngt_f32_e32 vcc_lo, 0xc2ce8ed0, v4
	v_fma_mix_f32 v13, -v3, s2, -v10 op_sel_hi:[1,0,0]
	v_rndne_f32_e32 v14, v10
	v_mul_f32_e32 v15, 0x3fb8aa3b, v5
	v_fma_mix_f32 v16, -v0, s2, -v11 op_sel_hi:[1,0,0]
	v_rndne_f32_e32 v17, v11
	v_fma_mix_f32 v13, -v3, s3, v13 op_sel_hi:[1,0,0]
	v_sub_f32_e32 v10, v10, v14
	v_fma_mix_f32 v20, -v3, s2, -v15 op_sel:[1,0,0] op_sel_hi:[1,0,0]
	v_rndne_f32_e32 v21, v15
	v_fma_mix_f32 v0, -v0, s3, v16 op_sel_hi:[1,0,0]
	s_delay_alu instid0(VALU_DEP_4) | instskip(NEXT) | instid1(VALU_DEP_4)
	v_add_f32_e32 v10, v10, v13
	v_fma_mix_f32 v3, -v3, s3, v20 op_sel:[1,0,0] op_sel_hi:[1,0,0]
	s_delay_alu instid0(VALU_DEP_4) | instskip(NEXT) | instid1(VALU_DEP_1)
	v_sub_f32_e32 v13, v15, v21
	v_dual_mul_f32 v12, 0x3fb8aa3b, v1 :: v_dual_add_f32 v3, v13, v3
	s_delay_alu instid0(VALU_DEP_1)
	v_fma_mix_f32 v18, -v2, s2, -v12 op_sel:[1,0,0] op_sel_hi:[1,0,0]
	v_rndne_f32_e32 v19, v12
	v_sub_f32_e32 v11, v11, v17
	v_cvt_i32_f32_e32 v13, v14
	v_exp_f32_e32 v3, v3
	v_fma_mix_f32 v16, -v2, s3, v18 op_sel:[1,0,0] op_sel_hi:[1,0,0]
	v_sub_f32_e32 v12, v12, v19
	v_add_f32_e32 v0, v11, v0
	v_cvt_i32_f32_e32 v14, v17
	v_cvt_i32_f32_e32 v15, v19
	s_delay_alu instid0(VALU_DEP_4) | instskip(SKIP_3) | instid1(VALU_DEP_2)
	v_add_f32_e32 v11, v12, v16
	v_exp_f32_e32 v10, v10
	v_exp_f32_e32 v12, v0
	v_mul_lo_u32 v0, v9, s11
	v_exp_f32_e32 v11, v11
	s_delay_alu instid0(TRANS32_DEP_3)
	v_ldexp_f32 v10, v10, v13
	v_cvt_i32_f32_e32 v13, v21
	s_waitcnt_depctr 0xfff
	v_ldexp_f32 v12, v12, v14
	v_ldexp_f32 v11, v11, v15
	v_cndmask_b32_e32 v10, 0, v10, vcc_lo
	v_cmp_ngt_f32_e32 vcc_lo, 0xc2ce8ed0, v6
	v_ldexp_f32 v3, v3, v13
	v_cndmask_b32_e32 v12, 0, v12, vcc_lo
	v_cmp_ngt_f32_e32 vcc_lo, 0xc2ce8ed0, v1
	v_cndmask_b32_e32 v11, 0, v11, vcc_lo
	v_cmp_nlt_f32_e32 vcc_lo, 0x42b17218, v4
	v_cndmask_b32_e32 v4, 0x7f800000, v10, vcc_lo
	v_cmp_ngt_f32_e32 vcc_lo, 0xc2ce8ed0, v5
	v_cndmask_b32_e32 v3, 0, v3, vcc_lo
	v_cmp_nlt_f32_e32 vcc_lo, 0x42b17218, v6
	v_cndmask_b32_e32 v6, 0x7f800000, v12, vcc_lo
	v_cmp_nlt_f32_e32 vcc_lo, 0x42b17218, v1
	;; [unrolled: 2-line block ×3, first 2 shown]
	s_delay_alu instid0(VALU_DEP_2) | instskip(SKIP_2) | instid1(VALU_DEP_3)
	v_add_f32_e32 v1, 1.0, v1
	v_cndmask_b32_e32 v3, 0x7f800000, v3, vcc_lo
	v_add_f32_e32 v11, 1.0, v4
	v_div_scale_f32 v15, null, v1, v1, 1.0
	s_delay_alu instid0(VALU_DEP_3) | instskip(SKIP_1) | instid1(VALU_DEP_3)
	v_add_f32_e32 v14, 1.0, v3
	v_div_scale_f32 v23, vcc_lo, 1.0, v1, 1.0
	v_rcp_f32_e32 v19, v15
	v_div_scale_f32 v21, s2, 1.0, v11, 1.0
	s_delay_alu instid0(VALU_DEP_3) | instskip(SKIP_1) | instid1(VALU_DEP_2)
	v_div_scale_f32 v16, null, v14, v14, 1.0
	v_div_scale_f32 v24, s4, 1.0, v14, 1.0
	v_rcp_f32_e32 v20, v16
	s_waitcnt_depctr 0xfff
	v_fma_f32 v12, -v15, v19, 1.0
	v_fma_f32 v13, -v16, v20, 1.0
	s_delay_alu instid0(VALU_DEP_1) | instskip(SKIP_1) | instid1(VALU_DEP_2)
	v_dual_fmac_f32 v20, v13, v20 :: v_dual_add_f32 v5, 1.0, v6
	v_div_scale_f32 v6, null, v11, v11, 1.0
	v_mul_f32_e32 v28, v24, v20
	s_delay_alu instid0(VALU_DEP_3) | instskip(NEXT) | instid1(VALU_DEP_3)
	v_div_scale_f32 v10, null, v5, v5, 1.0
	v_rcp_f32_e32 v17, v6
	v_div_scale_f32 v22, s3, 1.0, v5, 1.0
	s_delay_alu instid0(VALU_DEP_2) | instskip(SKIP_1) | instid1(VALU_DEP_1)
	v_rcp_f32_e32 v18, v10
	v_fma_f32 v30, -v16, v28, v24
	v_fmac_f32_e32 v28, v30, v20
	s_waitcnt_depctr 0xfff
	v_fma_f32 v3, -v6, v17, 1.0
	v_fma_f32 v4, -v10, v18, 1.0
	s_delay_alu instid0(VALU_DEP_1) | instskip(SKIP_1) | instid1(VALU_DEP_2)
	v_dual_fmac_f32 v17, v3, v17 :: v_dual_fmac_f32 v18, v4, v18
	v_fmac_f32_e32 v19, v12, v19
	v_dual_mul_f32 v25, v21, v17 :: v_dual_mul_f32 v26, v22, v18
	s_delay_alu instid0(VALU_DEP_2) | instskip(NEXT) | instid1(VALU_DEP_2)
	v_mul_f32_e32 v27, v23, v19
	v_fma_f32 v12, -v6, v25, v21
	s_delay_alu instid0(VALU_DEP_3) | instskip(SKIP_1) | instid1(VALU_DEP_4)
	v_fma_f32 v13, -v10, v26, v22
	v_add_nc_u32_e32 v3, s8, v0
	v_fma_f32 v29, -v15, v27, v23
	s_delay_alu instid0(VALU_DEP_3) | instskip(NEXT) | instid1(VALU_DEP_3)
	v_dual_fmac_f32 v25, v12, v17 :: v_dual_fmac_f32 v26, v13, v18
	v_ashrrev_i32_e32 v4, 31, v3
	s_delay_alu instid0(VALU_DEP_3) | instskip(NEXT) | instid1(VALU_DEP_2)
	v_fmac_f32_e32 v27, v29, v19
	v_lshlrev_b64 v[3:4], 2, v[3:4]
	s_delay_alu instid0(VALU_DEP_1) | instskip(NEXT) | instid1(VALU_DEP_1)
	v_add_co_u32 v12, s5, s12, v3
	v_add_co_ci_u32_e64 v13, s5, s13, v4, s5
	s_delay_alu instid0(VALU_DEP_4) | instskip(SKIP_3) | instid1(VALU_DEP_4)
	v_fma_f32 v4, -v15, v27, v23
	v_fma_f32 v3, -v6, v25, v21
	;; [unrolled: 1-line block ×4, first 2 shown]
	v_div_fmas_f32 v4, v4, v19, v27
	s_mov_b32 vcc_lo, s2
	v_div_fmas_f32 v3, v3, v17, v25
	s_mov_b32 vcc_lo, s4
	s_cselect_b32 s4, -1, 0
	v_div_fmas_f32 v15, v10, v20, v28
	s_mov_b32 vcc_lo, s3
	v_cvt_f32_f16_e32 v10, v2
	v_div_fmas_f32 v6, v6, v18, v26
	v_div_fixup_f32 v2, v4, v1, 1.0
	v_div_fixup_f32 v3, v3, v11, 1.0
	;; [unrolled: 1-line block ×3, first 2 shown]
	v_mov_b32_e32 v11, 0
	v_div_fixup_f32 v5, v6, v5, 1.0
	v_mov_b32_e32 v1, v10
	s_cmp_lt_i32 s8, 1
	global_store_b128 v[12:13], v[2:5], off
	s_cbranch_scc1 .LBB113_9
; %bb.5:
	v_sub_f32_e32 v11, v10, v10
	s_load_b128 s[0:3], s[0:1], 0x20
	v_mul_lo_u32 v2, v9, s6
	s_cmp_lt_i32 s9, 1
	s_cselect_b32 s5, -1, 0
	v_mul_f32_e32 v1, 0x3fb8aa3b, v11
	s_cmp_gt_i32 s10, 0
	s_cselect_b32 s6, -1, 0
	s_sub_i32 s7, 0, s9
	s_delay_alu instid0(VALU_DEP_1) | instskip(SKIP_2) | instid1(SALU_CYCLE_1)
	v_rndne_f32_e32 v4, v1
	v_fma_f32 v3, 0x3fb8aa3b, v11, -v1
	s_and_b32 s5, s5, s6
	s_and_b32 s5, s16, s5
	s_delay_alu instid0(VALU_DEP_2) | instskip(NEXT) | instid1(VALU_DEP_2)
	v_sub_f32_e32 v5, v1, v4
	v_fmac_f32_e32 v3, 0x32a5705f, v11
	v_ashrrev_i32_e32 v1, 31, v0
	v_cndmask_b32_e64 v12, 1, s7, s5
	s_cmp_eq_u32 s8, 1
	s_delay_alu instid0(VALU_DEP_3) | instskip(NEXT) | instid1(VALU_DEP_3)
	v_add_f32_e32 v3, v5, v3
	v_lshlrev_b64 v[13:14], 2, v[0:1]
	v_cvt_i32_f32_e32 v1, v4
	v_mul_lo_u32 v5, v9, s8
	s_delay_alu instid0(VALU_DEP_4) | instskip(SKIP_1) | instid1(VALU_DEP_2)
	v_exp_f32_e32 v15, v3
	v_ashrrev_i32_e32 v3, 31, v2
	v_ashrrev_i32_e32 v6, 31, v5
	s_delay_alu instid0(VALU_DEP_2)
	v_lshlrev_b64 v[3:4], 2, v[2:3]
	s_waitcnt_depctr 0xfff
	v_ldexp_f32 v15, v15, v1
	v_add_co_u32 v1, vcc_lo, s12, v13
	v_add_co_ci_u32_e32 v2, vcc_lo, s13, v14, vcc_lo
	v_cmp_ngt_f32_e32 vcc_lo, 0xc2ce8ed0, v11
	v_lshlrev_b64 v[5:6], 2, v[5:6]
	v_cndmask_b32_e32 v15, 0, v15, vcc_lo
	s_waitcnt lgkmcnt(0)
	v_add_co_u32 v13, vcc_lo, s0, v3
	v_add_co_ci_u32_e32 v14, vcc_lo, s1, v4, vcc_lo
	v_cmp_nlt_f32_e32 vcc_lo, 0x42b17218, v11
	v_cndmask_b32_e32 v11, 0x7f800000, v15, vcc_lo
	v_add_co_u32 v15, vcc_lo, s2, v5
	v_add_co_ci_u32_e32 v16, vcc_lo, s3, v6, vcc_lo
	global_store_b32 v[13:14], v12, off
	global_store_b32 v[1:2], v11, off
	;; [unrolled: 1-line block ×3, first 2 shown]
	s_cbranch_scc1 .LBB113_8
; %bb.6:
	v_sub_f32_e32 v9, 0xff800000, v10
	v_add_co_u32 v5, vcc_lo, v5, s2
	v_add_co_ci_u32_e32 v6, vcc_lo, s3, v6, vcc_lo
	s_delay_alu instid0(VALU_DEP_3) | instskip(SKIP_1) | instid1(SALU_CYCLE_1)
	v_mul_f32_e32 v13, 0x3fb8aa3b, v9
	s_add_i32 s15, s15, s14
	v_add3_u32 v7, s15, v8, v7
	s_delay_alu instid0(VALU_DEP_2) | instskip(SKIP_1) | instid1(VALU_DEP_2)
	v_fma_f32 v14, 0x3fb8aa3b, v9, -v13
	v_rndne_f32_e32 v15, v13
	v_fmamk_f32 v14, v9, 0x32a5705f, v14
	s_delay_alu instid0(VALU_DEP_2) | instskip(NEXT) | instid1(VALU_DEP_1)
	v_sub_f32_e32 v13, v13, v15
	v_add_f32_e32 v13, v13, v14
	v_add_co_u32 v14, vcc_lo, v3, s0
	v_cvt_i32_f32_e32 v3, v15
	v_add_co_ci_u32_e32 v16, vcc_lo, s1, v4, vcc_lo
	s_delay_alu instid0(VALU_DEP_4)
	v_exp_f32_e32 v13, v13
	v_add_co_u32 v1, vcc_lo, v1, 4
	v_add_co_ci_u32_e32 v2, vcc_lo, 0, v2, vcc_lo
	s_add_i32 s0, s8, -1
	s_waitcnt_depctr 0xfff
	v_ldexp_f32 v13, v13, v3
	v_add_co_u32 v3, vcc_lo, v5, 4
	v_add_co_ci_u32_e32 v4, vcc_lo, 0, v6, vcc_lo
	v_cmp_ngt_f32_e32 vcc_lo, 0xc2ce8ed0, v9
	s_delay_alu instid0(VALU_DEP_4) | instskip(SKIP_3) | instid1(VALU_DEP_4)
	v_cndmask_b32_e32 v13, 0, v13, vcc_lo
	v_add_co_u32 v5, vcc_lo, v14, 4
	v_add_co_ci_u32_e32 v6, vcc_lo, 0, v16, vcc_lo
	v_cmp_nlt_f32_e32 vcc_lo, 0x42b17218, v9
	v_cndmask_b32_e32 v9, 0x7f800000, v13, vcc_lo
	.p2align	6
.LBB113_7:                              ; =>This Inner Loop Header: Depth=1
	global_store_b32 v[1:2], v9, off
	global_store_b32 v[5:6], v12, off
	;; [unrolled: 1-line block ×3, first 2 shown]
	v_add_co_u32 v3, vcc_lo, v3, 4
	v_add_co_ci_u32_e32 v4, vcc_lo, 0, v4, vcc_lo
	v_add_co_u32 v5, vcc_lo, v5, 4
	v_add_co_ci_u32_e32 v6, vcc_lo, 0, v6, vcc_lo
	v_add_co_u32 v1, vcc_lo, v1, 4
	v_add_f32_e32 v11, v11, v9
	v_add_co_ci_u32_e32 v2, vcc_lo, 0, v2, vcc_lo
	v_add_nc_u32_e32 v7, s14, v7
	s_add_i32 s0, s0, -1
	s_delay_alu instid0(SALU_CYCLE_1)
	s_cmp_eq_u32 s0, 0
	s_cbranch_scc0 .LBB113_7
.LBB113_8:
	v_mov_b32_e32 v1, 0xff800000
.LBB113_9:
	s_delay_alu instid0(VALU_DEP_1) | instskip(NEXT) | instid1(VALU_DEP_1)
	v_sub_f32_e32 v1, v1, v10
	v_mul_f32_e32 v2, 0x3fb8aa3b, v1
	s_delay_alu instid0(VALU_DEP_1) | instskip(SKIP_1) | instid1(VALU_DEP_1)
	v_fma_f32 v3, 0x3fb8aa3b, v1, -v2
	v_rndne_f32_e32 v4, v2
	v_sub_f32_e32 v2, v2, v4
	v_cmp_ngt_f32_e32 vcc_lo, 0xc2ce8ed0, v1
	s_delay_alu instid0(VALU_DEP_4) | instskip(NEXT) | instid1(VALU_DEP_1)
	v_fmac_f32_e32 v3, 0x32a5705f, v1
	v_add_f32_e32 v2, v2, v3
	v_cvt_i32_f32_e32 v3, v4
	s_delay_alu instid0(VALU_DEP_2) | instskip(SKIP_2) | instid1(VALU_DEP_1)
	v_exp_f32_e32 v2, v2
	s_waitcnt_depctr 0xfff
	v_ldexp_f32 v2, v2, v3
	v_cndmask_b32_e32 v2, 0, v2, vcc_lo
	v_cmp_nlt_f32_e32 vcc_lo, 0x42b17218, v1
	s_delay_alu instid0(VALU_DEP_2) | instskip(NEXT) | instid1(VALU_DEP_1)
	v_cndmask_b32_e32 v1, 0x7f800000, v2, vcc_lo
	v_add_f32_e32 v2, v11, v1
	s_delay_alu instid0(VALU_DEP_1)
	v_cmp_neq_f32_e32 vcc_lo, 0, v2
	s_and_b32 exec_lo, exec_lo, vcc_lo
	s_cbranch_execz .LBB113_13
; %bb.10:
	s_and_not1_b32 vcc_lo, exec_lo, s4
	s_cbranch_vccnz .LBB113_13
; %bb.11:
	v_div_scale_f32 v1, null, v2, v2, 1.0
	v_div_scale_f32 v5, vcc_lo, 1.0, v2, 1.0
	s_delay_alu instid0(VALU_DEP_2) | instskip(SKIP_2) | instid1(VALU_DEP_1)
	v_rcp_f32_e32 v3, v1
	s_waitcnt_depctr 0xfff
	v_fma_f32 v4, -v1, v3, 1.0
	v_fmac_f32_e32 v3, v4, v3
	s_delay_alu instid0(VALU_DEP_1) | instskip(NEXT) | instid1(VALU_DEP_1)
	v_mul_f32_e32 v4, v5, v3
	v_fma_f32 v6, -v1, v4, v5
	s_delay_alu instid0(VALU_DEP_1) | instskip(NEXT) | instid1(VALU_DEP_1)
	v_fmac_f32_e32 v4, v6, v3
	v_fma_f32 v5, -v1, v4, v5
	v_ashrrev_i32_e32 v1, 31, v0
	s_delay_alu instid0(VALU_DEP_2) | instskip(NEXT) | instid1(VALU_DEP_2)
	v_div_fmas_f32 v3, v5, v3, v4
	v_lshlrev_b64 v[0:1], 2, v[0:1]
	s_delay_alu instid0(VALU_DEP_2) | instskip(NEXT) | instid1(VALU_DEP_2)
	v_div_fixup_f32 v2, v3, v2, 1.0
	v_add_co_u32 v0, vcc_lo, s12, v0
	s_delay_alu instid0(VALU_DEP_3)
	v_add_co_ci_u32_e32 v1, vcc_lo, s13, v1, vcc_lo
.LBB113_12:                             ; =>This Inner Loop Header: Depth=1
	global_load_b32 v3, v[0:1], off
	s_add_i32 s8, s8, -1
	s_delay_alu instid0(SALU_CYCLE_1)
	s_cmp_lg_u32 s8, 0
	s_waitcnt vmcnt(0)
	v_mul_f32_e32 v3, v2, v3
	global_store_b32 v[0:1], v3, off
	v_add_co_u32 v0, vcc_lo, v0, 4
	v_add_co_ci_u32_e32 v1, vcc_lo, 0, v1, vcc_lo
	s_cbranch_scc1 .LBB113_12
.LBB113_13:
	s_nop 0
	s_sendmsg sendmsg(MSG_DEALLOC_VGPRS)
	s_endpgm
	.section	.rodata,"a",@progbits
	.p2align	6, 0x0
	.amdhsa_kernel _ZN4vllm3moe17topkGatingSoftmaxIDF16_Li1ELi1ELi8ELi2ELb0ELi4ELNS0_23SharedExpertScoringFuncE1EEEvPKT_PKbPfiPiS9_iiiiii
		.amdhsa_group_segment_fixed_size 0
		.amdhsa_private_segment_fixed_size 0
		.amdhsa_kernarg_size 72
		.amdhsa_user_sgpr_count 15
		.amdhsa_user_sgpr_dispatch_ptr 0
		.amdhsa_user_sgpr_queue_ptr 0
		.amdhsa_user_sgpr_kernarg_segment_ptr 1
		.amdhsa_user_sgpr_dispatch_id 0
		.amdhsa_user_sgpr_private_segment_size 0
		.amdhsa_wavefront_size32 1
		.amdhsa_uses_dynamic_stack 0
		.amdhsa_enable_private_segment 0
		.amdhsa_system_sgpr_workgroup_id_x 1
		.amdhsa_system_sgpr_workgroup_id_y 0
		.amdhsa_system_sgpr_workgroup_id_z 0
		.amdhsa_system_sgpr_workgroup_info 0
		.amdhsa_system_vgpr_workitem_id 1
		.amdhsa_next_free_vgpr 31
		.amdhsa_next_free_sgpr 17
		.amdhsa_reserve_vcc 1
		.amdhsa_float_round_mode_32 0
		.amdhsa_float_round_mode_16_64 0
		.amdhsa_float_denorm_mode_32 3
		.amdhsa_float_denorm_mode_16_64 3
		.amdhsa_dx10_clamp 1
		.amdhsa_ieee_mode 1
		.amdhsa_fp16_overflow 0
		.amdhsa_workgroup_processor_mode 1
		.amdhsa_memory_ordered 1
		.amdhsa_forward_progress 0
		.amdhsa_shared_vgpr_count 0
		.amdhsa_exception_fp_ieee_invalid_op 0
		.amdhsa_exception_fp_denorm_src 0
		.amdhsa_exception_fp_ieee_div_zero 0
		.amdhsa_exception_fp_ieee_overflow 0
		.amdhsa_exception_fp_ieee_underflow 0
		.amdhsa_exception_fp_ieee_inexact 0
		.amdhsa_exception_int_div_zero 0
	.end_amdhsa_kernel
	.section	.text._ZN4vllm3moe17topkGatingSoftmaxIDF16_Li1ELi1ELi8ELi2ELb0ELi4ELNS0_23SharedExpertScoringFuncE1EEEvPKT_PKbPfiPiS9_iiiiii,"axG",@progbits,_ZN4vllm3moe17topkGatingSoftmaxIDF16_Li1ELi1ELi8ELi2ELb0ELi4ELNS0_23SharedExpertScoringFuncE1EEEvPKT_PKbPfiPiS9_iiiiii,comdat
.Lfunc_end113:
	.size	_ZN4vllm3moe17topkGatingSoftmaxIDF16_Li1ELi1ELi8ELi2ELb0ELi4ELNS0_23SharedExpertScoringFuncE1EEEvPKT_PKbPfiPiS9_iiiiii, .Lfunc_end113-_ZN4vllm3moe17topkGatingSoftmaxIDF16_Li1ELi1ELi8ELi2ELb0ELi4ELNS0_23SharedExpertScoringFuncE1EEEvPKT_PKbPfiPiS9_iiiiii
                                        ; -- End function
	.section	.AMDGPU.csdata,"",@progbits
; Kernel info:
; codeLenInByte = 2000
; NumSgprs: 19
; NumVgprs: 31
; ScratchSize: 0
; MemoryBound: 0
; FloatMode: 240
; IeeeMode: 1
; LDSByteSize: 0 bytes/workgroup (compile time only)
; SGPRBlocks: 2
; VGPRBlocks: 3
; NumSGPRsForWavesPerEU: 19
; NumVGPRsForWavesPerEU: 31
; Occupancy: 16
; WaveLimiterHint : 0
; COMPUTE_PGM_RSRC2:SCRATCH_EN: 0
; COMPUTE_PGM_RSRC2:USER_SGPR: 15
; COMPUTE_PGM_RSRC2:TRAP_HANDLER: 0
; COMPUTE_PGM_RSRC2:TGID_X_EN: 1
; COMPUTE_PGM_RSRC2:TGID_Y_EN: 0
; COMPUTE_PGM_RSRC2:TGID_Z_EN: 0
; COMPUTE_PGM_RSRC2:TIDIG_COMP_CNT: 1
	.section	.text._ZN4vllm3moe17topkGatingSoftmaxIDF16_Li1ELi1ELi8ELi2ELb1ELi8ELNS0_23SharedExpertScoringFuncE1EEEvPKT_PKbPfiPiS9_iiiiii,"axG",@progbits,_ZN4vllm3moe17topkGatingSoftmaxIDF16_Li1ELi1ELi8ELi2ELb1ELi8ELNS0_23SharedExpertScoringFuncE1EEEvPKT_PKbPfiPiS9_iiiiii,comdat
	.protected	_ZN4vllm3moe17topkGatingSoftmaxIDF16_Li1ELi1ELi8ELi2ELb1ELi8ELNS0_23SharedExpertScoringFuncE1EEEvPKT_PKbPfiPiS9_iiiiii ; -- Begin function _ZN4vllm3moe17topkGatingSoftmaxIDF16_Li1ELi1ELi8ELi2ELb1ELi8ELNS0_23SharedExpertScoringFuncE1EEEvPKT_PKbPfiPiS9_iiiiii
	.globl	_ZN4vllm3moe17topkGatingSoftmaxIDF16_Li1ELi1ELi8ELi2ELb1ELi8ELNS0_23SharedExpertScoringFuncE1EEEvPKT_PKbPfiPiS9_iiiiii
	.p2align	8
	.type	_ZN4vllm3moe17topkGatingSoftmaxIDF16_Li1ELi1ELi8ELi2ELb1ELi8ELNS0_23SharedExpertScoringFuncE1EEEvPKT_PKbPfiPiS9_iiiiii,@function
_ZN4vllm3moe17topkGatingSoftmaxIDF16_Li1ELi1ELi8ELi2ELb1ELi8ELNS0_23SharedExpertScoringFuncE1EEEvPKT_PKbPfiPiS9_iiiiii: ; @_ZN4vllm3moe17topkGatingSoftmaxIDF16_Li1ELi1ELi8ELi2ELb1ELi8ELNS0_23SharedExpertScoringFuncE1EEEvPKT_PKbPfiPiS9_iiiiii
; %bb.0:
	s_load_b32 s9, s[0:1], 0x18
	v_bfe_u32 v1, v0, 10, 10
	v_and_b32_e32 v8, 0x3ff, v0
	s_lshl_b32 s18, s15, 8
	s_mov_b32 s2, exec_lo
	s_delay_alu instid0(VALU_DEP_2) | instskip(NEXT) | instid1(VALU_DEP_1)
	v_lshlrev_b32_e32 v7, 5, v1
	v_add3_u32 v9, v7, v8, s18
	s_waitcnt lgkmcnt(0)
	s_delay_alu instid0(VALU_DEP_1)
	v_cmpx_gt_i32_e64 s9, v9
	s_cbranch_execz .LBB114_12
; %bb.1:
	s_clause 0x1
	s_load_b128 s[4:7], s[0:1], 0x0
	s_load_b64 s[10:11], s[0:1], 0x10
	s_waitcnt lgkmcnt(0)
	s_cmp_eq_u64 s[6:7], 0
	s_cbranch_scc1 .LBB114_3
; %bb.2:
	v_ashrrev_i32_e32 v1, 31, v9
	v_add_co_u32 v0, vcc_lo, s6, v9
	s_delay_alu instid0(VALU_DEP_2) | instskip(SKIP_3) | instid1(VALU_DEP_1)
	v_add_co_ci_u32_e32 v1, vcc_lo, s7, v1, vcc_lo
	global_load_u8 v0, v[0:1], off
	s_waitcnt vmcnt(0)
	v_and_b32_e32 v0, 1, v0
	v_cmp_eq_u32_e32 vcc_lo, 1, v0
	s_xor_b32 s2, vcc_lo, -1
	s_delay_alu instid0(SALU_CYCLE_1)
	s_or_not1_b32 s19, s2, exec_lo
	s_branch .LBB114_4
.LBB114_3:
	s_mov_b32 s19, -1
.LBB114_4:
	s_clause 0x1
	s_load_b64 s[16:17], s[0:1], 0x40
	s_load_b128 s[12:15], s[0:1], 0x30
	s_mov_b32 s2, 0x3fb8aa3b
	s_mov_b32 s3, 0x32a5705f
	s_waitcnt lgkmcnt(0)
	v_mul_lo_u32 v0, v9, s17
	s_cmp_gt_i32 s12, 0
	s_delay_alu instid0(VALU_DEP_1) | instskip(NEXT) | instid1(VALU_DEP_1)
	v_ashrrev_i32_e32 v1, 31, v0
	v_lshlrev_b64 v[0:1], 1, v[0:1]
	s_delay_alu instid0(VALU_DEP_1) | instskip(NEXT) | instid1(VALU_DEP_2)
	v_add_co_u32 v4, vcc_lo, s4, v0
	v_add_co_ci_u32_e32 v5, vcc_lo, s5, v1, vcc_lo
	s_clause 0x1
	global_load_b128 v[0:3], v[4:5], off
	global_load_u16 v10, v[4:5], off offset:16
	v_mul_lo_u32 v4, v9, s15
	s_waitcnt vmcnt(1)
	v_cvt_f32_f16_e64 v15, -v1
	v_lshrrev_b32_e32 v11, 16, v0
	v_cvt_f32_f16_e64 v16, -v2
	s_waitcnt vmcnt(0)
	v_cvt_f32_f16_e64 v18, -v10
	v_add_nc_u32_e32 v5, s12, v4
	v_mul_f32_e32 v19, 0x3fb8aa3b, v15
	v_lshrrev_b32_e32 v13, 16, v2
	v_mul_f32_e32 v20, 0x3fb8aa3b, v16
	v_lshrrev_b32_e32 v14, 16, v3
	v_cvt_f32_f16_e64 v11, -v11
	v_mul_f32_e32 v22, 0x3fb8aa3b, v18
	v_fma_mix_f32 v24, -v1, s2, -v19 op_sel_hi:[1,0,0]
	v_rndne_f32_e32 v25, v19
	v_cvt_f32_f16_e64 v13, -v13
	v_cvt_f32_f16_e64 v14, -v14
	v_mul_f32_e32 v23, 0x3fb8aa3b, v11
	v_fma_mix_f32 v27, -v2, s2, -v20 op_sel_hi:[1,0,0]
	v_rndne_f32_e32 v28, v20
	v_fma_mix_f32 v33, -v10, s2, -v22 op_sel_hi:[1,0,0]
	v_mul_f32_e32 v32, 0x3fb8aa3b, v14
	v_rndne_f32_e32 v34, v22
	v_fma_mix_f32 v24, -v1, s3, v24 op_sel_hi:[1,0,0]
	v_sub_f32_e32 v19, v19, v25
	v_lshrrev_b32_e32 v12, 16, v1
	v_cvt_f32_f16_e64 v17, -v3
	v_dual_sub_f32 v22, v22, v34 :: v_dual_mul_f32 v29, 0x3fb8aa3b, v13
	v_sub_f32_e32 v20, v20, v28
	v_rndne_f32_e32 v36, v23
	v_fma_mix_f32 v27, -v2, s3, v27 op_sel_hi:[1,0,0]
	v_fma_mix_f32 v10, -v10, s3, v33 op_sel_hi:[1,0,0]
	v_add_f32_e32 v19, v19, v24
	v_ashrrev_i32_e32 v6, 31, v5
	v_cvt_f32_f16_e64 v12, -v12
	v_mul_f32_e32 v21, 0x3fb8aa3b, v17
	v_fma_mix_f32 v35, -v0, s2, -v23 op_sel:[1,0,0] op_sel_hi:[1,0,0]
	v_dual_sub_f32 v23, v23, v36 :: v_dual_add_f32 v20, v20, v27
	v_add_f32_e32 v10, v22, v10
	v_exp_f32_e32 v19, v19
	v_lshlrev_b64 v[5:6], 2, v[5:6]
	v_mul_f32_e32 v26, 0x3fb8aa3b, v12
	v_fma_mix_f32 v30, -v3, s2, -v21 op_sel_hi:[1,0,0]
	v_rndne_f32_e32 v31, v21
	v_cvt_i32_f32_e32 v25, v25
	v_exp_f32_e32 v20, v20
	v_exp_f32_e32 v10, v10
	v_add_co_u32 v5, vcc_lo, s10, v5
	v_add_co_ci_u32_e32 v6, vcc_lo, s11, v6, vcc_lo
	v_rndne_f32_e32 v38, v26
	v_cvt_i32_f32_e32 v28, v28
	v_fma_mix_f32 v30, -v3, s3, v30 op_sel_hi:[1,0,0]
	v_sub_f32_e32 v21, v21, v31
	v_cvt_i32_f32_e32 v33, v34
	v_sub_f32_e32 v24, v26, v38
	v_ldexp_f32 v19, v19, v25
	v_cmp_ngt_f32_e32 vcc_lo, 0xc2ce8ed0, v15
	v_rndne_f32_e32 v40, v29
	v_fma_mix_f32 v34, -v0, s3, v35 op_sel:[1,0,0] op_sel_hi:[1,0,0]
	v_ldexp_f32 v20, v20, v28
	v_ldexp_f32 v10, v10, v33
	v_cndmask_b32_e32 v19, 0, v19, vcc_lo
	v_cmp_ngt_f32_e32 vcc_lo, 0xc2ce8ed0, v16
	v_add_f32_e32 v21, v21, v30
	v_dual_sub_f32 v27, v29, v40 :: v_dual_add_f32 v22, v23, v34
	v_fma_mix_f32 v37, -v1, s2, -v26 op_sel:[1,0,0] op_sel_hi:[1,0,0]
	v_cndmask_b32_e32 v20, 0, v20, vcc_lo
	s_delay_alu instid0(VALU_DEP_4)
	v_exp_f32_e32 v21, v21
	v_cvt_i32_f32_e32 v31, v31
	v_exp_f32_e32 v22, v22
	v_fma_mix_f32 v39, -v2, s2, -v29 op_sel:[1,0,0] op_sel_hi:[1,0,0]
	v_cvt_i32_f32_e32 v35, v36
	v_fma_mix_f32 v1, -v1, s3, v37 op_sel:[1,0,0] op_sel_hi:[1,0,0]
	v_cmp_ngt_f32_e32 vcc_lo, 0xc2ce8ed0, v17
	v_cvt_i32_f32_e32 v26, v38
	v_fma_mix_f32 v2, -v2, s3, v39 op_sel:[1,0,0] op_sel_hi:[1,0,0]
	v_fma_mix_f32 v41, -v3, s2, -v32 op_sel:[1,0,0] op_sel_hi:[1,0,0]
	v_ldexp_f32 v21, v21, v31
	v_add_f32_e32 v1, v24, v1
	v_ldexp_f32 v22, v22, v35
	v_add_f32_e32 v2, v27, v2
	v_rndne_f32_e32 v42, v32
	v_cndmask_b32_e32 v21, 0, v21, vcc_lo
	v_cmp_ngt_f32_e32 vcc_lo, 0xc2ce8ed0, v18
	v_exp_f32_e32 v1, v1
	v_exp_f32_e32 v2, v2
	v_fma_mix_f32 v3, -v3, s3, v41 op_sel:[1,0,0] op_sel_hi:[1,0,0]
	v_cvt_i32_f32_e32 v23, v40
	v_cndmask_b32_e32 v10, 0, v10, vcc_lo
	v_cmp_ngt_f32_e32 vcc_lo, 0xc2ce8ed0, v11
	v_cvt_i32_f32_e32 v24, v42
	v_cndmask_b32_e32 v22, 0, v22, vcc_lo
	v_cmp_nlt_f32_e32 vcc_lo, 0x42b17218, v15
	s_delay_alu instid0(TRANS32_DEP_2) | instskip(NEXT) | instid1(TRANS32_DEP_1)
	v_ldexp_f32 v1, v1, v26
	v_ldexp_f32 v2, v2, v23
	v_cndmask_b32_e32 v15, 0x7f800000, v19, vcc_lo
	v_cmp_ngt_f32_e32 vcc_lo, 0xc2ce8ed0, v12
	s_delay_alu instid0(VALU_DEP_4) | instskip(SKIP_3) | instid1(VALU_DEP_2)
	v_cndmask_b32_e32 v1, 0, v1, vcc_lo
	v_cmp_nlt_f32_e32 vcc_lo, 0x42b17218, v16
	v_dual_sub_f32 v29, v32, v42 :: v_dual_cndmask_b32 v16, 0x7f800000, v20
	v_cmp_ngt_f32_e32 vcc_lo, 0xc2ce8ed0, v13
	v_dual_add_f32 v3, v29, v3 :: v_dual_add_f32 v16, 1.0, v16
	v_cndmask_b32_e32 v2, 0, v2, vcc_lo
	s_delay_alu instid0(VALU_DEP_2)
	v_exp_f32_e32 v3, v3
	v_cmp_nlt_f32_e32 vcc_lo, 0x42b17218, v17
	v_add_f32_e32 v15, 1.0, v15
	v_cndmask_b32_e32 v17, 0x7f800000, v21, vcc_lo
	v_cmp_ngt_f32_e32 vcc_lo, 0xc2ce8ed0, v14
	s_waitcnt_depctr 0xfff
	v_ldexp_f32 v3, v3, v24
	s_delay_alu instid0(VALU_DEP_1) | instskip(SKIP_4) | instid1(VALU_DEP_2)
	v_cndmask_b32_e32 v3, 0, v3, vcc_lo
	v_cmp_nlt_f32_e32 vcc_lo, 0x42b17218, v18
	v_div_scale_f32 v18, s3, 1.0, v16, 1.0
	v_cndmask_b32_e32 v10, 0x7f800000, v10, vcc_lo
	v_cmp_nlt_f32_e32 vcc_lo, 0x42b17218, v11
	v_add_f32_e32 v10, 1.0, v10
	v_cndmask_b32_e32 v11, 0x7f800000, v22, vcc_lo
	v_cmp_nlt_f32_e32 vcc_lo, 0x42b17218, v12
	v_div_scale_f32 v12, null, v15, v15, 1.0
	s_delay_alu instid0(VALU_DEP_4) | instskip(SKIP_2) | instid1(VALU_DEP_4)
	v_div_scale_f32 v21, null, v10, v10, 1.0
	v_cndmask_b32_e32 v1, 0x7f800000, v1, vcc_lo
	v_cmp_nlt_f32_e32 vcc_lo, 0x42b17218, v13
	v_rcp_f32_e32 v25, v12
	s_delay_alu instid0(VALU_DEP_3)
	v_rcp_f32_e32 v33, v21
	v_div_scale_f32 v13, s2, 1.0, v15, 1.0
	v_cndmask_b32_e32 v2, 0x7f800000, v2, vcc_lo
	v_cmp_nlt_f32_e32 vcc_lo, 0x42b17218, v14
	v_div_scale_f32 v14, null, v16, v16, 1.0
	v_div_scale_f32 v22, s5, 1.0, v10, 1.0
	s_delay_alu instid0(VALU_DEP_4) | instskip(NEXT) | instid1(TRANS32_DEP_2)
	v_dual_add_f32 v2, 1.0, v2 :: v_dual_add_f32 v17, 1.0, v17
	v_fma_f32 v39, -v12, v25, 1.0
	s_delay_alu instid0(TRANS32_DEP_1) | instskip(SKIP_1) | instid1(VALU_DEP_3)
	v_fma_f32 v42, -v21, v33, 1.0
	v_rcp_f32_e32 v28, v14
	v_div_scale_f32 v29, null, v2, v2, 1.0
	v_div_scale_f32 v19, null, v17, v17, 1.0
	s_delay_alu instid0(VALU_DEP_3) | instskip(NEXT) | instid1(VALU_DEP_3)
	v_fmac_f32_e32 v33, v42, v33
	v_rcp_f32_e32 v37, v29
	v_div_scale_f32 v20, s4, 1.0, v17, 1.0
	s_delay_alu instid0(VALU_DEP_3) | instskip(NEXT) | instid1(TRANS32_DEP_3)
	v_rcp_f32_e32 v31, v19
	v_fma_f32 v40, -v14, v28, 1.0
	v_div_scale_f32 v30, s7, 1.0, v2, 1.0
	s_delay_alu instid0(VALU_DEP_2) | instskip(SKIP_4) | instid1(VALU_DEP_3)
	v_fmac_f32_e32 v28, v40, v28
	s_waitcnt_depctr 0xfff
	v_fma_f32 v40, -v29, v37, 1.0
	v_cndmask_b32_e32 v3, 0x7f800000, v3, vcc_lo
	v_fma_f32 v41, -v19, v31, 1.0
	v_fmac_f32_e32 v37, v40, v37
	s_delay_alu instid0(VALU_DEP_3) | instskip(NEXT) | instid1(VALU_DEP_3)
	v_add_f32_e32 v3, 1.0, v3
	v_fmac_f32_e32 v31, v41, v31
	v_fmac_f32_e32 v25, v39, v25
	s_delay_alu instid0(VALU_DEP_4) | instskip(NEXT) | instid1(VALU_DEP_4)
	v_mul_f32_e32 v47, v30, v37
	v_div_scale_f32 v32, null, v3, v3, 1.0
	s_delay_alu instid0(VALU_DEP_4) | instskip(NEXT) | instid1(VALU_DEP_4)
	v_mul_f32_e32 v40, v20, v31
	v_mul_f32_e32 v42, v13, v25
	v_div_scale_f32 v36, s8, 1.0, v3, 1.0
	s_delay_alu instid0(VALU_DEP_4) | instskip(NEXT) | instid1(VALU_DEP_3)
	v_rcp_f32_e32 v38, v32
	v_fma_f32 v48, -v19, v40, v20
	s_delay_alu instid0(VALU_DEP_3) | instskip(SKIP_1) | instid1(VALU_DEP_3)
	v_fma_f32 v44, -v12, v42, v13
	v_add_f32_e32 v11, 1.0, v11
	v_fmac_f32_e32 v40, v48, v31
	s_delay_alu instid0(VALU_DEP_3) | instskip(NEXT) | instid1(VALU_DEP_3)
	v_fmac_f32_e32 v42, v44, v25
	v_div_scale_f32 v23, null, v11, v11, 1.0
	v_div_scale_f32 v24, vcc_lo, 1.0, v11, 1.0
	s_delay_alu instid0(TRANS32_DEP_1) | instskip(NEXT) | instid1(VALU_DEP_3)
	v_fma_f32 v41, -v32, v38, 1.0
	v_rcp_f32_e32 v34, v23
	v_fma_f32 v12, -v12, v42, v13
	s_delay_alu instid0(VALU_DEP_2) | instskip(NEXT) | instid1(VALU_DEP_1)
	v_dual_fmac_f32 v38, v41, v38 :: v_dual_mul_f32 v41, v22, v33
	v_mul_f32_e32 v49, v36, v38
	s_waitcnt_depctr 0xfff
	v_fma_f32 v43, -v23, v34, 1.0
	v_fma_f32 v50, -v21, v41, v22
	v_fma_f32 v48, -v32, v49, v36
	s_delay_alu instid0(VALU_DEP_3) | instskip(NEXT) | instid1(VALU_DEP_3)
	v_dual_fmac_f32 v34, v43, v34 :: v_dual_add_f32 v1, 1.0, v1
	v_fmac_f32_e32 v41, v50, v33
	s_delay_alu instid0(VALU_DEP_3) | instskip(NEXT) | instid1(VALU_DEP_3)
	v_fmac_f32_e32 v49, v48, v38
	v_mul_f32_e32 v43, v24, v34
	s_delay_alu instid0(VALU_DEP_4) | instskip(SKIP_1) | instid1(VALU_DEP_3)
	v_div_scale_f32 v26, null, v1, v1, 1.0
	v_div_scale_f32 v27, s6, 1.0, v1, 1.0
	v_fma_f32 v51, -v23, v43, v24
	s_delay_alu instid0(VALU_DEP_3) | instskip(NEXT) | instid1(VALU_DEP_1)
	v_rcp_f32_e32 v35, v26
	v_fmac_f32_e32 v43, v51, v34
	s_waitcnt_depctr 0xfff
	v_fma_f32 v39, -v26, v35, 1.0
	s_delay_alu instid0(VALU_DEP_1) | instskip(SKIP_1) | instid1(VALU_DEP_2)
	v_fmac_f32_e32 v35, v39, v35
	v_mul_f32_e32 v39, v18, v28
	v_mul_f32_e32 v45, v27, v35
	s_delay_alu instid0(VALU_DEP_2) | instskip(NEXT) | instid1(VALU_DEP_2)
	v_fma_f32 v46, -v14, v39, v18
	v_fma_f32 v44, -v26, v45, v27
	s_delay_alu instid0(VALU_DEP_2) | instskip(SKIP_1) | instid1(VALU_DEP_3)
	v_fmac_f32_e32 v39, v46, v28
	v_fma_f32 v46, -v29, v47, v30
	v_fmac_f32_e32 v45, v44, v35
	s_delay_alu instid0(VALU_DEP_3)
	v_fma_f32 v13, -v14, v39, v18
	v_fma_f32 v14, -v19, v40, v20
	;; [unrolled: 1-line block ×3, first 2 shown]
	v_fmac_f32_e32 v47, v46, v37
	v_fma_f32 v20, -v26, v45, v27
	v_fma_f32 v18, -v21, v41, v22
	;; [unrolled: 1-line block ×3, first 2 shown]
	v_div_fmas_f32 v19, v19, v34, v43
	s_mov_b32 vcc_lo, s2
	v_fma_f32 v21, -v29, v47, v30
	v_div_fmas_f32 v12, v12, v25, v42
	s_mov_b32 vcc_lo, s6
	v_div_fixup_f32 v11, v19, v11, 1.0
	v_div_fmas_f32 v20, v20, v35, v45
	s_mov_b32 vcc_lo, s3
	v_div_fixup_f32 v12, v12, v15, 1.0
	v_div_fmas_f32 v19, v13, v28, v39
	s_mov_b32 vcc_lo, s7
	v_div_fixup_f32 v13, v20, v1, 1.0
	v_div_fmas_f32 v15, v21, v37, v47
	s_mov_b32 vcc_lo, s4
	s_cselect_b32 s4, -1, 0
	v_div_fmas_f32 v1, v14, v31, v40
	s_mov_b32 vcc_lo, s8
	v_div_fixup_f32 v14, v19, v16, 1.0
	v_div_fmas_f32 v20, v22, v38, v49
	s_mov_b32 vcc_lo, s5
	v_div_fixup_f32 v15, v15, v2, 1.0
	v_div_fmas_f32 v18, v18, v33, v41
	v_div_fixup_f32 v16, v1, v17, 1.0
	s_cmp_lt_i32 s12, 1
	s_delay_alu instid0(VALU_DEP_2)
	v_div_fixup_f32 v18, v18, v10, 1.0
	v_mov_b32_e32 v10, 0
	v_div_fixup_f32 v17, v20, v3, 1.0
	s_clause 0x1
	global_store_b128 v[5:6], v[11:14], off
	global_store_b128 v[5:6], v[15:18], off offset:16
	s_cbranch_scc1 .LBB114_8
; %bb.5:
	v_cvt_f32_f16_e32 v12, v0
	s_load_b128 s[0:3], s[0:1], 0x20
	v_ashrrev_i32_e32 v5, 31, v4
	v_mul_lo_u32 v13, v9, s12
	s_cmp_lt_i32 s13, 1
	v_sub_f32_e32 v10, v12, v12
	s_cselect_b32 s5, -1, 0
	v_lshlrev_b64 v[5:6], 2, v[4:5]
	s_cmp_gt_i32 s14, 0
	s_cselect_b32 s6, -1, 0
	v_mul_f32_e32 v0, 0x3fb8aa3b, v10
	v_ashrrev_i32_e32 v14, 31, v13
	s_and_b32 s5, s5, s6
	s_sub_i32 s7, 0, s13
	s_and_b32 s5, s19, s5
	v_rndne_f32_e32 v2, v0
	v_fma_f32 v1, 0x3fb8aa3b, v10, -v0
	v_cndmask_b32_e64 v11, 1, s7, s5
	s_cmp_eq_u32 s12, 1
	s_delay_alu instid0(VALU_DEP_3) | instskip(NEXT) | instid1(VALU_DEP_3)
	v_sub_f32_e32 v3, v0, v2
	v_fmac_f32_e32 v1, 0x32a5705f, v10
	v_mul_lo_u32 v0, v9, s16
	v_cvt_i32_f32_e32 v16, v2
	s_delay_alu instid0(VALU_DEP_3) | instskip(NEXT) | instid1(VALU_DEP_1)
	v_add_f32_e32 v1, v3, v1
	v_exp_f32_e32 v15, v1
	s_delay_alu instid0(VALU_DEP_3) | instskip(NEXT) | instid1(VALU_DEP_1)
	v_ashrrev_i32_e32 v1, 31, v0
	v_lshlrev_b64 v[2:3], 2, v[0:1]
	v_add_co_u32 v0, vcc_lo, s10, v5
	v_add_co_ci_u32_e32 v1, vcc_lo, s11, v6, vcc_lo
	s_waitcnt_depctr 0xfff
	v_ldexp_f32 v15, v15, v16
	v_cmp_ngt_f32_e32 vcc_lo, 0xc2ce8ed0, v10
	v_lshlrev_b64 v[5:6], 2, v[13:14]
	s_delay_alu instid0(VALU_DEP_3)
	v_cndmask_b32_e32 v15, 0, v15, vcc_lo
	s_waitcnt lgkmcnt(0)
	v_add_co_u32 v13, vcc_lo, s0, v2
	v_add_co_ci_u32_e32 v14, vcc_lo, s1, v3, vcc_lo
	v_cmp_nlt_f32_e32 vcc_lo, 0x42b17218, v10
	v_cndmask_b32_e32 v10, 0x7f800000, v15, vcc_lo
	v_add_co_u32 v15, vcc_lo, s2, v5
	v_add_co_ci_u32_e32 v16, vcc_lo, s3, v6, vcc_lo
	global_store_b32 v[13:14], v11, off
	global_store_b32 v[0:1], v10, off
	global_store_b32 v[15:16], v9, off
	s_cbranch_scc1 .LBB114_8
; %bb.6:
	v_sub_f32_e32 v9, 0xff800000, v12
	v_add_co_u32 v5, vcc_lo, v5, s2
	v_add_co_ci_u32_e32 v6, vcc_lo, s3, v6, vcc_lo
	s_delay_alu instid0(VALU_DEP_3) | instskip(SKIP_1) | instid1(SALU_CYCLE_1)
	v_mul_f32_e32 v12, 0x3fb8aa3b, v9
	s_add_i32 s18, s18, s9
	v_add3_u32 v7, s18, v8, v7
	s_delay_alu instid0(VALU_DEP_2) | instskip(SKIP_1) | instid1(VALU_DEP_1)
	v_fma_f32 v13, 0x3fb8aa3b, v9, -v12
	v_rndne_f32_e32 v14, v12
	v_dual_sub_f32 v12, v12, v14 :: v_dual_fmamk_f32 v13, v9, 0x32a5705f, v13
	s_delay_alu instid0(VALU_DEP_1) | instskip(SKIP_3) | instid1(VALU_DEP_4)
	v_add_f32_e32 v12, v12, v13
	v_add_co_u32 v13, vcc_lo, v2, s0
	v_cvt_i32_f32_e32 v2, v14
	v_add_co_ci_u32_e32 v15, vcc_lo, s1, v3, vcc_lo
	v_exp_f32_e32 v12, v12
	v_add_co_u32 v0, vcc_lo, v0, 4
	v_add_co_ci_u32_e32 v1, vcc_lo, 0, v1, vcc_lo
	s_add_i32 s0, s12, -1
	s_waitcnt_depctr 0xfff
	v_ldexp_f32 v12, v12, v2
	v_add_co_u32 v2, vcc_lo, v5, 4
	v_add_co_ci_u32_e32 v3, vcc_lo, 0, v6, vcc_lo
	v_cmp_ngt_f32_e32 vcc_lo, 0xc2ce8ed0, v9
	s_delay_alu instid0(VALU_DEP_4) | instskip(SKIP_3) | instid1(VALU_DEP_4)
	v_cndmask_b32_e32 v12, 0, v12, vcc_lo
	v_add_co_u32 v5, vcc_lo, v13, 4
	v_add_co_ci_u32_e32 v6, vcc_lo, 0, v15, vcc_lo
	v_cmp_nlt_f32_e32 vcc_lo, 0x42b17218, v9
	v_cndmask_b32_e32 v9, 0x7f800000, v12, vcc_lo
	.p2align	6
.LBB114_7:                              ; =>This Inner Loop Header: Depth=1
	global_store_b32 v[0:1], v9, off
	global_store_b32 v[5:6], v11, off
	;; [unrolled: 1-line block ×3, first 2 shown]
	v_add_co_u32 v2, vcc_lo, v2, 4
	v_add_co_ci_u32_e32 v3, vcc_lo, 0, v3, vcc_lo
	v_add_co_u32 v5, vcc_lo, v5, 4
	v_add_co_ci_u32_e32 v6, vcc_lo, 0, v6, vcc_lo
	v_add_co_u32 v0, vcc_lo, v0, 4
	v_dual_add_f32 v10, v10, v9 :: v_dual_add_nc_u32 v7, s9, v7
	v_add_co_ci_u32_e32 v1, vcc_lo, 0, v1, vcc_lo
	s_add_i32 s0, s0, -1
	s_delay_alu instid0(SALU_CYCLE_1)
	s_cmp_eq_u32 s0, 0
	s_cbranch_scc0 .LBB114_7
.LBB114_8:
	v_cmp_neq_f32_e32 vcc_lo, 0, v10
	s_and_b32 exec_lo, exec_lo, vcc_lo
	s_cbranch_execz .LBB114_12
; %bb.9:
	s_and_not1_b32 vcc_lo, exec_lo, s4
	s_cbranch_vccnz .LBB114_12
; %bb.10:
	v_div_scale_f32 v0, null, v10, v10, 1.0
	v_div_scale_f32 v3, vcc_lo, 1.0, v10, 1.0
	s_delay_alu instid0(VALU_DEP_2) | instskip(SKIP_2) | instid1(VALU_DEP_1)
	v_rcp_f32_e32 v1, v0
	s_waitcnt_depctr 0xfff
	v_fma_f32 v2, -v0, v1, 1.0
	v_fmac_f32_e32 v1, v2, v1
	s_delay_alu instid0(VALU_DEP_1) | instskip(NEXT) | instid1(VALU_DEP_1)
	v_mul_f32_e32 v2, v3, v1
	v_fma_f32 v5, -v0, v2, v3
	s_delay_alu instid0(VALU_DEP_1) | instskip(SKIP_1) | instid1(VALU_DEP_2)
	v_fmac_f32_e32 v2, v5, v1
	v_ashrrev_i32_e32 v5, 31, v4
	v_fma_f32 v0, -v0, v2, v3
	s_delay_alu instid0(VALU_DEP_1) | instskip(NEXT) | instid1(VALU_DEP_3)
	v_div_fmas_f32 v2, v0, v1, v2
	v_lshlrev_b64 v[0:1], 2, v[4:5]
	s_delay_alu instid0(VALU_DEP_2) | instskip(NEXT) | instid1(VALU_DEP_2)
	v_div_fixup_f32 v2, v2, v10, 1.0
	v_add_co_u32 v0, vcc_lo, s10, v0
	s_delay_alu instid0(VALU_DEP_3)
	v_add_co_ci_u32_e32 v1, vcc_lo, s11, v1, vcc_lo
.LBB114_11:                             ; =>This Inner Loop Header: Depth=1
	global_load_b32 v3, v[0:1], off
	s_add_i32 s12, s12, -1
	s_delay_alu instid0(SALU_CYCLE_1)
	s_cmp_lg_u32 s12, 0
	s_waitcnt vmcnt(0)
	v_mul_f32_e32 v3, v2, v3
	global_store_b32 v[0:1], v3, off
	v_add_co_u32 v0, vcc_lo, v0, 4
	v_add_co_ci_u32_e32 v1, vcc_lo, 0, v1, vcc_lo
	s_cbranch_scc1 .LBB114_11
.LBB114_12:
	s_nop 0
	s_sendmsg sendmsg(MSG_DEALLOC_VGPRS)
	s_endpgm
	.section	.rodata,"a",@progbits
	.p2align	6, 0x0
	.amdhsa_kernel _ZN4vllm3moe17topkGatingSoftmaxIDF16_Li1ELi1ELi8ELi2ELb1ELi8ELNS0_23SharedExpertScoringFuncE1EEEvPKT_PKbPfiPiS9_iiiiii
		.amdhsa_group_segment_fixed_size 0
		.amdhsa_private_segment_fixed_size 0
		.amdhsa_kernarg_size 72
		.amdhsa_user_sgpr_count 15
		.amdhsa_user_sgpr_dispatch_ptr 0
		.amdhsa_user_sgpr_queue_ptr 0
		.amdhsa_user_sgpr_kernarg_segment_ptr 1
		.amdhsa_user_sgpr_dispatch_id 0
		.amdhsa_user_sgpr_private_segment_size 0
		.amdhsa_wavefront_size32 1
		.amdhsa_uses_dynamic_stack 0
		.amdhsa_enable_private_segment 0
		.amdhsa_system_sgpr_workgroup_id_x 1
		.amdhsa_system_sgpr_workgroup_id_y 0
		.amdhsa_system_sgpr_workgroup_id_z 0
		.amdhsa_system_sgpr_workgroup_info 0
		.amdhsa_system_vgpr_workitem_id 1
		.amdhsa_next_free_vgpr 52
		.amdhsa_next_free_sgpr 20
		.amdhsa_reserve_vcc 1
		.amdhsa_float_round_mode_32 0
		.amdhsa_float_round_mode_16_64 0
		.amdhsa_float_denorm_mode_32 3
		.amdhsa_float_denorm_mode_16_64 3
		.amdhsa_dx10_clamp 1
		.amdhsa_ieee_mode 1
		.amdhsa_fp16_overflow 0
		.amdhsa_workgroup_processor_mode 1
		.amdhsa_memory_ordered 1
		.amdhsa_forward_progress 0
		.amdhsa_shared_vgpr_count 0
		.amdhsa_exception_fp_ieee_invalid_op 0
		.amdhsa_exception_fp_denorm_src 0
		.amdhsa_exception_fp_ieee_div_zero 0
		.amdhsa_exception_fp_ieee_overflow 0
		.amdhsa_exception_fp_ieee_underflow 0
		.amdhsa_exception_fp_ieee_inexact 0
		.amdhsa_exception_int_div_zero 0
	.end_amdhsa_kernel
	.section	.text._ZN4vllm3moe17topkGatingSoftmaxIDF16_Li1ELi1ELi8ELi2ELb1ELi8ELNS0_23SharedExpertScoringFuncE1EEEvPKT_PKbPfiPiS9_iiiiii,"axG",@progbits,_ZN4vllm3moe17topkGatingSoftmaxIDF16_Li1ELi1ELi8ELi2ELb1ELi8ELNS0_23SharedExpertScoringFuncE1EEEvPKT_PKbPfiPiS9_iiiiii,comdat
.Lfunc_end114:
	.size	_ZN4vllm3moe17topkGatingSoftmaxIDF16_Li1ELi1ELi8ELi2ELb1ELi8ELNS0_23SharedExpertScoringFuncE1EEEvPKT_PKbPfiPiS9_iiiiii, .Lfunc_end114-_ZN4vllm3moe17topkGatingSoftmaxIDF16_Li1ELi1ELi8ELi2ELb1ELi8ELNS0_23SharedExpertScoringFuncE1EEEvPKT_PKbPfiPiS9_iiiiii
                                        ; -- End function
	.section	.AMDGPU.csdata,"",@progbits
; Kernel info:
; codeLenInByte = 2592
; NumSgprs: 22
; NumVgprs: 52
; ScratchSize: 0
; MemoryBound: 0
; FloatMode: 240
; IeeeMode: 1
; LDSByteSize: 0 bytes/workgroup (compile time only)
; SGPRBlocks: 2
; VGPRBlocks: 6
; NumSGPRsForWavesPerEU: 22
; NumVGPRsForWavesPerEU: 52
; Occupancy: 16
; WaveLimiterHint : 0
; COMPUTE_PGM_RSRC2:SCRATCH_EN: 0
; COMPUTE_PGM_RSRC2:USER_SGPR: 15
; COMPUTE_PGM_RSRC2:TRAP_HANDLER: 0
; COMPUTE_PGM_RSRC2:TGID_X_EN: 1
; COMPUTE_PGM_RSRC2:TGID_Y_EN: 0
; COMPUTE_PGM_RSRC2:TGID_Z_EN: 0
; COMPUTE_PGM_RSRC2:TIDIG_COMP_CNT: 1
	.section	.text._ZN4vllm3moe17topkGatingSoftmaxIDF16_Li1ELi1ELi8ELi2ELb0ELi8ELNS0_23SharedExpertScoringFuncE1EEEvPKT_PKbPfiPiS9_iiiiii,"axG",@progbits,_ZN4vllm3moe17topkGatingSoftmaxIDF16_Li1ELi1ELi8ELi2ELb0ELi8ELNS0_23SharedExpertScoringFuncE1EEEvPKT_PKbPfiPiS9_iiiiii,comdat
	.protected	_ZN4vllm3moe17topkGatingSoftmaxIDF16_Li1ELi1ELi8ELi2ELb0ELi8ELNS0_23SharedExpertScoringFuncE1EEEvPKT_PKbPfiPiS9_iiiiii ; -- Begin function _ZN4vllm3moe17topkGatingSoftmaxIDF16_Li1ELi1ELi8ELi2ELb0ELi8ELNS0_23SharedExpertScoringFuncE1EEEvPKT_PKbPfiPiS9_iiiiii
	.globl	_ZN4vllm3moe17topkGatingSoftmaxIDF16_Li1ELi1ELi8ELi2ELb0ELi8ELNS0_23SharedExpertScoringFuncE1EEEvPKT_PKbPfiPiS9_iiiiii
	.p2align	8
	.type	_ZN4vllm3moe17topkGatingSoftmaxIDF16_Li1ELi1ELi8ELi2ELb0ELi8ELNS0_23SharedExpertScoringFuncE1EEEvPKT_PKbPfiPiS9_iiiiii,@function
_ZN4vllm3moe17topkGatingSoftmaxIDF16_Li1ELi1ELi8ELi2ELb0ELi8ELNS0_23SharedExpertScoringFuncE1EEEvPKT_PKbPfiPiS9_iiiiii: ; @_ZN4vllm3moe17topkGatingSoftmaxIDF16_Li1ELi1ELi8ELi2ELb0ELi8ELNS0_23SharedExpertScoringFuncE1EEEvPKT_PKbPfiPiS9_iiiiii
; %bb.0:
	s_load_b32 s9, s[0:1], 0x18
	v_bfe_u32 v1, v0, 10, 10
	v_and_b32_e32 v8, 0x3ff, v0
	s_lshl_b32 s18, s15, 8
	s_mov_b32 s2, exec_lo
	s_delay_alu instid0(VALU_DEP_2) | instskip(NEXT) | instid1(VALU_DEP_1)
	v_lshlrev_b32_e32 v7, 5, v1
	v_add3_u32 v9, v7, v8, s18
	s_waitcnt lgkmcnt(0)
	s_delay_alu instid0(VALU_DEP_1)
	v_cmpx_gt_i32_e64 s9, v9
	s_cbranch_execz .LBB115_13
; %bb.1:
	s_clause 0x1
	s_load_b128 s[4:7], s[0:1], 0x0
	s_load_b64 s[10:11], s[0:1], 0x10
	s_waitcnt lgkmcnt(0)
	s_cmp_eq_u64 s[6:7], 0
	s_cbranch_scc1 .LBB115_3
; %bb.2:
	v_ashrrev_i32_e32 v1, 31, v9
	v_add_co_u32 v0, vcc_lo, s6, v9
	s_delay_alu instid0(VALU_DEP_2) | instskip(SKIP_3) | instid1(VALU_DEP_1)
	v_add_co_ci_u32_e32 v1, vcc_lo, s7, v1, vcc_lo
	global_load_u8 v0, v[0:1], off
	s_waitcnt vmcnt(0)
	v_and_b32_e32 v0, 1, v0
	v_cmp_eq_u32_e32 vcc_lo, 1, v0
	s_xor_b32 s2, vcc_lo, -1
	s_delay_alu instid0(SALU_CYCLE_1)
	s_or_not1_b32 s19, s2, exec_lo
	s_branch .LBB115_4
.LBB115_3:
	s_mov_b32 s19, -1
.LBB115_4:
	s_clause 0x1
	s_load_b64 s[16:17], s[0:1], 0x40
	s_load_b128 s[12:15], s[0:1], 0x30
	s_mov_b32 s2, 0x3fb8aa3b
	s_mov_b32 s3, 0x32a5705f
	s_waitcnt lgkmcnt(0)
	v_mul_lo_u32 v0, v9, s17
	s_cmp_gt_i32 s12, 0
	s_delay_alu instid0(VALU_DEP_1) | instskip(NEXT) | instid1(VALU_DEP_1)
	v_ashrrev_i32_e32 v1, 31, v0
	v_lshlrev_b64 v[0:1], 1, v[0:1]
	s_delay_alu instid0(VALU_DEP_1) | instskip(NEXT) | instid1(VALU_DEP_2)
	v_add_co_u32 v5, vcc_lo, s4, v0
	v_add_co_ci_u32_e32 v6, vcc_lo, s5, v1, vcc_lo
	v_mul_lo_u32 v0, v9, s15
	s_clause 0x1
	global_load_b128 v[1:4], v[5:6], off
	global_load_u16 v11, v[5:6], off offset:16
	s_waitcnt vmcnt(1)
	v_cvt_f32_f16_e64 v14, -v2
	v_add_nc_u32_e32 v5, s12, v0
	v_lshrrev_b32_e32 v13, 16, v4
	v_cvt_f32_f16_e64 v15, -v3
	s_waitcnt vmcnt(0)
	v_cvt_f32_f16_e64 v19, -v11
	v_mul_f32_e32 v20, 0x3fb8aa3b, v14
	v_ashrrev_i32_e32 v6, 31, v5
	v_lshrrev_b32_e32 v12, 16, v3
	v_cvt_f32_f16_e64 v18, -v4
	v_mul_f32_e32 v21, 0x3fb8aa3b, v15
	v_cvt_f32_f16_e64 v13, -v13
	v_lshlrev_b64 v[5:6], 2, v[5:6]
	v_fma_mix_f32 v25, -v2, s2, -v20 op_sel_hi:[1,0,0]
	v_mul_f32_e32 v22, 0x3fb8aa3b, v18
	v_rndne_f32_e32 v26, v20
	v_cvt_f32_f16_e64 v12, -v12
	v_fma_mix_f32 v28, -v3, s2, -v21 op_sel_hi:[1,0,0]
	v_add_co_u32 v16, vcc_lo, s10, v5
	v_add_co_ci_u32_e32 v17, vcc_lo, s11, v6, vcc_lo
	v_lshrrev_b32_e32 v5, 16, v1
	v_lshrrev_b32_e32 v6, 16, v2
	v_rndne_f32_e32 v29, v21
	v_dual_mul_f32 v33, 0x3fb8aa3b, v13 :: v_dual_sub_f32 v20, v20, v26
	s_delay_alu instid0(VALU_DEP_4) | instskip(NEXT) | instid1(VALU_DEP_4)
	v_cvt_f32_f16_e64 v5, -v5
	v_cvt_f32_f16_e64 v6, -v6
	v_mul_f32_e32 v23, 0x3fb8aa3b, v19
	v_fma_mix_f32 v25, -v2, s3, v25 op_sel_hi:[1,0,0]
	v_mul_f32_e32 v30, 0x3fb8aa3b, v12
	s_delay_alu instid0(VALU_DEP_4) | instskip(NEXT) | instid1(VALU_DEP_4)
	v_dual_mul_f32 v24, 0x3fb8aa3b, v5 :: v_dual_mul_f32 v27, 0x3fb8aa3b, v6
	v_fma_mix_f32 v34, -v11, s2, -v23 op_sel_hi:[1,0,0]
	v_rndne_f32_e32 v35, v23
	v_fma_mix_f32 v31, -v4, s2, -v22 op_sel_hi:[1,0,0]
	v_rndne_f32_e32 v32, v22
	v_rndne_f32_e32 v37, v24
	v_fma_mix_f32 v38, -v2, s2, -v27 op_sel:[1,0,0] op_sel_hi:[1,0,0]
	v_rndne_f32_e32 v39, v27
	v_fma_mix_f32 v28, -v3, s3, v28 op_sel_hi:[1,0,0]
	v_dual_sub_f32 v21, v21, v29 :: v_dual_sub_f32 v22, v22, v32
	v_fma_mix_f32 v11, -v11, s3, v34 op_sel_hi:[1,0,0]
	v_dual_sub_f32 v23, v23, v35 :: v_dual_add_f32 v20, v20, v25
	v_sub_f32_e32 v25, v27, v39
	v_fma_mix_f32 v36, -v1, s2, -v24 op_sel:[1,0,0] op_sel_hi:[1,0,0]
	v_rndne_f32_e32 v41, v30
	v_fma_mix_f32 v31, -v4, s3, v31 op_sel_hi:[1,0,0]
	v_sub_f32_e32 v24, v24, v37
	v_fma_mix_f32 v2, -v2, s3, v38 op_sel:[1,0,0] op_sel_hi:[1,0,0]
	s_delay_alu instid0(VALU_DEP_4) | instskip(SKIP_2) | instid1(VALU_DEP_3)
	v_dual_add_f32 v21, v21, v28 :: v_dual_sub_f32 v28, v30, v41
	v_add_f32_e32 v11, v23, v11
	v_exp_f32_e32 v20, v20
	v_add_f32_e32 v2, v25, v2
	v_cvt_f32_f16_e32 v10, v1
	v_cvt_i32_f32_e32 v26, v26
	v_fma_mix_f32 v1, -v1, s3, v36 op_sel:[1,0,0] op_sel_hi:[1,0,0]
	v_add_f32_e32 v22, v22, v31
	v_exp_f32_e32 v21, v21
	v_exp_f32_e32 v11, v11
	v_cvt_i32_f32_e32 v29, v29
	v_add_f32_e32 v1, v24, v1
	v_cvt_i32_f32_e32 v34, v35
	v_exp_f32_e32 v22, v22
	v_ldexp_f32 v20, v20, v26
	v_cmp_ngt_f32_e32 vcc_lo, 0xc2ce8ed0, v14
	v_cvt_i32_f32_e32 v32, v32
	v_rndne_f32_e32 v43, v33
	v_exp_f32_e32 v1, v1
	v_ldexp_f32 v21, v21, v29
	v_ldexp_f32 v11, v11, v34
	v_cndmask_b32_e32 v20, 0, v20, vcc_lo
	v_cmp_ngt_f32_e32 vcc_lo, 0xc2ce8ed0, v15
	v_fma_mix_f32 v40, -v3, s2, -v30 op_sel:[1,0,0] op_sel_hi:[1,0,0]
	v_cvt_i32_f32_e32 v35, v37
	v_sub_f32_e32 v30, v33, v43
	v_ldexp_f32 v22, v22, v32
	v_cndmask_b32_e32 v21, 0, v21, vcc_lo
	v_cmp_ngt_f32_e32 vcc_lo, 0xc2ce8ed0, v18
	v_fma_mix_f32 v42, -v4, s2, -v33 op_sel:[1,0,0] op_sel_hi:[1,0,0]
	v_fma_mix_f32 v3, -v3, s3, v40 op_sel:[1,0,0] op_sel_hi:[1,0,0]
	v_ldexp_f32 v1, v1, v35
	v_exp_f32_e32 v2, v2
	v_cndmask_b32_e32 v22, 0, v22, vcc_lo
	v_cmp_ngt_f32_e32 vcc_lo, 0xc2ce8ed0, v19
	v_fma_mix_f32 v4, -v4, s3, v42 op_sel:[1,0,0] op_sel_hi:[1,0,0]
	v_add_f32_e32 v3, v28, v3
	v_cvt_i32_f32_e32 v27, v39
	v_cvt_i32_f32_e32 v23, v41
	s_delay_alu instid0(VALU_DEP_4)
	v_dual_cndmask_b32 v11, 0, v11 :: v_dual_add_f32 v4, v30, v4
	v_cmp_ngt_f32_e32 vcc_lo, 0xc2ce8ed0, v5
	v_exp_f32_e32 v3, v3
	v_ldexp_f32 v2, v2, v27
	v_cvt_i32_f32_e32 v24, v43
	v_exp_f32_e32 v4, v4
	v_cndmask_b32_e32 v1, 0, v1, vcc_lo
	v_cmp_nlt_f32_e32 vcc_lo, 0x42b17218, v14
	v_cndmask_b32_e32 v14, 0x7f800000, v20, vcc_lo
	v_cmp_ngt_f32_e32 vcc_lo, 0xc2ce8ed0, v6
	s_delay_alu instid0(TRANS32_DEP_2)
	v_ldexp_f32 v3, v3, v23
	s_waitcnt_depctr 0xfff
	v_ldexp_f32 v4, v4, v24
	v_cndmask_b32_e32 v2, 0, v2, vcc_lo
	v_cmp_nlt_f32_e32 vcc_lo, 0x42b17218, v15
	v_cndmask_b32_e32 v15, 0x7f800000, v21, vcc_lo
	v_cmp_ngt_f32_e32 vcc_lo, 0xc2ce8ed0, v12
	v_cndmask_b32_e32 v3, 0, v3, vcc_lo
	v_cmp_nlt_f32_e32 vcc_lo, 0x42b17218, v18
	v_cndmask_b32_e32 v18, 0x7f800000, v22, vcc_lo
	v_cmp_ngt_f32_e32 vcc_lo, 0xc2ce8ed0, v13
	v_cndmask_b32_e32 v4, 0, v4, vcc_lo
	v_cmp_nlt_f32_e32 vcc_lo, 0x42b17218, v19
	v_cndmask_b32_e32 v11, 0x7f800000, v11, vcc_lo
	v_cmp_nlt_f32_e32 vcc_lo, 0x42b17218, v5
	s_delay_alu instid0(VALU_DEP_2) | instskip(SKIP_3) | instid1(VALU_DEP_4)
	v_add_f32_e32 v11, 1.0, v11
	v_cndmask_b32_e32 v1, 0x7f800000, v1, vcc_lo
	v_cmp_nlt_f32_e32 vcc_lo, 0x42b17218, v6
	v_add_f32_e32 v5, 1.0, v14
	v_div_scale_f32 v22, s5, 1.0, v11, 1.0
	s_delay_alu instid0(VALU_DEP_4) | instskip(SKIP_3) | instid1(VALU_DEP_4)
	v_dual_add_f32 v1, 1.0, v1 :: v_dual_cndmask_b32 v2, 0x7f800000, v2
	v_cmp_nlt_f32_e32 vcc_lo, 0x42b17218, v12
	v_add_f32_e32 v14, 1.0, v18
	v_add_f32_e32 v6, 1.0, v15
	v_div_scale_f32 v23, null, v1, v1, 1.0
	v_div_scale_f32 v12, null, v5, v5, 1.0
	s_delay_alu instid0(VALU_DEP_4) | instskip(NEXT) | instid1(VALU_DEP_3)
	v_div_scale_f32 v20, s4, 1.0, v14, 1.0
	v_rcp_f32_e32 v34, v23
	s_delay_alu instid0(VALU_DEP_2)
	v_rcp_f32_e32 v25, v12
	v_div_scale_f32 v18, s3, 1.0, v6, 1.0
	s_waitcnt_depctr 0xfff
	v_fma_f32 v43, -v23, v34, 1.0
	v_cndmask_b32_e32 v3, 0x7f800000, v3, vcc_lo
	v_cmp_nlt_f32_e32 vcc_lo, 0x42b17218, v13
	v_fma_f32 v39, -v12, v25, 1.0
	v_div_scale_f32 v13, s2, 1.0, v5, 1.0
	s_delay_alu instid0(VALU_DEP_4) | instskip(SKIP_3) | instid1(VALU_DEP_4)
	v_dual_fmac_f32 v34, v43, v34 :: v_dual_add_f32 v19, 1.0, v3
	v_dual_cndmask_b32 v4, 0x7f800000, v4 :: v_dual_add_f32 v15, 1.0, v2
	v_div_scale_f32 v2, null, v6, v6, 1.0
	v_div_scale_f32 v3, null, v14, v14, 1.0
	;; [unrolled: 1-line block ×3, first 2 shown]
	s_delay_alu instid0(VALU_DEP_3) | instskip(NEXT) | instid1(VALU_DEP_2)
	v_rcp_f32_e32 v28, v2
	v_rcp_f32_e32 v31, v3
	v_div_scale_f32 v26, null, v15, v15, 1.0
	s_delay_alu instid0(VALU_DEP_2) | instskip(SKIP_1) | instid1(VALU_DEP_2)
	v_rcp_f32_e32 v37, v29
	v_div_scale_f32 v24, vcc_lo, 1.0, v1, 1.0
	v_rcp_f32_e32 v35, v26
	v_div_scale_f32 v27, s6, 1.0, v15, 1.0
	v_fma_f32 v40, -v2, v28, 1.0
	s_delay_alu instid0(TRANS32_DEP_3) | instskip(SKIP_2) | instid1(VALU_DEP_4)
	v_fma_f32 v41, -v3, v31, 1.0
	v_mul_f32_e32 v43, v24, v34
	v_div_scale_f32 v30, s7, 1.0, v19, 1.0
	v_fmac_f32_e32 v28, v40, v28
	s_delay_alu instid0(TRANS32_DEP_2)
	v_fma_f32 v40, -v29, v37, 1.0
	v_fmac_f32_e32 v31, v41, v31
	v_fmac_f32_e32 v25, v39, v25
	v_fma_f32 v39, -v26, v35, 1.0
	v_fma_f32 v51, -v23, v43, v24
	v_fmac_f32_e32 v37, v40, v37
	v_dual_mul_f32 v40, v20, v31 :: v_dual_add_f32 v21, 1.0, v4
	v_div_scale_f32 v4, null, v11, v11, 1.0
	v_fmac_f32_e32 v35, v39, v35
	s_delay_alu instid0(VALU_DEP_3) | instskip(SKIP_1) | instid1(VALU_DEP_4)
	v_fma_f32 v48, -v3, v40, v20
	v_mul_f32_e32 v47, v30, v37
	v_rcp_f32_e32 v33, v4
	v_fmac_f32_e32 v43, v51, v34
	v_mul_f32_e32 v45, v27, v35
	s_waitcnt_depctr 0xfff
	v_fma_f32 v42, -v4, v33, 1.0
	s_delay_alu instid0(VALU_DEP_1) | instskip(SKIP_3) | instid1(VALU_DEP_3)
	v_fmac_f32_e32 v33, v42, v33
	v_mul_f32_e32 v42, v13, v25
	v_div_scale_f32 v32, null, v21, v21, 1.0
	v_div_scale_f32 v36, s8, 1.0, v21, 1.0
	v_fma_f32 v44, -v12, v42, v13
	s_delay_alu instid0(VALU_DEP_3) | instskip(NEXT) | instid1(VALU_DEP_1)
	v_rcp_f32_e32 v38, v32
	v_dual_fmac_f32 v42, v44, v25 :: v_dual_mul_f32 v39, v18, v28
	v_fmac_f32_e32 v40, v48, v31
	v_fma_f32 v44, -v26, v45, v27
	s_delay_alu instid0(VALU_DEP_3) | instskip(SKIP_3) | instid1(VALU_DEP_2)
	v_fma_f32 v12, -v12, v42, v13
	s_waitcnt_depctr 0xfff
	v_fma_f32 v41, -v32, v38, 1.0
	v_fma_f32 v46, -v2, v39, v18
	v_dual_fmac_f32 v45, v44, v35 :: v_dual_fmac_f32 v38, v41, v38
	v_mul_f32_e32 v41, v22, v33
	s_delay_alu instid0(VALU_DEP_3) | instskip(SKIP_1) | instid1(VALU_DEP_4)
	v_fmac_f32_e32 v39, v46, v28
	v_fma_f32 v46, -v29, v47, v30
	v_mul_f32_e32 v49, v36, v38
	s_delay_alu instid0(VALU_DEP_4) | instskip(NEXT) | instid1(VALU_DEP_4)
	v_fma_f32 v50, -v4, v41, v22
	v_fma_f32 v13, -v2, v39, v18
	;; [unrolled: 1-line block ×3, first 2 shown]
	v_fmac_f32_e32 v47, v46, v37
	v_fma_f32 v48, -v32, v49, v36
	v_fmac_f32_e32 v41, v50, v33
	v_fma_f32 v18, -v3, v40, v20
	v_fma_f32 v3, -v26, v45, v27
	v_div_fmas_f32 v2, v2, v34, v43
	s_mov_b32 vcc_lo, s2
	v_fmac_f32_e32 v49, v48, v38
	v_div_fmas_f32 v12, v12, v25, v42
	s_mov_b32 vcc_lo, s6
	v_fma_f32 v20, -v4, v41, v22
	v_fma_f32 v4, -v29, v47, v30
	v_div_fmas_f32 v23, v3, v35, v45
	s_mov_b32 vcc_lo, s3
	v_div_fixup_f32 v2, v2, v1, 1.0
	v_div_fmas_f32 v1, v13, v28, v39
	s_mov_b32 vcc_lo, s7
	v_fma_f32 v22, -v32, v49, v36
	v_div_fixup_f32 v3, v12, v5, 1.0
	v_div_fmas_f32 v12, v4, v37, v47
	s_mov_b32 vcc_lo, s4
	v_div_fixup_f32 v4, v23, v15, 1.0
	v_div_fmas_f32 v13, v18, v31, v40
	s_mov_b32 vcc_lo, s8
	;; [unrolled: 3-line block ×3, first 2 shown]
	v_div_fixup_f32 v13, v13, v14, 1.0
	v_div_fmas_f32 v18, v20, v33, v41
	v_mov_b32_e32 v1, v10
	v_div_fixup_f32 v14, v15, v21, 1.0
	v_div_fixup_f32 v12, v12, v19, 1.0
	s_cselect_b32 s4, -1, 0
	v_div_fixup_f32 v15, v18, v11, 1.0
	v_mov_b32_e32 v11, 0
	s_cmp_lt_i32 s12, 1
	s_clause 0x1
	global_store_b128 v[16:17], v[2:5], off
	global_store_b128 v[16:17], v[12:15], off offset:16
	s_cbranch_scc1 .LBB115_9
; %bb.5:
	v_sub_f32_e32 v11, v10, v10
	s_load_b128 s[0:3], s[0:1], 0x20
	v_mul_lo_u32 v2, v9, s16
	s_cmp_lt_i32 s13, 1
	s_cselect_b32 s5, -1, 0
	v_mul_f32_e32 v1, 0x3fb8aa3b, v11
	s_cmp_gt_i32 s14, 0
	s_cselect_b32 s6, -1, 0
	s_sub_i32 s7, 0, s13
	s_delay_alu instid0(VALU_DEP_1) | instskip(SKIP_2) | instid1(SALU_CYCLE_1)
	v_rndne_f32_e32 v4, v1
	v_fma_f32 v3, 0x3fb8aa3b, v11, -v1
	s_and_b32 s5, s5, s6
	s_and_b32 s5, s19, s5
	s_delay_alu instid0(VALU_DEP_2) | instskip(NEXT) | instid1(VALU_DEP_2)
	v_sub_f32_e32 v5, v1, v4
	v_fmac_f32_e32 v3, 0x32a5705f, v11
	v_ashrrev_i32_e32 v1, 31, v0
	v_cndmask_b32_e64 v12, 1, s7, s5
	s_cmp_eq_u32 s12, 1
	s_delay_alu instid0(VALU_DEP_3) | instskip(NEXT) | instid1(VALU_DEP_3)
	v_add_f32_e32 v3, v5, v3
	v_lshlrev_b64 v[13:14], 2, v[0:1]
	v_cvt_i32_f32_e32 v1, v4
	v_mul_lo_u32 v5, v9, s12
	s_delay_alu instid0(VALU_DEP_4) | instskip(SKIP_1) | instid1(VALU_DEP_2)
	v_exp_f32_e32 v15, v3
	v_ashrrev_i32_e32 v3, 31, v2
	v_ashrrev_i32_e32 v6, 31, v5
	s_delay_alu instid0(VALU_DEP_2)
	v_lshlrev_b64 v[3:4], 2, v[2:3]
	s_waitcnt_depctr 0xfff
	v_ldexp_f32 v15, v15, v1
	v_add_co_u32 v1, vcc_lo, s10, v13
	v_add_co_ci_u32_e32 v2, vcc_lo, s11, v14, vcc_lo
	v_cmp_ngt_f32_e32 vcc_lo, 0xc2ce8ed0, v11
	v_lshlrev_b64 v[5:6], 2, v[5:6]
	v_cndmask_b32_e32 v15, 0, v15, vcc_lo
	s_waitcnt lgkmcnt(0)
	v_add_co_u32 v13, vcc_lo, s0, v3
	v_add_co_ci_u32_e32 v14, vcc_lo, s1, v4, vcc_lo
	v_cmp_nlt_f32_e32 vcc_lo, 0x42b17218, v11
	v_cndmask_b32_e32 v11, 0x7f800000, v15, vcc_lo
	v_add_co_u32 v15, vcc_lo, s2, v5
	v_add_co_ci_u32_e32 v16, vcc_lo, s3, v6, vcc_lo
	global_store_b32 v[13:14], v12, off
	global_store_b32 v[1:2], v11, off
	;; [unrolled: 1-line block ×3, first 2 shown]
	s_cbranch_scc1 .LBB115_8
; %bb.6:
	v_sub_f32_e32 v9, 0xff800000, v10
	v_add_co_u32 v5, vcc_lo, v5, s2
	v_add_co_ci_u32_e32 v6, vcc_lo, s3, v6, vcc_lo
	s_delay_alu instid0(VALU_DEP_3) | instskip(SKIP_1) | instid1(SALU_CYCLE_1)
	v_mul_f32_e32 v13, 0x3fb8aa3b, v9
	s_add_i32 s18, s18, s9
	v_add3_u32 v7, s18, v8, v7
	s_delay_alu instid0(VALU_DEP_2) | instskip(SKIP_1) | instid1(VALU_DEP_2)
	v_fma_f32 v14, 0x3fb8aa3b, v9, -v13
	v_rndne_f32_e32 v15, v13
	v_fmamk_f32 v14, v9, 0x32a5705f, v14
	s_delay_alu instid0(VALU_DEP_2) | instskip(NEXT) | instid1(VALU_DEP_1)
	v_sub_f32_e32 v13, v13, v15
	v_add_f32_e32 v13, v13, v14
	v_add_co_u32 v14, vcc_lo, v3, s0
	v_cvt_i32_f32_e32 v3, v15
	v_add_co_ci_u32_e32 v16, vcc_lo, s1, v4, vcc_lo
	s_delay_alu instid0(VALU_DEP_4)
	v_exp_f32_e32 v13, v13
	v_add_co_u32 v1, vcc_lo, v1, 4
	v_add_co_ci_u32_e32 v2, vcc_lo, 0, v2, vcc_lo
	s_add_i32 s0, s12, -1
	s_waitcnt_depctr 0xfff
	v_ldexp_f32 v13, v13, v3
	v_add_co_u32 v3, vcc_lo, v5, 4
	v_add_co_ci_u32_e32 v4, vcc_lo, 0, v6, vcc_lo
	v_cmp_ngt_f32_e32 vcc_lo, 0xc2ce8ed0, v9
	s_delay_alu instid0(VALU_DEP_4) | instskip(SKIP_3) | instid1(VALU_DEP_4)
	v_cndmask_b32_e32 v13, 0, v13, vcc_lo
	v_add_co_u32 v5, vcc_lo, v14, 4
	v_add_co_ci_u32_e32 v6, vcc_lo, 0, v16, vcc_lo
	v_cmp_nlt_f32_e32 vcc_lo, 0x42b17218, v9
	v_cndmask_b32_e32 v9, 0x7f800000, v13, vcc_lo
	.p2align	6
.LBB115_7:                              ; =>This Inner Loop Header: Depth=1
	global_store_b32 v[1:2], v9, off
	global_store_b32 v[5:6], v12, off
	;; [unrolled: 1-line block ×3, first 2 shown]
	v_add_co_u32 v3, vcc_lo, v3, 4
	v_add_co_ci_u32_e32 v4, vcc_lo, 0, v4, vcc_lo
	v_add_co_u32 v5, vcc_lo, v5, 4
	v_add_co_ci_u32_e32 v6, vcc_lo, 0, v6, vcc_lo
	v_add_co_u32 v1, vcc_lo, v1, 4
	v_add_f32_e32 v11, v11, v9
	v_add_co_ci_u32_e32 v2, vcc_lo, 0, v2, vcc_lo
	v_add_nc_u32_e32 v7, s9, v7
	s_add_i32 s0, s0, -1
	s_delay_alu instid0(SALU_CYCLE_1)
	s_cmp_eq_u32 s0, 0
	s_cbranch_scc0 .LBB115_7
.LBB115_8:
	v_mov_b32_e32 v1, 0xff800000
.LBB115_9:
	s_delay_alu instid0(VALU_DEP_1) | instskip(NEXT) | instid1(VALU_DEP_1)
	v_sub_f32_e32 v1, v1, v10
	v_mul_f32_e32 v2, 0x3fb8aa3b, v1
	s_delay_alu instid0(VALU_DEP_1) | instskip(SKIP_1) | instid1(VALU_DEP_1)
	v_fma_f32 v3, 0x3fb8aa3b, v1, -v2
	v_rndne_f32_e32 v4, v2
	v_sub_f32_e32 v2, v2, v4
	v_cmp_ngt_f32_e32 vcc_lo, 0xc2ce8ed0, v1
	s_delay_alu instid0(VALU_DEP_4) | instskip(NEXT) | instid1(VALU_DEP_1)
	v_fmac_f32_e32 v3, 0x32a5705f, v1
	v_add_f32_e32 v2, v2, v3
	v_cvt_i32_f32_e32 v3, v4
	s_delay_alu instid0(VALU_DEP_2) | instskip(SKIP_2) | instid1(VALU_DEP_1)
	v_exp_f32_e32 v2, v2
	s_waitcnt_depctr 0xfff
	v_ldexp_f32 v2, v2, v3
	v_cndmask_b32_e32 v2, 0, v2, vcc_lo
	v_cmp_nlt_f32_e32 vcc_lo, 0x42b17218, v1
	s_delay_alu instid0(VALU_DEP_2) | instskip(NEXT) | instid1(VALU_DEP_1)
	v_cndmask_b32_e32 v1, 0x7f800000, v2, vcc_lo
	v_add_f32_e32 v2, v11, v1
	s_delay_alu instid0(VALU_DEP_1)
	v_cmp_neq_f32_e32 vcc_lo, 0, v2
	s_and_b32 exec_lo, exec_lo, vcc_lo
	s_cbranch_execz .LBB115_13
; %bb.10:
	s_and_not1_b32 vcc_lo, exec_lo, s4
	s_cbranch_vccnz .LBB115_13
; %bb.11:
	v_div_scale_f32 v1, null, v2, v2, 1.0
	v_div_scale_f32 v5, vcc_lo, 1.0, v2, 1.0
	s_delay_alu instid0(VALU_DEP_2) | instskip(SKIP_2) | instid1(VALU_DEP_1)
	v_rcp_f32_e32 v3, v1
	s_waitcnt_depctr 0xfff
	v_fma_f32 v4, -v1, v3, 1.0
	v_fmac_f32_e32 v3, v4, v3
	s_delay_alu instid0(VALU_DEP_1) | instskip(NEXT) | instid1(VALU_DEP_1)
	v_mul_f32_e32 v4, v5, v3
	v_fma_f32 v6, -v1, v4, v5
	s_delay_alu instid0(VALU_DEP_1) | instskip(NEXT) | instid1(VALU_DEP_1)
	v_fmac_f32_e32 v4, v6, v3
	v_fma_f32 v5, -v1, v4, v5
	v_ashrrev_i32_e32 v1, 31, v0
	s_delay_alu instid0(VALU_DEP_2) | instskip(NEXT) | instid1(VALU_DEP_2)
	v_div_fmas_f32 v3, v5, v3, v4
	v_lshlrev_b64 v[0:1], 2, v[0:1]
	s_delay_alu instid0(VALU_DEP_2) | instskip(NEXT) | instid1(VALU_DEP_2)
	v_div_fixup_f32 v2, v3, v2, 1.0
	v_add_co_u32 v0, vcc_lo, s10, v0
	s_delay_alu instid0(VALU_DEP_3)
	v_add_co_ci_u32_e32 v1, vcc_lo, s11, v1, vcc_lo
.LBB115_12:                             ; =>This Inner Loop Header: Depth=1
	global_load_b32 v3, v[0:1], off
	s_add_i32 s12, s12, -1
	s_delay_alu instid0(SALU_CYCLE_1)
	s_cmp_lg_u32 s12, 0
	s_waitcnt vmcnt(0)
	v_mul_f32_e32 v3, v2, v3
	global_store_b32 v[0:1], v3, off
	v_add_co_u32 v0, vcc_lo, v0, 4
	v_add_co_ci_u32_e32 v1, vcc_lo, 0, v1, vcc_lo
	s_cbranch_scc1 .LBB115_12
.LBB115_13:
	s_nop 0
	s_sendmsg sendmsg(MSG_DEALLOC_VGPRS)
	s_endpgm
	.section	.rodata,"a",@progbits
	.p2align	6, 0x0
	.amdhsa_kernel _ZN4vllm3moe17topkGatingSoftmaxIDF16_Li1ELi1ELi8ELi2ELb0ELi8ELNS0_23SharedExpertScoringFuncE1EEEvPKT_PKbPfiPiS9_iiiiii
		.amdhsa_group_segment_fixed_size 0
		.amdhsa_private_segment_fixed_size 0
		.amdhsa_kernarg_size 72
		.amdhsa_user_sgpr_count 15
		.amdhsa_user_sgpr_dispatch_ptr 0
		.amdhsa_user_sgpr_queue_ptr 0
		.amdhsa_user_sgpr_kernarg_segment_ptr 1
		.amdhsa_user_sgpr_dispatch_id 0
		.amdhsa_user_sgpr_private_segment_size 0
		.amdhsa_wavefront_size32 1
		.amdhsa_uses_dynamic_stack 0
		.amdhsa_enable_private_segment 0
		.amdhsa_system_sgpr_workgroup_id_x 1
		.amdhsa_system_sgpr_workgroup_id_y 0
		.amdhsa_system_sgpr_workgroup_id_z 0
		.amdhsa_system_sgpr_workgroup_info 0
		.amdhsa_system_vgpr_workitem_id 1
		.amdhsa_next_free_vgpr 52
		.amdhsa_next_free_sgpr 20
		.amdhsa_reserve_vcc 1
		.amdhsa_float_round_mode_32 0
		.amdhsa_float_round_mode_16_64 0
		.amdhsa_float_denorm_mode_32 3
		.amdhsa_float_denorm_mode_16_64 3
		.amdhsa_dx10_clamp 1
		.amdhsa_ieee_mode 1
		.amdhsa_fp16_overflow 0
		.amdhsa_workgroup_processor_mode 1
		.amdhsa_memory_ordered 1
		.amdhsa_forward_progress 0
		.amdhsa_shared_vgpr_count 0
		.amdhsa_exception_fp_ieee_invalid_op 0
		.amdhsa_exception_fp_denorm_src 0
		.amdhsa_exception_fp_ieee_div_zero 0
		.amdhsa_exception_fp_ieee_overflow 0
		.amdhsa_exception_fp_ieee_underflow 0
		.amdhsa_exception_fp_ieee_inexact 0
		.amdhsa_exception_int_div_zero 0
	.end_amdhsa_kernel
	.section	.text._ZN4vllm3moe17topkGatingSoftmaxIDF16_Li1ELi1ELi8ELi2ELb0ELi8ELNS0_23SharedExpertScoringFuncE1EEEvPKT_PKbPfiPiS9_iiiiii,"axG",@progbits,_ZN4vllm3moe17topkGatingSoftmaxIDF16_Li1ELi1ELi8ELi2ELb0ELi8ELNS0_23SharedExpertScoringFuncE1EEEvPKT_PKbPfiPiS9_iiiiii,comdat
.Lfunc_end115:
	.size	_ZN4vllm3moe17topkGatingSoftmaxIDF16_Li1ELi1ELi8ELi2ELb0ELi8ELNS0_23SharedExpertScoringFuncE1EEEvPKT_PKbPfiPiS9_iiiiii, .Lfunc_end115-_ZN4vllm3moe17topkGatingSoftmaxIDF16_Li1ELi1ELi8ELi2ELb0ELi8ELNS0_23SharedExpertScoringFuncE1EEEvPKT_PKbPfiPiS9_iiiiii
                                        ; -- End function
	.section	.AMDGPU.csdata,"",@progbits
; Kernel info:
; codeLenInByte = 2692
; NumSgprs: 22
; NumVgprs: 52
; ScratchSize: 0
; MemoryBound: 0
; FloatMode: 240
; IeeeMode: 1
; LDSByteSize: 0 bytes/workgroup (compile time only)
; SGPRBlocks: 2
; VGPRBlocks: 6
; NumSGPRsForWavesPerEU: 22
; NumVGPRsForWavesPerEU: 52
; Occupancy: 16
; WaveLimiterHint : 0
; COMPUTE_PGM_RSRC2:SCRATCH_EN: 0
; COMPUTE_PGM_RSRC2:USER_SGPR: 15
; COMPUTE_PGM_RSRC2:TRAP_HANDLER: 0
; COMPUTE_PGM_RSRC2:TGID_X_EN: 1
; COMPUTE_PGM_RSRC2:TGID_Y_EN: 0
; COMPUTE_PGM_RSRC2:TGID_Z_EN: 0
; COMPUTE_PGM_RSRC2:TIDIG_COMP_CNT: 1
	.section	.text._ZN4vllm3moe17topkGatingSoftmaxIDF16_Li2ELi2ELi8ELi4ELb1ELi0ELNS0_23SharedExpertScoringFuncE0EEEvPKT_PKbPfiPiS9_iiiiii,"axG",@progbits,_ZN4vllm3moe17topkGatingSoftmaxIDF16_Li2ELi2ELi8ELi4ELb1ELi0ELNS0_23SharedExpertScoringFuncE0EEEvPKT_PKbPfiPiS9_iiiiii,comdat
	.protected	_ZN4vllm3moe17topkGatingSoftmaxIDF16_Li2ELi2ELi8ELi4ELb1ELi0ELNS0_23SharedExpertScoringFuncE0EEEvPKT_PKbPfiPiS9_iiiiii ; -- Begin function _ZN4vllm3moe17topkGatingSoftmaxIDF16_Li2ELi2ELi8ELi4ELb1ELi0ELNS0_23SharedExpertScoringFuncE0EEEvPKT_PKbPfiPiS9_iiiiii
	.globl	_ZN4vllm3moe17topkGatingSoftmaxIDF16_Li2ELi2ELi8ELi4ELb1ELi0ELNS0_23SharedExpertScoringFuncE0EEEvPKT_PKbPfiPiS9_iiiiii
	.p2align	8
	.type	_ZN4vllm3moe17topkGatingSoftmaxIDF16_Li2ELi2ELi8ELi4ELb1ELi0ELNS0_23SharedExpertScoringFuncE0EEEvPKT_PKbPfiPiS9_iiiiii,@function
_ZN4vllm3moe17topkGatingSoftmaxIDF16_Li2ELi2ELi8ELi4ELb1ELi0ELNS0_23SharedExpertScoringFuncE0EEEvPKT_PKbPfiPiS9_iiiiii: ; @_ZN4vllm3moe17topkGatingSoftmaxIDF16_Li2ELi2ELi8ELi4ELb1ELi0ELNS0_23SharedExpertScoringFuncE0EEEvPKT_PKbPfiPiS9_iiiiii
; %bb.0:
	s_load_b32 s3, s[0:1], 0x18
	v_bfe_u32 v1, v0, 10, 10
	v_and_b32_e32 v10, 0x3ff, v0
	s_lshl_b32 s18, s15, 8
	s_mov_b32 s2, exec_lo
	s_delay_alu instid0(VALU_DEP_2) | instskip(NEXT) | instid1(VALU_DEP_1)
	v_lshlrev_b32_e32 v9, 5, v1
	v_add3_u32 v6, v9, v10, s18
	s_waitcnt lgkmcnt(0)
	s_delay_alu instid0(VALU_DEP_1)
	v_cmpx_gt_i32_e64 s3, v6
	s_cbranch_execz .LBB116_13
; %bb.1:
	s_clause 0x1
	s_load_b128 s[12:15], s[0:1], 0x0
	s_load_b64 s[16:17], s[0:1], 0x10
	s_waitcnt lgkmcnt(0)
	s_cmp_eq_u64 s[14:15], 0
	s_cbranch_scc1 .LBB116_3
; %bb.2:
	v_ashrrev_i32_e32 v1, 31, v6
	v_add_co_u32 v0, vcc_lo, s14, v6
	s_delay_alu instid0(VALU_DEP_2) | instskip(SKIP_3) | instid1(VALU_DEP_1)
	v_add_co_ci_u32_e32 v1, vcc_lo, s15, v1, vcc_lo
	global_load_u8 v0, v[0:1], off
	s_waitcnt vmcnt(0)
	v_and_b32_e32 v0, 1, v0
	v_cmp_eq_u32_e32 vcc_lo, 1, v0
	s_xor_b32 s2, vcc_lo, -1
	s_delay_alu instid0(SALU_CYCLE_1)
	s_or_not1_b32 s15, s2, exec_lo
	s_branch .LBB116_4
.LBB116_3:
	s_mov_b32 s15, -1
.LBB116_4:
	s_load_b128 s[4:7], s[0:1], 0x30
	s_waitcnt lgkmcnt(0)
	s_cmp_gt_i32 s4, 0
	s_cselect_b32 s14, -1, 0
	s_cmp_lt_i32 s4, 1
	s_cbranch_scc1 .LBB116_9
; %bb.5:
	s_clause 0x1
	s_load_b64 s[20:21], s[0:1], 0x40
	s_load_b128 s[8:11], s[0:1], 0x20
	v_mul_lo_u32 v2, v6, s4
	s_waitcnt lgkmcnt(0)
	v_mul_lo_u32 v0, v6, s21
	v_mul_lo_u32 v14, v6, s20
	s_delay_alu instid0(VALU_DEP_2) | instskip(NEXT) | instid1(VALU_DEP_1)
	v_ashrrev_i32_e32 v1, 31, v0
	v_lshlrev_b64 v[0:1], 1, v[0:1]
	s_delay_alu instid0(VALU_DEP_1) | instskip(NEXT) | instid1(VALU_DEP_2)
	v_add_co_u32 v0, vcc_lo, s12, v0
	v_add_co_ci_u32_e32 v1, vcc_lo, s13, v1, vcc_lo
	global_load_b32 v0, v[0:1], off
	s_waitcnt vmcnt(0)
	v_lshrrev_b32_e32 v1, 16, v0
	v_cvt_f32_f16_e32 v11, v0
	s_delay_alu instid0(VALU_DEP_2) | instskip(SKIP_2) | instid1(VALU_DEP_3)
	v_cvt_f32_f16_e32 v12, v1
	v_cmp_lt_f16_e32 vcc_lo, v0, v1
	v_mul_lo_u32 v0, v6, s7
	v_cndmask_b32_e32 v7, v11, v12, vcc_lo
	v_cndmask_b32_e64 v13, 0, 1, vcc_lo
	s_delay_alu instid0(VALU_DEP_2) | instskip(NEXT) | instid1(VALU_DEP_2)
	v_sub_f32_e32 v8, v7, v7
	v_cmp_le_i32_e64 s0, s5, v13
	v_cmp_gt_i32_e64 s1, s6, v13
	s_delay_alu instid0(VALU_DEP_3) | instskip(NEXT) | instid1(VALU_DEP_2)
	v_mul_f32_e32 v1, 0x3fb8aa3b, v8
	s_and_b32 s1, s0, s1
	v_cmp_ngt_f32_e64 s0, 0xc2ce8ed0, v8
	s_delay_alu instid0(VALU_DEP_2) | instskip(SKIP_1) | instid1(VALU_DEP_2)
	v_fma_f32 v3, 0x3fb8aa3b, v8, -v1
	v_rndne_f32_e32 v16, v1
	v_fmac_f32_e32 v3, 0x32a5705f, v8
	s_delay_alu instid0(VALU_DEP_2) | instskip(SKIP_1) | instid1(VALU_DEP_2)
	v_sub_f32_e32 v4, v1, v16
	v_ashrrev_i32_e32 v1, 31, v0
	v_add_f32_e32 v15, v4, v3
	v_ashrrev_i32_e32 v3, 31, v2
	s_delay_alu instid0(VALU_DEP_3) | instskip(NEXT) | instid1(VALU_DEP_3)
	v_lshlrev_b64 v[4:5], 2, v[0:1]
	v_exp_f32_e32 v17, v15
	s_delay_alu instid0(VALU_DEP_2) | instskip(SKIP_2) | instid1(VALU_DEP_4)
	v_lshlrev_b64 v[0:1], 2, v[2:3]
	v_ashrrev_i32_e32 v15, 31, v14
	v_cvt_i32_f32_e32 v2, v16
	v_add_co_u32 v4, s2, s16, v4
	s_delay_alu instid0(VALU_DEP_1) | instskip(SKIP_4) | instid1(VALU_DEP_3)
	v_add_co_ci_u32_e64 v5, s2, s17, v5, s2
	s_waitcnt_depctr 0xfff
	v_ldexp_f32 v16, v17, v2
	v_lshlrev_b64 v[2:3], 2, v[14:15]
	v_subrev_nc_u32_e32 v17, s5, v13
	v_cndmask_b32_e64 v16, 0, v16, s0
	s_delay_alu instid0(VALU_DEP_3) | instskip(NEXT) | instid1(VALU_DEP_1)
	v_add_co_u32 v14, s0, s8, v2
	v_add_co_ci_u32_e64 v15, s0, s9, v3, s0
	s_and_b32 s0, s15, s1
	s_cmp_eq_u32 s4, 1
	v_cndmask_b32_e64 v18, 2, v17, s0
	v_cmp_nlt_f32_e64 s0, 0x42b17218, v8
	s_delay_alu instid0(VALU_DEP_1) | instskip(SKIP_1) | instid1(VALU_DEP_1)
	v_cndmask_b32_e64 v8, 0x7f800000, v16, s0
	v_add_co_u32 v16, s0, s10, v0
	v_add_co_ci_u32_e64 v17, s0, s11, v1, s0
	global_store_b32 v[14:15], v18, off
	global_store_b32 v[4:5], v8, off
	;; [unrolled: 1-line block ×3, first 2 shown]
	s_cbranch_scc1 .LBB116_8
; %bb.6:
	v_cndmask_b32_e32 v11, 0xff800000, v11, vcc_lo
	v_cmp_ne_u32_e32 vcc_lo, 1, v13
	s_add_i32 s18, s18, s3
	s_add_i32 s1, s4, -1
	v_add3_u32 v9, s18, v10, v9
	v_cndmask_b32_e32 v12, 0xff800000, v12, vcc_lo
	v_add_co_u32 v0, vcc_lo, v0, s10
	v_add_co_ci_u32_e32 v1, vcc_lo, s11, v1, vcc_lo
	v_add_co_u32 v2, vcc_lo, v2, s8
	v_add_co_ci_u32_e32 v3, vcc_lo, s9, v3, vcc_lo
	s_delay_alu instid0(VALU_DEP_4) | instskip(NEXT) | instid1(VALU_DEP_4)
	v_add_co_u32 v0, vcc_lo, v0, 4
	v_add_co_ci_u32_e32 v1, vcc_lo, 0, v1, vcc_lo
	s_delay_alu instid0(VALU_DEP_4) | instskip(NEXT) | instid1(VALU_DEP_4)
	v_add_co_u32 v2, vcc_lo, v2, 4
	v_add_co_ci_u32_e32 v3, vcc_lo, 0, v3, vcc_lo
	v_add_co_u32 v4, vcc_lo, v4, 4
	v_add_co_ci_u32_e32 v5, vcc_lo, 0, v5, vcc_lo
.LBB116_7:                              ; =>This Inner Loop Header: Depth=1
	v_cmp_gt_f32_e32 vcc_lo, v12, v11
	s_add_i32 s1, s1, -1
	v_cndmask_b32_e64 v13, 0, 1, vcc_lo
	v_cndmask_b32_e32 v10, v11, v12, vcc_lo
	v_cndmask_b32_e64 v12, v12, 0xff800000, vcc_lo
	v_cndmask_b32_e32 v11, 0xff800000, v11, vcc_lo
	s_delay_alu instid0(VALU_DEP_4) | instskip(SKIP_2) | instid1(VALU_DEP_2)
	v_cmp_le_i32_e32 vcc_lo, s5, v13
	v_cmp_gt_i32_e64 s0, s6, v13
	v_subrev_nc_u32_e32 v13, s5, v13
	s_and_b32 s0, vcc_lo, s0
	s_delay_alu instid0(SALU_CYCLE_1) | instskip(SKIP_1) | instid1(VALU_DEP_1)
	s_and_b32 vcc_lo, s15, s0
	s_cmp_eq_u32 s1, 0
	v_dual_cndmask_b32 v13, 2, v13 :: v_dual_sub_f32 v10, v10, v7
	global_store_b32 v[2:3], v13, off
	global_store_b32 v[0:1], v9, off
	v_add_nc_u32_e32 v9, s3, v9
	v_add_co_u32 v0, vcc_lo, v0, 4
	v_add_co_ci_u32_e32 v1, vcc_lo, 0, v1, vcc_lo
	v_add_co_u32 v2, vcc_lo, v2, 4
	v_add_co_ci_u32_e32 v3, vcc_lo, 0, v3, vcc_lo
	v_cmp_ngt_f32_e32 vcc_lo, 0xc2ce8ed0, v10
	v_mul_f32_e32 v14, 0x3fb8aa3b, v10
	s_delay_alu instid0(VALU_DEP_1) | instskip(SKIP_1) | instid1(VALU_DEP_1)
	v_fma_f32 v15, 0x3fb8aa3b, v10, -v14
	v_rndne_f32_e32 v16, v14
	v_dual_fmac_f32 v15, 0x32a5705f, v10 :: v_dual_sub_f32 v14, v14, v16
	v_cvt_i32_f32_e32 v16, v16
	s_delay_alu instid0(VALU_DEP_2) | instskip(NEXT) | instid1(VALU_DEP_1)
	v_add_f32_e32 v13, v14, v15
	v_exp_f32_e32 v13, v13
	s_waitcnt_depctr 0xfff
	v_ldexp_f32 v13, v13, v16
	s_delay_alu instid0(VALU_DEP_1) | instskip(SKIP_1) | instid1(VALU_DEP_2)
	v_cndmask_b32_e32 v13, 0, v13, vcc_lo
	v_cmp_nlt_f32_e32 vcc_lo, 0x42b17218, v10
	v_cndmask_b32_e32 v10, 0x7f800000, v13, vcc_lo
	s_delay_alu instid0(VALU_DEP_1)
	v_add_f32_e32 v8, v8, v10
	global_store_b32 v[4:5], v10, off
	v_add_co_u32 v4, vcc_lo, v4, 4
	v_add_co_ci_u32_e32 v5, vcc_lo, 0, v5, vcc_lo
	s_cbranch_scc0 .LBB116_7
.LBB116_8:
	v_cmp_neq_f32_e32 vcc_lo, 0, v8
	s_and_b32 exec_lo, exec_lo, vcc_lo
	s_cbranch_execnz .LBB116_10
	s_branch .LBB116_13
.LBB116_9:
	v_mov_b32_e32 v8, 0
	s_delay_alu instid0(VALU_DEP_1)
	v_cmp_neq_f32_e32 vcc_lo, 0, v8
	s_and_b32 exec_lo, exec_lo, vcc_lo
	s_cbranch_execz .LBB116_13
.LBB116_10:
	s_and_not1_b32 vcc_lo, exec_lo, s14
	s_cbranch_vccnz .LBB116_13
; %bb.11:
	v_div_scale_f32 v1, null, v8, v8, 1.0
	v_div_scale_f32 v3, vcc_lo, 1.0, v8, 1.0
	s_delay_alu instid0(VALU_DEP_2) | instskip(SKIP_2) | instid1(VALU_DEP_1)
	v_rcp_f32_e32 v2, v1
	s_waitcnt_depctr 0xfff
	v_fma_f32 v0, -v1, v2, 1.0
	v_fmac_f32_e32 v2, v0, v2
	v_mul_lo_u32 v0, v6, s7
	s_delay_alu instid0(VALU_DEP_2) | instskip(NEXT) | instid1(VALU_DEP_1)
	v_mul_f32_e32 v4, v3, v2
	v_fma_f32 v5, -v1, v4, v3
	s_delay_alu instid0(VALU_DEP_1) | instskip(NEXT) | instid1(VALU_DEP_1)
	v_fmac_f32_e32 v4, v5, v2
	v_fma_f32 v3, -v1, v4, v3
	v_ashrrev_i32_e32 v1, 31, v0
	s_delay_alu instid0(VALU_DEP_2) | instskip(NEXT) | instid1(VALU_DEP_2)
	v_div_fmas_f32 v2, v3, v2, v4
	v_lshlrev_b64 v[0:1], 2, v[0:1]
	s_delay_alu instid0(VALU_DEP_2) | instskip(NEXT) | instid1(VALU_DEP_2)
	v_div_fixup_f32 v2, v2, v8, 1.0
	v_add_co_u32 v0, vcc_lo, s16, v0
	s_delay_alu instid0(VALU_DEP_3)
	v_add_co_ci_u32_e32 v1, vcc_lo, s17, v1, vcc_lo
.LBB116_12:                             ; =>This Inner Loop Header: Depth=1
	global_load_b32 v3, v[0:1], off
	s_add_i32 s4, s4, -1
	s_delay_alu instid0(SALU_CYCLE_1)
	s_cmp_lg_u32 s4, 0
	s_waitcnt vmcnt(0)
	v_mul_f32_e32 v3, v2, v3
	global_store_b32 v[0:1], v3, off
	v_add_co_u32 v0, vcc_lo, v0, 4
	v_add_co_ci_u32_e32 v1, vcc_lo, 0, v1, vcc_lo
	s_cbranch_scc1 .LBB116_12
.LBB116_13:
	s_nop 0
	s_sendmsg sendmsg(MSG_DEALLOC_VGPRS)
	s_endpgm
	.section	.rodata,"a",@progbits
	.p2align	6, 0x0
	.amdhsa_kernel _ZN4vllm3moe17topkGatingSoftmaxIDF16_Li2ELi2ELi8ELi4ELb1ELi0ELNS0_23SharedExpertScoringFuncE0EEEvPKT_PKbPfiPiS9_iiiiii
		.amdhsa_group_segment_fixed_size 0
		.amdhsa_private_segment_fixed_size 0
		.amdhsa_kernarg_size 72
		.amdhsa_user_sgpr_count 15
		.amdhsa_user_sgpr_dispatch_ptr 0
		.amdhsa_user_sgpr_queue_ptr 0
		.amdhsa_user_sgpr_kernarg_segment_ptr 1
		.amdhsa_user_sgpr_dispatch_id 0
		.amdhsa_user_sgpr_private_segment_size 0
		.amdhsa_wavefront_size32 1
		.amdhsa_uses_dynamic_stack 0
		.amdhsa_enable_private_segment 0
		.amdhsa_system_sgpr_workgroup_id_x 1
		.amdhsa_system_sgpr_workgroup_id_y 0
		.amdhsa_system_sgpr_workgroup_id_z 0
		.amdhsa_system_sgpr_workgroup_info 0
		.amdhsa_system_vgpr_workitem_id 1
		.amdhsa_next_free_vgpr 19
		.amdhsa_next_free_sgpr 22
		.amdhsa_reserve_vcc 1
		.amdhsa_float_round_mode_32 0
		.amdhsa_float_round_mode_16_64 0
		.amdhsa_float_denorm_mode_32 3
		.amdhsa_float_denorm_mode_16_64 3
		.amdhsa_dx10_clamp 1
		.amdhsa_ieee_mode 1
		.amdhsa_fp16_overflow 0
		.amdhsa_workgroup_processor_mode 1
		.amdhsa_memory_ordered 1
		.amdhsa_forward_progress 0
		.amdhsa_shared_vgpr_count 0
		.amdhsa_exception_fp_ieee_invalid_op 0
		.amdhsa_exception_fp_denorm_src 0
		.amdhsa_exception_fp_ieee_div_zero 0
		.amdhsa_exception_fp_ieee_overflow 0
		.amdhsa_exception_fp_ieee_underflow 0
		.amdhsa_exception_fp_ieee_inexact 0
		.amdhsa_exception_int_div_zero 0
	.end_amdhsa_kernel
	.section	.text._ZN4vllm3moe17topkGatingSoftmaxIDF16_Li2ELi2ELi8ELi4ELb1ELi0ELNS0_23SharedExpertScoringFuncE0EEEvPKT_PKbPfiPiS9_iiiiii,"axG",@progbits,_ZN4vllm3moe17topkGatingSoftmaxIDF16_Li2ELi2ELi8ELi4ELb1ELi0ELNS0_23SharedExpertScoringFuncE0EEEvPKT_PKbPfiPiS9_iiiiii,comdat
.Lfunc_end116:
	.size	_ZN4vllm3moe17topkGatingSoftmaxIDF16_Li2ELi2ELi8ELi4ELb1ELi0ELNS0_23SharedExpertScoringFuncE0EEEvPKT_PKbPfiPiS9_iiiiii, .Lfunc_end116-_ZN4vllm3moe17topkGatingSoftmaxIDF16_Li2ELi2ELi8ELi4ELb1ELi0ELNS0_23SharedExpertScoringFuncE0EEEvPKT_PKbPfiPiS9_iiiiii
                                        ; -- End function
	.section	.AMDGPU.csdata,"",@progbits
; Kernel info:
; codeLenInByte = 1220
; NumSgprs: 24
; NumVgprs: 19
; ScratchSize: 0
; MemoryBound: 0
; FloatMode: 240
; IeeeMode: 1
; LDSByteSize: 0 bytes/workgroup (compile time only)
; SGPRBlocks: 2
; VGPRBlocks: 2
; NumSGPRsForWavesPerEU: 24
; NumVGPRsForWavesPerEU: 19
; Occupancy: 16
; WaveLimiterHint : 0
; COMPUTE_PGM_RSRC2:SCRATCH_EN: 0
; COMPUTE_PGM_RSRC2:USER_SGPR: 15
; COMPUTE_PGM_RSRC2:TRAP_HANDLER: 0
; COMPUTE_PGM_RSRC2:TGID_X_EN: 1
; COMPUTE_PGM_RSRC2:TGID_Y_EN: 0
; COMPUTE_PGM_RSRC2:TGID_Z_EN: 0
; COMPUTE_PGM_RSRC2:TIDIG_COMP_CNT: 1
	.section	.text._ZN4vllm3moe17topkGatingSoftmaxIDF16_Li2ELi2ELi8ELi4ELb0ELi0ELNS0_23SharedExpertScoringFuncE0EEEvPKT_PKbPfiPiS9_iiiiii,"axG",@progbits,_ZN4vllm3moe17topkGatingSoftmaxIDF16_Li2ELi2ELi8ELi4ELb0ELi0ELNS0_23SharedExpertScoringFuncE0EEEvPKT_PKbPfiPiS9_iiiiii,comdat
	.protected	_ZN4vllm3moe17topkGatingSoftmaxIDF16_Li2ELi2ELi8ELi4ELb0ELi0ELNS0_23SharedExpertScoringFuncE0EEEvPKT_PKbPfiPiS9_iiiiii ; -- Begin function _ZN4vllm3moe17topkGatingSoftmaxIDF16_Li2ELi2ELi8ELi4ELb0ELi0ELNS0_23SharedExpertScoringFuncE0EEEvPKT_PKbPfiPiS9_iiiiii
	.globl	_ZN4vllm3moe17topkGatingSoftmaxIDF16_Li2ELi2ELi8ELi4ELb0ELi0ELNS0_23SharedExpertScoringFuncE0EEEvPKT_PKbPfiPiS9_iiiiii
	.p2align	8
	.type	_ZN4vllm3moe17topkGatingSoftmaxIDF16_Li2ELi2ELi8ELi4ELb0ELi0ELNS0_23SharedExpertScoringFuncE0EEEvPKT_PKbPfiPiS9_iiiiii,@function
_ZN4vllm3moe17topkGatingSoftmaxIDF16_Li2ELi2ELi8ELi4ELb0ELi0ELNS0_23SharedExpertScoringFuncE0EEEvPKT_PKbPfiPiS9_iiiiii: ; @_ZN4vllm3moe17topkGatingSoftmaxIDF16_Li2ELi2ELi8ELi4ELb0ELi0ELNS0_23SharedExpertScoringFuncE0EEEvPKT_PKbPfiPiS9_iiiiii
; %bb.0:
	s_load_b32 s14, s[0:1], 0x18
	v_bfe_u32 v1, v0, 10, 10
	v_and_b32_e32 v12, 0x3ff, v0
	s_lshl_b32 s16, s15, 8
	s_mov_b32 s2, exec_lo
	s_delay_alu instid0(VALU_DEP_2) | instskip(NEXT) | instid1(VALU_DEP_1)
	v_lshlrev_b32_e32 v11, 5, v1
	v_add3_u32 v6, v11, v12, s16
	s_waitcnt lgkmcnt(0)
	s_delay_alu instid0(VALU_DEP_1)
	v_cmpx_gt_i32_e64 s14, v6
	s_cbranch_execz .LBB117_13
; %bb.1:
	s_clause 0x1
	s_load_b128 s[4:7], s[0:1], 0x0
	s_load_b64 s[2:3], s[0:1], 0x10
	s_waitcnt lgkmcnt(0)
	s_cmp_eq_u64 s[6:7], 0
	s_cbranch_scc1 .LBB117_3
; %bb.2:
	v_ashrrev_i32_e32 v1, 31, v6
	v_add_co_u32 v0, vcc_lo, s6, v6
	s_delay_alu instid0(VALU_DEP_2) | instskip(SKIP_3) | instid1(VALU_DEP_1)
	v_add_co_ci_u32_e32 v1, vcc_lo, s7, v1, vcc_lo
	global_load_u8 v0, v[0:1], off
	s_waitcnt vmcnt(0)
	v_and_b32_e32 v0, 1, v0
	v_cmp_eq_u32_e32 vcc_lo, 1, v0
	s_xor_b32 s6, vcc_lo, -1
	s_delay_alu instid0(SALU_CYCLE_1)
	s_or_not1_b32 s15, s6, exec_lo
	s_branch .LBB117_4
.LBB117_3:
	s_mov_b32 s15, -1
.LBB117_4:
	s_load_b64 s[12:13], s[0:1], 0x40
	s_waitcnt lgkmcnt(0)
	v_mul_lo_u32 v0, v6, s13
	s_delay_alu instid0(VALU_DEP_1) | instskip(NEXT) | instid1(VALU_DEP_1)
	v_ashrrev_i32_e32 v1, 31, v0
	v_lshlrev_b64 v[0:1], 1, v[0:1]
	s_delay_alu instid0(VALU_DEP_1) | instskip(NEXT) | instid1(VALU_DEP_2)
	v_add_co_u32 v0, vcc_lo, s4, v0
	v_add_co_ci_u32_e32 v1, vcc_lo, s5, v1, vcc_lo
	s_load_b128 s[4:7], s[0:1], 0x30
	global_load_b32 v0, v[0:1], off
	s_waitcnt lgkmcnt(0)
	s_cmp_gt_i32 s4, 0
	s_cselect_b32 s13, -1, 0
	s_cmp_lt_i32 s4, 1
	s_waitcnt vmcnt(0)
	v_lshrrev_b32_e32 v1, 16, v0
	v_cvt_f32_f16_e32 v9, v0
	s_delay_alu instid0(VALU_DEP_2) | instskip(SKIP_1) | instid1(VALU_DEP_2)
	v_cvt_f32_f16_e32 v7, v1
	v_cmp_lt_f16_e32 vcc_lo, v0, v1
	v_cndmask_b32_e32 v8, v9, v7, vcc_lo
	s_cbranch_scc1 .LBB117_8
; %bb.5:
	s_delay_alu instid0(VALU_DEP_1) | instskip(SKIP_3) | instid1(VALU_DEP_3)
	v_dual_sub_f32 v10, v8, v8 :: v_dual_cndmask_b32 v9, 0xff800000, v9
	v_mul_lo_u32 v0, v6, s7
	s_load_b128 s[8:11], s[0:1], 0x20
	v_mul_lo_u32 v2, v6, s12
	v_mul_f32_e32 v1, 0x3fb8aa3b, v10
	v_cndmask_b32_e64 v17, 0, 1, vcc_lo
	v_mul_lo_u32 v4, v6, s4
	s_delay_alu instid0(VALU_DEP_3) | instskip(SKIP_1) | instid1(VALU_DEP_4)
	v_rndne_f32_e32 v15, v1
	v_fma_f32 v3, 0x3fb8aa3b, v10, -v1
	v_cmp_le_i32_e32 vcc_lo, s5, v17
	v_cmp_gt_i32_e64 s0, s6, v17
	v_subrev_nc_u32_e32 v16, s5, v17
	v_sub_f32_e32 v5, v1, v15
	v_fmac_f32_e32 v3, 0x32a5705f, v10
	v_ashrrev_i32_e32 v1, 31, v0
	s_and_b32 s0, vcc_lo, s0
	v_cvt_i32_f32_e32 v15, v15
	s_and_b32 vcc_lo, s15, s0
	v_add_f32_e32 v18, v5, v3
	v_ashrrev_i32_e32 v3, 31, v2
	v_lshlrev_b64 v[13:14], 2, v[0:1]
	v_ashrrev_i32_e32 v5, 31, v4
	v_cndmask_b32_e32 v19, 2, v16, vcc_lo
	v_exp_f32_e32 v18, v18
	v_lshlrev_b64 v[0:1], 2, v[2:3]
	s_cmp_eq_u32 s4, 1
	v_lshlrev_b64 v[2:3], 2, v[4:5]
	v_add_co_u32 v4, vcc_lo, s2, v13
	v_add_co_ci_u32_e32 v5, vcc_lo, s3, v14, vcc_lo
	s_waitcnt lgkmcnt(0)
	v_add_co_u32 v13, vcc_lo, s8, v0
	v_add_co_ci_u32_e32 v14, vcc_lo, s9, v1, vcc_lo
	s_delay_alu instid0(TRANS32_DEP_1) | instskip(SKIP_1) | instid1(VALU_DEP_2)
	v_ldexp_f32 v15, v18, v15
	v_cmp_ngt_f32_e32 vcc_lo, 0xc2ce8ed0, v10
	v_cndmask_b32_e32 v18, 0, v15, vcc_lo
	v_add_co_u32 v15, vcc_lo, s10, v2
	v_add_co_ci_u32_e32 v16, vcc_lo, s11, v3, vcc_lo
	v_cmp_nlt_f32_e32 vcc_lo, 0x42b17218, v10
	s_delay_alu instid0(VALU_DEP_4)
	v_cndmask_b32_e32 v10, 0x7f800000, v18, vcc_lo
	v_cmp_ne_u32_e32 vcc_lo, 1, v17
	global_store_b32 v[13:14], v19, off
	global_store_b32 v[4:5], v10, off
	;; [unrolled: 1-line block ×3, first 2 shown]
	v_cndmask_b32_e32 v7, 0xff800000, v7, vcc_lo
	s_cbranch_scc1 .LBB117_9
; %bb.6:
	v_add_co_u32 v2, vcc_lo, v2, s10
	v_add_co_ci_u32_e32 v3, vcc_lo, s11, v3, vcc_lo
	v_add_co_u32 v13, vcc_lo, v0, s8
	v_add_co_ci_u32_e32 v14, vcc_lo, s9, v1, vcc_lo
	s_delay_alu instid0(VALU_DEP_4) | instskip(NEXT) | instid1(VALU_DEP_4)
	v_add_co_u32 v0, vcc_lo, v2, 4
	v_add_co_ci_u32_e32 v1, vcc_lo, 0, v3, vcc_lo
	s_delay_alu instid0(VALU_DEP_4) | instskip(NEXT) | instid1(VALU_DEP_4)
	v_add_co_u32 v2, vcc_lo, v13, 4
	v_add_co_ci_u32_e32 v3, vcc_lo, 0, v14, vcc_lo
	s_add_i32 s16, s16, s14
	v_add_co_u32 v4, vcc_lo, v4, 4
	v_add_co_ci_u32_e32 v5, vcc_lo, 0, v5, vcc_lo
	v_add3_u32 v11, s16, v12, v11
	s_add_i32 s1, s4, -1
.LBB117_7:                              ; =>This Inner Loop Header: Depth=1
	v_cmp_gt_f32_e32 vcc_lo, v7, v9
	s_add_i32 s1, s1, -1
	v_cndmask_b32_e64 v13, 0, 1, vcc_lo
	v_cndmask_b32_e32 v12, v9, v7, vcc_lo
	v_cndmask_b32_e64 v7, v7, 0xff800000, vcc_lo
	v_cndmask_b32_e32 v9, 0xff800000, v9, vcc_lo
	s_delay_alu instid0(VALU_DEP_4) | instskip(SKIP_2) | instid1(VALU_DEP_2)
	v_cmp_le_i32_e32 vcc_lo, s5, v13
	v_cmp_gt_i32_e64 s0, s6, v13
	v_subrev_nc_u32_e32 v13, s5, v13
	s_and_b32 s0, vcc_lo, s0
	s_delay_alu instid0(SALU_CYCLE_1) | instskip(SKIP_1) | instid1(VALU_DEP_1)
	s_and_b32 vcc_lo, s15, s0
	s_cmp_eq_u32 s1, 0
	v_dual_cndmask_b32 v13, 2, v13 :: v_dual_sub_f32 v12, v12, v8
	global_store_b32 v[2:3], v13, off
	global_store_b32 v[0:1], v11, off
	v_dual_mul_f32 v14, 0x3fb8aa3b, v12 :: v_dual_add_nc_u32 v11, s14, v11
	v_add_co_u32 v0, vcc_lo, v0, 4
	v_add_co_ci_u32_e32 v1, vcc_lo, 0, v1, vcc_lo
	s_delay_alu instid0(VALU_DEP_3) | instskip(SKIP_3) | instid1(VALU_DEP_4)
	v_fma_f32 v15, 0x3fb8aa3b, v12, -v14
	v_rndne_f32_e32 v16, v14
	v_add_co_u32 v2, vcc_lo, v2, 4
	v_add_co_ci_u32_e32 v3, vcc_lo, 0, v3, vcc_lo
	v_fmac_f32_e32 v15, 0x32a5705f, v12
	s_delay_alu instid0(VALU_DEP_4) | instskip(SKIP_1) | instid1(VALU_DEP_2)
	v_sub_f32_e32 v14, v14, v16
	v_cvt_i32_f32_e32 v16, v16
	v_add_f32_e32 v13, v14, v15
	v_cmp_ngt_f32_e32 vcc_lo, 0xc2ce8ed0, v12
	s_delay_alu instid0(VALU_DEP_2) | instskip(SKIP_2) | instid1(VALU_DEP_1)
	v_exp_f32_e32 v13, v13
	s_waitcnt_depctr 0xfff
	v_ldexp_f32 v13, v13, v16
	v_cndmask_b32_e32 v13, 0, v13, vcc_lo
	v_cmp_nlt_f32_e32 vcc_lo, 0x42b17218, v12
	s_delay_alu instid0(VALU_DEP_2) | instskip(NEXT) | instid1(VALU_DEP_1)
	v_cndmask_b32_e32 v12, 0x7f800000, v13, vcc_lo
	v_add_f32_e32 v10, v10, v12
	global_store_b32 v[4:5], v12, off
	v_add_co_u32 v4, vcc_lo, v4, 4
	v_add_co_ci_u32_e32 v5, vcc_lo, 0, v5, vcc_lo
	s_cbranch_scc0 .LBB117_7
	s_branch .LBB117_9
.LBB117_8:
	v_mov_b32_e32 v10, 0
.LBB117_9:
	s_delay_alu instid0(VALU_DEP_1) | instskip(NEXT) | instid1(VALU_DEP_1)
	v_sub_f32_e32 v1, v7, v8
	v_dual_sub_f32 v0, v9, v8 :: v_dual_mul_f32 v3, 0x3fb8aa3b, v1
	s_delay_alu instid0(VALU_DEP_1) | instskip(SKIP_1) | instid1(VALU_DEP_3)
	v_mul_f32_e32 v2, 0x3fb8aa3b, v0
	v_cmp_ngt_f32_e32 vcc_lo, 0xc2ce8ed0, v0
	v_rndne_f32_e32 v8, v3
	s_delay_alu instid0(VALU_DEP_3) | instskip(SKIP_1) | instid1(VALU_DEP_1)
	v_fma_f32 v4, 0x3fb8aa3b, v0, -v2
	v_rndne_f32_e32 v5, v2
	v_sub_f32_e32 v2, v2, v5
	v_fma_f32 v7, 0x3fb8aa3b, v1, -v3
	s_delay_alu instid0(VALU_DEP_1) | instskip(NEXT) | instid1(VALU_DEP_1)
	v_dual_fmac_f32 v4, 0x32a5705f, v0 :: v_dual_fmac_f32 v7, 0x32a5705f, v1
	v_add_f32_e32 v2, v2, v4
	v_cvt_i32_f32_e32 v4, v5
	v_cvt_i32_f32_e32 v5, v8
	s_delay_alu instid0(VALU_DEP_3) | instskip(SKIP_2) | instid1(VALU_DEP_1)
	v_exp_f32_e32 v2, v2
	s_waitcnt_depctr 0xfff
	v_ldexp_f32 v2, v2, v4
	v_dual_sub_f32 v3, v3, v8 :: v_dual_cndmask_b32 v2, 0, v2
	s_delay_alu instid0(VALU_DEP_1) | instskip(SKIP_1) | instid1(VALU_DEP_2)
	v_add_f32_e32 v3, v3, v7
	v_cmp_ngt_f32_e32 vcc_lo, 0xc2ce8ed0, v1
	v_exp_f32_e32 v3, v3
	s_waitcnt_depctr 0xfff
	v_ldexp_f32 v3, v3, v5
	s_delay_alu instid0(VALU_DEP_1) | instskip(SKIP_3) | instid1(VALU_DEP_4)
	v_cndmask_b32_e32 v3, 0, v3, vcc_lo
	v_cmp_nlt_f32_e32 vcc_lo, 0x42b17218, v0
	v_cndmask_b32_e32 v0, 0x7f800000, v2, vcc_lo
	v_cmp_nlt_f32_e32 vcc_lo, 0x42b17218, v1
	v_cndmask_b32_e32 v1, 0x7f800000, v3, vcc_lo
	s_delay_alu instid0(VALU_DEP_1) | instskip(NEXT) | instid1(VALU_DEP_1)
	v_add_f32_e32 v0, v0, v1
	v_add_f32_e32 v0, v10, v0
	s_delay_alu instid0(VALU_DEP_1)
	v_cmp_neq_f32_e32 vcc_lo, 0, v0
	s_and_b32 exec_lo, exec_lo, vcc_lo
	s_cbranch_execz .LBB117_13
; %bb.10:
	s_and_not1_b32 vcc_lo, exec_lo, s13
	s_cbranch_vccnz .LBB117_13
; %bb.11:
	v_div_scale_f32 v2, null, v0, v0, 1.0
	v_div_scale_f32 v4, vcc_lo, 1.0, v0, 1.0
	s_delay_alu instid0(VALU_DEP_2) | instskip(SKIP_2) | instid1(VALU_DEP_1)
	v_rcp_f32_e32 v3, v2
	s_waitcnt_depctr 0xfff
	v_fma_f32 v1, -v2, v3, 1.0
	v_fmac_f32_e32 v3, v1, v3
	v_mul_lo_u32 v1, v6, s7
	s_delay_alu instid0(VALU_DEP_2) | instskip(NEXT) | instid1(VALU_DEP_1)
	v_mul_f32_e32 v5, v4, v3
	v_fma_f32 v7, -v2, v5, v4
	s_delay_alu instid0(VALU_DEP_1) | instskip(NEXT) | instid1(VALU_DEP_1)
	v_fmac_f32_e32 v5, v7, v3
	v_fma_f32 v4, -v2, v5, v4
	v_ashrrev_i32_e32 v2, 31, v1
	s_delay_alu instid0(VALU_DEP_2) | instskip(NEXT) | instid1(VALU_DEP_2)
	v_div_fmas_f32 v5, v4, v3, v5
	v_lshlrev_b64 v[3:4], 2, v[1:2]
	s_delay_alu instid0(VALU_DEP_2) | instskip(NEXT) | instid1(VALU_DEP_2)
	v_div_fixup_f32 v2, v5, v0, 1.0
	v_add_co_u32 v0, vcc_lo, s2, v3
	s_delay_alu instid0(VALU_DEP_3)
	v_add_co_ci_u32_e32 v1, vcc_lo, s3, v4, vcc_lo
.LBB117_12:                             ; =>This Inner Loop Header: Depth=1
	global_load_b32 v3, v[0:1], off
	s_add_i32 s4, s4, -1
	s_delay_alu instid0(SALU_CYCLE_1)
	s_cmp_lg_u32 s4, 0
	s_waitcnt vmcnt(0)
	v_mul_f32_e32 v3, v2, v3
	global_store_b32 v[0:1], v3, off
	v_add_co_u32 v0, vcc_lo, v0, 4
	v_add_co_ci_u32_e32 v1, vcc_lo, 0, v1, vcc_lo
	s_cbranch_scc1 .LBB117_12
.LBB117_13:
	s_nop 0
	s_sendmsg sendmsg(MSG_DEALLOC_VGPRS)
	s_endpgm
	.section	.rodata,"a",@progbits
	.p2align	6, 0x0
	.amdhsa_kernel _ZN4vllm3moe17topkGatingSoftmaxIDF16_Li2ELi2ELi8ELi4ELb0ELi0ELNS0_23SharedExpertScoringFuncE0EEEvPKT_PKbPfiPiS9_iiiiii
		.amdhsa_group_segment_fixed_size 0
		.amdhsa_private_segment_fixed_size 0
		.amdhsa_kernarg_size 72
		.amdhsa_user_sgpr_count 15
		.amdhsa_user_sgpr_dispatch_ptr 0
		.amdhsa_user_sgpr_queue_ptr 0
		.amdhsa_user_sgpr_kernarg_segment_ptr 1
		.amdhsa_user_sgpr_dispatch_id 0
		.amdhsa_user_sgpr_private_segment_size 0
		.amdhsa_wavefront_size32 1
		.amdhsa_uses_dynamic_stack 0
		.amdhsa_enable_private_segment 0
		.amdhsa_system_sgpr_workgroup_id_x 1
		.amdhsa_system_sgpr_workgroup_id_y 0
		.amdhsa_system_sgpr_workgroup_id_z 0
		.amdhsa_system_sgpr_workgroup_info 0
		.amdhsa_system_vgpr_workitem_id 1
		.amdhsa_next_free_vgpr 20
		.amdhsa_next_free_sgpr 17
		.amdhsa_reserve_vcc 1
		.amdhsa_float_round_mode_32 0
		.amdhsa_float_round_mode_16_64 0
		.amdhsa_float_denorm_mode_32 3
		.amdhsa_float_denorm_mode_16_64 3
		.amdhsa_dx10_clamp 1
		.amdhsa_ieee_mode 1
		.amdhsa_fp16_overflow 0
		.amdhsa_workgroup_processor_mode 1
		.amdhsa_memory_ordered 1
		.amdhsa_forward_progress 0
		.amdhsa_shared_vgpr_count 0
		.amdhsa_exception_fp_ieee_invalid_op 0
		.amdhsa_exception_fp_denorm_src 0
		.amdhsa_exception_fp_ieee_div_zero 0
		.amdhsa_exception_fp_ieee_overflow 0
		.amdhsa_exception_fp_ieee_underflow 0
		.amdhsa_exception_fp_ieee_inexact 0
		.amdhsa_exception_int_div_zero 0
	.end_amdhsa_kernel
	.section	.text._ZN4vllm3moe17topkGatingSoftmaxIDF16_Li2ELi2ELi8ELi4ELb0ELi0ELNS0_23SharedExpertScoringFuncE0EEEvPKT_PKbPfiPiS9_iiiiii,"axG",@progbits,_ZN4vllm3moe17topkGatingSoftmaxIDF16_Li2ELi2ELi8ELi4ELb0ELi0ELNS0_23SharedExpertScoringFuncE0EEEvPKT_PKbPfiPiS9_iiiiii,comdat
.Lfunc_end117:
	.size	_ZN4vllm3moe17topkGatingSoftmaxIDF16_Li2ELi2ELi8ELi4ELb0ELi0ELNS0_23SharedExpertScoringFuncE0EEEvPKT_PKbPfiPiS9_iiiiii, .Lfunc_end117-_ZN4vllm3moe17topkGatingSoftmaxIDF16_Li2ELi2ELi8ELi4ELb0ELi0ELNS0_23SharedExpertScoringFuncE0EEEvPKT_PKbPfiPiS9_iiiiii
                                        ; -- End function
	.section	.AMDGPU.csdata,"",@progbits
; Kernel info:
; codeLenInByte = 1368
; NumSgprs: 19
; NumVgprs: 20
; ScratchSize: 0
; MemoryBound: 0
; FloatMode: 240
; IeeeMode: 1
; LDSByteSize: 0 bytes/workgroup (compile time only)
; SGPRBlocks: 2
; VGPRBlocks: 2
; NumSGPRsForWavesPerEU: 19
; NumVGPRsForWavesPerEU: 20
; Occupancy: 16
; WaveLimiterHint : 0
; COMPUTE_PGM_RSRC2:SCRATCH_EN: 0
; COMPUTE_PGM_RSRC2:USER_SGPR: 15
; COMPUTE_PGM_RSRC2:TRAP_HANDLER: 0
; COMPUTE_PGM_RSRC2:TGID_X_EN: 1
; COMPUTE_PGM_RSRC2:TGID_Y_EN: 0
; COMPUTE_PGM_RSRC2:TGID_Z_EN: 0
; COMPUTE_PGM_RSRC2:TIDIG_COMP_CNT: 1
	.section	.text._ZN4vllm3moe17topkGatingSoftmaxIDF16_Li2ELi2ELi8ELi4ELb1ELi1ELNS0_23SharedExpertScoringFuncE1EEEvPKT_PKbPfiPiS9_iiiiii,"axG",@progbits,_ZN4vllm3moe17topkGatingSoftmaxIDF16_Li2ELi2ELi8ELi4ELb1ELi1ELNS0_23SharedExpertScoringFuncE1EEEvPKT_PKbPfiPiS9_iiiiii,comdat
	.protected	_ZN4vllm3moe17topkGatingSoftmaxIDF16_Li2ELi2ELi8ELi4ELb1ELi1ELNS0_23SharedExpertScoringFuncE1EEEvPKT_PKbPfiPiS9_iiiiii ; -- Begin function _ZN4vllm3moe17topkGatingSoftmaxIDF16_Li2ELi2ELi8ELi4ELb1ELi1ELNS0_23SharedExpertScoringFuncE1EEEvPKT_PKbPfiPiS9_iiiiii
	.globl	_ZN4vllm3moe17topkGatingSoftmaxIDF16_Li2ELi2ELi8ELi4ELb1ELi1ELNS0_23SharedExpertScoringFuncE1EEEvPKT_PKbPfiPiS9_iiiiii
	.p2align	8
	.type	_ZN4vllm3moe17topkGatingSoftmaxIDF16_Li2ELi2ELi8ELi4ELb1ELi1ELNS0_23SharedExpertScoringFuncE1EEEvPKT_PKbPfiPiS9_iiiiii,@function
_ZN4vllm3moe17topkGatingSoftmaxIDF16_Li2ELi2ELi8ELi4ELb1ELi1ELNS0_23SharedExpertScoringFuncE1EEEvPKT_PKbPfiPiS9_iiiiii: ; @_ZN4vllm3moe17topkGatingSoftmaxIDF16_Li2ELi2ELi8ELi4ELb1ELi1ELNS0_23SharedExpertScoringFuncE1EEEvPKT_PKbPfiPiS9_iiiiii
; %bb.0:
	s_load_b32 s12, s[0:1], 0x18
	v_bfe_u32 v1, v0, 10, 10
	v_and_b32_e32 v8, 0x3ff, v0
	s_lshl_b32 s14, s15, 8
	s_mov_b32 s2, exec_lo
	s_delay_alu instid0(VALU_DEP_2) | instskip(NEXT) | instid1(VALU_DEP_1)
	v_lshlrev_b32_e32 v7, 5, v1
	v_add3_u32 v10, v7, v8, s14
	s_waitcnt lgkmcnt(0)
	s_delay_alu instid0(VALU_DEP_1)
	v_cmpx_gt_i32_e64 s12, v10
	s_cbranch_execz .LBB118_12
; %bb.1:
	s_clause 0x1
	s_load_b128 s[4:7], s[0:1], 0x0
	s_load_b64 s[2:3], s[0:1], 0x10
	s_waitcnt lgkmcnt(0)
	s_cmp_eq_u64 s[6:7], 0
	s_cbranch_scc1 .LBB118_3
; %bb.2:
	v_ashrrev_i32_e32 v1, 31, v10
	v_add_co_u32 v0, vcc_lo, s6, v10
	s_delay_alu instid0(VALU_DEP_2) | instskip(SKIP_3) | instid1(VALU_DEP_1)
	v_add_co_ci_u32_e32 v1, vcc_lo, s7, v1, vcc_lo
	global_load_u8 v0, v[0:1], off
	s_waitcnt vmcnt(0)
	v_and_b32_e32 v0, 1, v0
	v_cmp_eq_u32_e32 vcc_lo, 1, v0
	s_xor_b32 s6, vcc_lo, -1
	s_delay_alu instid0(SALU_CYCLE_1)
	s_or_not1_b32 s13, s6, exec_lo
	s_branch .LBB118_4
.LBB118_3:
	s_mov_b32 s13, -1
.LBB118_4:
	s_load_b64 s[8:9], s[0:1], 0x40
	s_waitcnt lgkmcnt(0)
	v_mul_lo_u32 v0, v10, s9
	s_delay_alu instid0(VALU_DEP_1) | instskip(NEXT) | instid1(VALU_DEP_1)
	v_ashrrev_i32_e32 v1, 31, v0
	v_lshlrev_b64 v[0:1], 1, v[0:1]
	s_delay_alu instid0(VALU_DEP_1) | instskip(NEXT) | instid1(VALU_DEP_2)
	v_add_co_u32 v0, vcc_lo, s4, v0
	v_add_co_ci_u32_e32 v1, vcc_lo, s5, v1, vcc_lo
	s_mov_b32 s4, 0x3fb8aa3b
	s_clause 0x1
	global_load_u16 v2, v[0:1], off offset:4
	global_load_b32 v1, v[0:1], off
	s_waitcnt vmcnt(1)
	v_cvt_f32_f16_e64 v0, -v2
	s_delay_alu instid0(VALU_DEP_1) | instskip(SKIP_1) | instid1(VALU_DEP_1)
	v_cmp_ngt_f32_e32 vcc_lo, 0xc2ce8ed0, v0
	v_mul_f32_e32 v3, 0x3fb8aa3b, v0
	v_fma_mix_f32 v4, -v2, s4, -v3 op_sel_hi:[1,0,0]
	v_rndne_f32_e32 v5, v3
	s_mov_b32 s4, 0x32a5705f
	s_delay_alu instid0(VALU_DEP_2) | instid1(SALU_CYCLE_1)
	v_fma_mix_f32 v2, -v2, s4, v4 op_sel_hi:[1,0,0]
	s_delay_alu instid0(VALU_DEP_2) | instskip(SKIP_1) | instid1(VALU_DEP_1)
	v_sub_f32_e32 v3, v3, v5
	s_load_b128 s[4:7], s[0:1], 0x30
	v_add_f32_e32 v2, v3, v2
	v_cvt_i32_f32_e32 v3, v5
	s_delay_alu instid0(VALU_DEP_2) | instskip(SKIP_4) | instid1(VALU_DEP_1)
	v_exp_f32_e32 v2, v2
	s_waitcnt_depctr 0xfff
	v_ldexp_f32 v2, v2, v3
	s_waitcnt lgkmcnt(0)
	s_cmp_gt_i32 s4, 0
	v_cndmask_b32_e32 v2, 0, v2, vcc_lo
	v_cmp_nlt_f32_e32 vcc_lo, 0x42b17218, v0
	s_delay_alu instid0(VALU_DEP_2) | instskip(NEXT) | instid1(VALU_DEP_1)
	v_cndmask_b32_e32 v0, 0x7f800000, v2, vcc_lo
	v_add_f32_e32 v4, 1.0, v0
	s_delay_alu instid0(VALU_DEP_1) | instskip(SKIP_1) | instid1(VALU_DEP_2)
	v_div_scale_f32 v5, null, v4, v4, 1.0
	v_div_scale_f32 v9, vcc_lo, 1.0, v4, 1.0
	v_rcp_f32_e32 v6, v5
	s_waitcnt_depctr 0xfff
	v_fma_f32 v0, -v5, v6, 1.0
	s_delay_alu instid0(VALU_DEP_1) | instskip(SKIP_3) | instid1(VALU_DEP_2)
	v_fmac_f32_e32 v6, v0, v6
	v_mul_lo_u32 v0, v10, s7
	s_cselect_b32 s7, -1, 0
	s_cmp_lt_i32 s4, 1
	v_mul_f32_e32 v11, v9, v6
	s_delay_alu instid0(VALU_DEP_1) | instskip(NEXT) | instid1(VALU_DEP_1)
	v_fma_f32 v3, -v5, v11, v9
	v_dual_fmac_f32 v11, v3, v6 :: v_dual_add_nc_u32 v2, s4, v0
	s_delay_alu instid0(VALU_DEP_1) | instskip(NEXT) | instid1(VALU_DEP_2)
	v_ashrrev_i32_e32 v3, 31, v2
	v_fma_f32 v5, -v5, v11, v9
	s_delay_alu instid0(VALU_DEP_2) | instskip(NEXT) | instid1(VALU_DEP_2)
	v_lshlrev_b64 v[2:3], 2, v[2:3]
	v_div_fmas_f32 v5, v5, v6, v11
	v_mov_b32_e32 v11, 0
	s_delay_alu instid0(VALU_DEP_3) | instskip(NEXT) | instid1(VALU_DEP_4)
	v_add_co_u32 v2, vcc_lo, s2, v2
	v_add_co_ci_u32_e32 v3, vcc_lo, s3, v3, vcc_lo
	s_delay_alu instid0(VALU_DEP_4)
	v_div_fixup_f32 v4, v5, v4, 1.0
	global_store_b32 v[2:3], v4, off
	s_cbranch_scc1 .LBB118_8
; %bb.5:
	s_waitcnt vmcnt(0)
	v_lshrrev_b32_e32 v2, 16, v1
	v_cvt_f32_f16_e32 v13, v1
	v_mul_lo_u32 v15, v10, s4
	s_delay_alu instid0(VALU_DEP_3) | instskip(SKIP_3) | instid1(VALU_DEP_4)
	v_cvt_f32_f16_e32 v12, v2
	v_cmp_lt_f16_e32 vcc_lo, v1, v2
	v_mul_lo_u32 v2, v10, s8
	s_load_b128 s[8:11], s[0:1], 0x20
	v_ashrrev_i32_e32 v16, 31, v15
	v_cndmask_b32_e32 v9, v13, v12, vcc_lo
	s_delay_alu instid0(VALU_DEP_1) | instskip(NEXT) | instid1(VALU_DEP_1)
	v_sub_f32_e32 v11, v9, v9
	v_mul_f32_e32 v1, 0x3fb8aa3b, v11
	s_delay_alu instid0(VALU_DEP_1) | instskip(SKIP_1) | instid1(VALU_DEP_2)
	v_fma_f32 v3, 0x3fb8aa3b, v11, -v1
	v_rndne_f32_e32 v4, v1
	v_fmac_f32_e32 v3, 0x32a5705f, v11
	s_delay_alu instid0(VALU_DEP_2) | instskip(SKIP_2) | instid1(VALU_DEP_3)
	v_sub_f32_e32 v5, v1, v4
	v_ashrrev_i32_e32 v1, 31, v0
	v_cvt_i32_f32_e32 v4, v4
	v_add_f32_e32 v14, v5, v3
	s_delay_alu instid0(VALU_DEP_3) | instskip(SKIP_1) | instid1(VALU_DEP_3)
	v_lshlrev_b64 v[5:6], 2, v[0:1]
	v_ashrrev_i32_e32 v3, 31, v2
	v_exp_f32_e32 v17, v14
	v_cndmask_b32_e64 v14, 0, 1, vcc_lo
	s_delay_alu instid0(VALU_DEP_3) | instskip(NEXT) | instid1(VALU_DEP_1)
	v_add_co_u32 v5, s0, s2, v5
	v_add_co_ci_u32_e64 v6, s0, s3, v6, s0
	s_delay_alu instid0(VALU_DEP_3) | instskip(SKIP_3) | instid1(TRANS32_DEP_1)
	v_cmp_le_i32_e64 s0, s5, v14
	v_cmp_gt_i32_e64 s1, s6, v14
	v_lshlrev_b64 v[1:2], 2, v[2:3]
	v_subrev_nc_u32_e32 v18, s5, v14
	v_ldexp_f32 v17, v17, v4
	v_lshlrev_b64 v[3:4], 2, v[15:16]
	s_and_b32 s1, s0, s1
	v_cmp_ngt_f32_e64 s0, 0xc2ce8ed0, v11
	s_delay_alu instid0(VALU_DEP_1) | instskip(SKIP_2) | instid1(VALU_DEP_1)
	v_cndmask_b32_e64 v17, 0, v17, s0
	s_waitcnt lgkmcnt(0)
	v_add_co_u32 v15, s0, s8, v1
	v_add_co_ci_u32_e64 v16, s0, s9, v2, s0
	s_and_b32 s0, s13, s1
	s_cmp_eq_u32 s4, 1
	v_cndmask_b32_e64 v19, 2, v18, s0
	v_cmp_nlt_f32_e64 s0, 0x42b17218, v11
	s_delay_alu instid0(VALU_DEP_1) | instskip(SKIP_1) | instid1(VALU_DEP_1)
	v_cndmask_b32_e64 v11, 0x7f800000, v17, s0
	v_add_co_u32 v17, s0, s10, v3
	v_add_co_ci_u32_e64 v18, s0, s11, v4, s0
	global_store_b32 v[15:16], v19, off
	global_store_b32 v[5:6], v11, off
	;; [unrolled: 1-line block ×3, first 2 shown]
	s_cbranch_scc1 .LBB118_8
; %bb.6:
	v_cndmask_b32_e32 v10, 0xff800000, v13, vcc_lo
	v_cmp_ne_u32_e32 vcc_lo, 1, v14
	s_add_i32 s14, s14, s12
	s_add_i32 s1, s4, -1
	v_add3_u32 v7, s14, v8, v7
	v_cndmask_b32_e32 v12, 0xff800000, v12, vcc_lo
	v_add_co_u32 v3, vcc_lo, v3, s10
	v_add_co_ci_u32_e32 v4, vcc_lo, s11, v4, vcc_lo
	v_add_co_u32 v13, vcc_lo, v1, s8
	v_add_co_ci_u32_e32 v14, vcc_lo, s9, v2, vcc_lo
	s_delay_alu instid0(VALU_DEP_4) | instskip(NEXT) | instid1(VALU_DEP_4)
	v_add_co_u32 v1, vcc_lo, v3, 4
	v_add_co_ci_u32_e32 v2, vcc_lo, 0, v4, vcc_lo
	s_delay_alu instid0(VALU_DEP_4) | instskip(NEXT) | instid1(VALU_DEP_4)
	v_add_co_u32 v3, vcc_lo, v13, 4
	v_add_co_ci_u32_e32 v4, vcc_lo, 0, v14, vcc_lo
	v_add_co_u32 v5, vcc_lo, v5, 4
	v_add_co_ci_u32_e32 v6, vcc_lo, 0, v6, vcc_lo
.LBB118_7:                              ; =>This Inner Loop Header: Depth=1
	v_cmp_gt_f32_e32 vcc_lo, v12, v10
	s_add_i32 s1, s1, -1
	v_cndmask_b32_e64 v13, 0, 1, vcc_lo
	v_cndmask_b32_e32 v8, v10, v12, vcc_lo
	v_cndmask_b32_e64 v12, v12, 0xff800000, vcc_lo
	v_cndmask_b32_e32 v10, 0xff800000, v10, vcc_lo
	s_delay_alu instid0(VALU_DEP_4) | instskip(SKIP_2) | instid1(VALU_DEP_2)
	v_cmp_le_i32_e32 vcc_lo, s5, v13
	v_cmp_gt_i32_e64 s0, s6, v13
	v_subrev_nc_u32_e32 v13, s5, v13
	s_and_b32 s0, vcc_lo, s0
	s_delay_alu instid0(SALU_CYCLE_1) | instskip(SKIP_1) | instid1(VALU_DEP_1)
	s_and_b32 vcc_lo, s13, s0
	s_cmp_eq_u32 s1, 0
	v_cndmask_b32_e32 v13, 2, v13, vcc_lo
	v_sub_f32_e32 v8, v8, v9
	global_store_b32 v[3:4], v13, off
	global_store_b32 v[1:2], v7, off
	v_dual_mul_f32 v14, 0x3fb8aa3b, v8 :: v_dual_add_nc_u32 v7, s12, v7
	v_add_co_u32 v1, vcc_lo, v1, 4
	v_add_co_ci_u32_e32 v2, vcc_lo, 0, v2, vcc_lo
	s_delay_alu instid0(VALU_DEP_3) | instskip(SKIP_3) | instid1(VALU_DEP_4)
	v_fma_f32 v15, 0x3fb8aa3b, v8, -v14
	v_rndne_f32_e32 v16, v14
	v_add_co_u32 v3, vcc_lo, v3, 4
	v_add_co_ci_u32_e32 v4, vcc_lo, 0, v4, vcc_lo
	v_fmac_f32_e32 v15, 0x32a5705f, v8
	s_delay_alu instid0(VALU_DEP_4) | instskip(SKIP_1) | instid1(VALU_DEP_2)
	v_sub_f32_e32 v14, v14, v16
	v_cvt_i32_f32_e32 v16, v16
	v_add_f32_e32 v13, v14, v15
	v_cmp_ngt_f32_e32 vcc_lo, 0xc2ce8ed0, v8
	s_delay_alu instid0(VALU_DEP_2) | instskip(SKIP_2) | instid1(VALU_DEP_1)
	v_exp_f32_e32 v13, v13
	s_waitcnt_depctr 0xfff
	v_ldexp_f32 v13, v13, v16
	v_cndmask_b32_e32 v13, 0, v13, vcc_lo
	v_cmp_nlt_f32_e32 vcc_lo, 0x42b17218, v8
	s_delay_alu instid0(VALU_DEP_2)
	v_cndmask_b32_e32 v8, 0x7f800000, v13, vcc_lo
	global_store_b32 v[5:6], v8, off
	v_add_co_u32 v5, vcc_lo, v5, 4
	v_add_f32_e32 v11, v11, v8
	v_add_co_ci_u32_e32 v6, vcc_lo, 0, v6, vcc_lo
	s_cbranch_scc0 .LBB118_7
.LBB118_8:
	s_delay_alu instid0(VALU_DEP_2)
	v_cmp_neq_f32_e32 vcc_lo, 0, v11
	s_and_b32 exec_lo, exec_lo, vcc_lo
	s_cbranch_execz .LBB118_12
; %bb.9:
	s_and_not1_b32 vcc_lo, exec_lo, s7
	s_cbranch_vccnz .LBB118_12
; %bb.10:
	s_waitcnt vmcnt(0)
	v_div_scale_f32 v1, null, v11, v11, 1.0
	v_div_scale_f32 v4, vcc_lo, 1.0, v11, 1.0
	s_delay_alu instid0(VALU_DEP_2) | instskip(SKIP_2) | instid1(VALU_DEP_1)
	v_rcp_f32_e32 v2, v1
	s_waitcnt_depctr 0xfff
	v_fma_f32 v3, -v1, v2, 1.0
	v_fmac_f32_e32 v2, v3, v2
	s_delay_alu instid0(VALU_DEP_1) | instskip(NEXT) | instid1(VALU_DEP_1)
	v_mul_f32_e32 v3, v4, v2
	v_fma_f32 v5, -v1, v3, v4
	s_delay_alu instid0(VALU_DEP_1) | instskip(NEXT) | instid1(VALU_DEP_1)
	v_fmac_f32_e32 v3, v5, v2
	v_fma_f32 v4, -v1, v3, v4
	v_ashrrev_i32_e32 v1, 31, v0
	s_delay_alu instid0(VALU_DEP_2) | instskip(NEXT) | instid1(VALU_DEP_2)
	v_div_fmas_f32 v2, v4, v2, v3
	v_lshlrev_b64 v[0:1], 2, v[0:1]
	s_delay_alu instid0(VALU_DEP_2) | instskip(NEXT) | instid1(VALU_DEP_2)
	v_div_fixup_f32 v2, v2, v11, 1.0
	v_add_co_u32 v0, vcc_lo, s2, v0
	s_delay_alu instid0(VALU_DEP_3)
	v_add_co_ci_u32_e32 v1, vcc_lo, s3, v1, vcc_lo
.LBB118_11:                             ; =>This Inner Loop Header: Depth=1
	global_load_b32 v3, v[0:1], off
	s_add_i32 s4, s4, -1
	s_delay_alu instid0(SALU_CYCLE_1)
	s_cmp_lg_u32 s4, 0
	s_waitcnt vmcnt(0)
	v_mul_f32_e32 v3, v2, v3
	global_store_b32 v[0:1], v3, off
	v_add_co_u32 v0, vcc_lo, v0, 4
	v_add_co_ci_u32_e32 v1, vcc_lo, 0, v1, vcc_lo
	s_cbranch_scc1 .LBB118_11
.LBB118_12:
	s_nop 0
	s_sendmsg sendmsg(MSG_DEALLOC_VGPRS)
	s_endpgm
	.section	.rodata,"a",@progbits
	.p2align	6, 0x0
	.amdhsa_kernel _ZN4vllm3moe17topkGatingSoftmaxIDF16_Li2ELi2ELi8ELi4ELb1ELi1ELNS0_23SharedExpertScoringFuncE1EEEvPKT_PKbPfiPiS9_iiiiii
		.amdhsa_group_segment_fixed_size 0
		.amdhsa_private_segment_fixed_size 0
		.amdhsa_kernarg_size 72
		.amdhsa_user_sgpr_count 15
		.amdhsa_user_sgpr_dispatch_ptr 0
		.amdhsa_user_sgpr_queue_ptr 0
		.amdhsa_user_sgpr_kernarg_segment_ptr 1
		.amdhsa_user_sgpr_dispatch_id 0
		.amdhsa_user_sgpr_private_segment_size 0
		.amdhsa_wavefront_size32 1
		.amdhsa_uses_dynamic_stack 0
		.amdhsa_enable_private_segment 0
		.amdhsa_system_sgpr_workgroup_id_x 1
		.amdhsa_system_sgpr_workgroup_id_y 0
		.amdhsa_system_sgpr_workgroup_id_z 0
		.amdhsa_system_sgpr_workgroup_info 0
		.amdhsa_system_vgpr_workitem_id 1
		.amdhsa_next_free_vgpr 20
		.amdhsa_next_free_sgpr 16
		.amdhsa_reserve_vcc 1
		.amdhsa_float_round_mode_32 0
		.amdhsa_float_round_mode_16_64 0
		.amdhsa_float_denorm_mode_32 3
		.amdhsa_float_denorm_mode_16_64 3
		.amdhsa_dx10_clamp 1
		.amdhsa_ieee_mode 1
		.amdhsa_fp16_overflow 0
		.amdhsa_workgroup_processor_mode 1
		.amdhsa_memory_ordered 1
		.amdhsa_forward_progress 0
		.amdhsa_shared_vgpr_count 0
		.amdhsa_exception_fp_ieee_invalid_op 0
		.amdhsa_exception_fp_denorm_src 0
		.amdhsa_exception_fp_ieee_div_zero 0
		.amdhsa_exception_fp_ieee_overflow 0
		.amdhsa_exception_fp_ieee_underflow 0
		.amdhsa_exception_fp_ieee_inexact 0
		.amdhsa_exception_int_div_zero 0
	.end_amdhsa_kernel
	.section	.text._ZN4vllm3moe17topkGatingSoftmaxIDF16_Li2ELi2ELi8ELi4ELb1ELi1ELNS0_23SharedExpertScoringFuncE1EEEvPKT_PKbPfiPiS9_iiiiii,"axG",@progbits,_ZN4vllm3moe17topkGatingSoftmaxIDF16_Li2ELi2ELi8ELi4ELb1ELi1ELNS0_23SharedExpertScoringFuncE1EEEvPKT_PKbPfiPiS9_iiiiii,comdat
.Lfunc_end118:
	.size	_ZN4vllm3moe17topkGatingSoftmaxIDF16_Li2ELi2ELi8ELi4ELb1ELi1ELNS0_23SharedExpertScoringFuncE1EEEvPKT_PKbPfiPiS9_iiiiii, .Lfunc_end118-_ZN4vllm3moe17topkGatingSoftmaxIDF16_Li2ELi2ELi8ELi4ELb1ELi1ELNS0_23SharedExpertScoringFuncE1EEEvPKT_PKbPfiPiS9_iiiiii
                                        ; -- End function
	.section	.AMDGPU.csdata,"",@progbits
; Kernel info:
; codeLenInByte = 1480
; NumSgprs: 18
; NumVgprs: 20
; ScratchSize: 0
; MemoryBound: 0
; FloatMode: 240
; IeeeMode: 1
; LDSByteSize: 0 bytes/workgroup (compile time only)
; SGPRBlocks: 2
; VGPRBlocks: 2
; NumSGPRsForWavesPerEU: 18
; NumVGPRsForWavesPerEU: 20
; Occupancy: 16
; WaveLimiterHint : 0
; COMPUTE_PGM_RSRC2:SCRATCH_EN: 0
; COMPUTE_PGM_RSRC2:USER_SGPR: 15
; COMPUTE_PGM_RSRC2:TRAP_HANDLER: 0
; COMPUTE_PGM_RSRC2:TGID_X_EN: 1
; COMPUTE_PGM_RSRC2:TGID_Y_EN: 0
; COMPUTE_PGM_RSRC2:TGID_Z_EN: 0
; COMPUTE_PGM_RSRC2:TIDIG_COMP_CNT: 1
	.section	.text._ZN4vllm3moe17topkGatingSoftmaxIDF16_Li2ELi2ELi8ELi4ELb0ELi1ELNS0_23SharedExpertScoringFuncE1EEEvPKT_PKbPfiPiS9_iiiiii,"axG",@progbits,_ZN4vllm3moe17topkGatingSoftmaxIDF16_Li2ELi2ELi8ELi4ELb0ELi1ELNS0_23SharedExpertScoringFuncE1EEEvPKT_PKbPfiPiS9_iiiiii,comdat
	.protected	_ZN4vllm3moe17topkGatingSoftmaxIDF16_Li2ELi2ELi8ELi4ELb0ELi1ELNS0_23SharedExpertScoringFuncE1EEEvPKT_PKbPfiPiS9_iiiiii ; -- Begin function _ZN4vllm3moe17topkGatingSoftmaxIDF16_Li2ELi2ELi8ELi4ELb0ELi1ELNS0_23SharedExpertScoringFuncE1EEEvPKT_PKbPfiPiS9_iiiiii
	.globl	_ZN4vllm3moe17topkGatingSoftmaxIDF16_Li2ELi2ELi8ELi4ELb0ELi1ELNS0_23SharedExpertScoringFuncE1EEEvPKT_PKbPfiPiS9_iiiiii
	.p2align	8
	.type	_ZN4vllm3moe17topkGatingSoftmaxIDF16_Li2ELi2ELi8ELi4ELb0ELi1ELNS0_23SharedExpertScoringFuncE1EEEvPKT_PKbPfiPiS9_iiiiii,@function
_ZN4vllm3moe17topkGatingSoftmaxIDF16_Li2ELi2ELi8ELi4ELb0ELi1ELNS0_23SharedExpertScoringFuncE1EEEvPKT_PKbPfiPiS9_iiiiii: ; @_ZN4vllm3moe17topkGatingSoftmaxIDF16_Li2ELi2ELi8ELi4ELb0ELi1ELNS0_23SharedExpertScoringFuncE1EEEvPKT_PKbPfiPiS9_iiiiii
; %bb.0:
	s_load_b32 s14, s[0:1], 0x18
	v_bfe_u32 v1, v0, 10, 10
	v_and_b32_e32 v11, 0x3ff, v0
	s_lshl_b32 s16, s15, 8
	s_mov_b32 s2, exec_lo
	s_delay_alu instid0(VALU_DEP_2) | instskip(NEXT) | instid1(VALU_DEP_1)
	v_lshlrev_b32_e32 v10, 5, v1
	v_add3_u32 v13, v10, v11, s16
	s_waitcnt lgkmcnt(0)
	s_delay_alu instid0(VALU_DEP_1)
	v_cmpx_gt_i32_e64 s14, v13
	s_cbranch_execz .LBB119_12
; %bb.1:
	s_clause 0x1
	s_load_b128 s[4:7], s[0:1], 0x0
	s_load_b64 s[2:3], s[0:1], 0x10
	s_waitcnt lgkmcnt(0)
	s_cmp_eq_u64 s[6:7], 0
	s_cbranch_scc1 .LBB119_3
; %bb.2:
	v_ashrrev_i32_e32 v1, 31, v13
	v_add_co_u32 v0, vcc_lo, s6, v13
	s_delay_alu instid0(VALU_DEP_2) | instskip(SKIP_3) | instid1(VALU_DEP_1)
	v_add_co_ci_u32_e32 v1, vcc_lo, s7, v1, vcc_lo
	global_load_u8 v0, v[0:1], off
	s_waitcnt vmcnt(0)
	v_and_b32_e32 v0, 1, v0
	v_cmp_eq_u32_e32 vcc_lo, 1, v0
	s_xor_b32 s6, vcc_lo, -1
	s_delay_alu instid0(SALU_CYCLE_1)
	s_or_not1_b32 s15, s6, exec_lo
	s_branch .LBB119_4
.LBB119_3:
	s_mov_b32 s15, -1
.LBB119_4:
	s_load_b64 s[12:13], s[0:1], 0x40
	s_waitcnt lgkmcnt(0)
	v_mul_lo_u32 v0, v13, s13
	s_delay_alu instid0(VALU_DEP_1) | instskip(NEXT) | instid1(VALU_DEP_1)
	v_ashrrev_i32_e32 v1, 31, v0
	v_lshlrev_b64 v[0:1], 1, v[0:1]
	s_delay_alu instid0(VALU_DEP_1) | instskip(NEXT) | instid1(VALU_DEP_2)
	v_add_co_u32 v0, vcc_lo, s4, v0
	v_add_co_ci_u32_e32 v1, vcc_lo, s5, v1, vcc_lo
	s_mov_b32 s4, 0x3fb8aa3b
	s_clause 0x1
	global_load_u16 v2, v[0:1], off offset:4
	global_load_b32 v3, v[0:1], off
	s_waitcnt vmcnt(1)
	v_cvt_f32_f16_e64 v0, -v2
	s_waitcnt vmcnt(0)
	v_lshrrev_b32_e32 v12, 16, v3
	s_delay_alu instid0(VALU_DEP_2) | instskip(SKIP_1) | instid1(VALU_DEP_2)
	v_mul_f32_e32 v1, 0x3fb8aa3b, v0
	v_cmp_ngt_f32_e32 vcc_lo, 0xc2ce8ed0, v0
	v_fma_mix_f32 v4, -v2, s4, -v1 op_sel_hi:[1,0,0]
	v_rndne_f32_e32 v5, v1
	s_mov_b32 s4, 0x32a5705f
	s_delay_alu instid0(VALU_DEP_2) | instid1(SALU_CYCLE_1)
	v_fma_mix_f32 v2, -v2, s4, v4 op_sel_hi:[1,0,0]
	s_delay_alu instid0(VALU_DEP_2) | instskip(SKIP_1) | instid1(VALU_DEP_1)
	v_sub_f32_e32 v1, v1, v5
	s_load_b128 s[4:7], s[0:1], 0x30
	v_add_f32_e32 v1, v1, v2
	v_cvt_i32_f32_e32 v2, v5
	s_delay_alu instid0(VALU_DEP_2) | instskip(SKIP_4) | instid1(VALU_DEP_1)
	v_exp_f32_e32 v1, v1
	s_waitcnt_depctr 0xfff
	v_ldexp_f32 v1, v1, v2
	s_waitcnt lgkmcnt(0)
	s_cmp_gt_i32 s4, 0
	v_cndmask_b32_e32 v1, 0, v1, vcc_lo
	v_cmp_nlt_f32_e32 vcc_lo, 0x42b17218, v0
	s_delay_alu instid0(VALU_DEP_2) | instskip(NEXT) | instid1(VALU_DEP_1)
	v_cndmask_b32_e32 v0, 0x7f800000, v1, vcc_lo
	v_add_f32_e32 v4, 1.0, v0
	s_delay_alu instid0(VALU_DEP_1) | instskip(SKIP_1) | instid1(VALU_DEP_2)
	v_div_scale_f32 v5, null, v4, v4, 1.0
	v_div_scale_f32 v7, vcc_lo, 1.0, v4, 1.0
	v_rcp_f32_e32 v6, v5
	s_waitcnt_depctr 0xfff
	v_fma_f32 v0, -v5, v6, 1.0
	s_delay_alu instid0(VALU_DEP_1) | instskip(SKIP_3) | instid1(VALU_DEP_2)
	v_fmac_f32_e32 v6, v0, v6
	v_mul_lo_u32 v0, v13, s7
	s_cselect_b32 s7, -1, 0
	s_cmp_lt_i32 s4, 1
	v_mul_f32_e32 v8, v7, v6
	s_delay_alu instid0(VALU_DEP_1) | instskip(NEXT) | instid1(VALU_DEP_1)
	v_fma_f32 v9, -v5, v8, v7
	v_dual_fmac_f32 v8, v9, v6 :: v_dual_add_nc_u32 v1, s4, v0
	s_delay_alu instid0(VALU_DEP_1) | instskip(SKIP_1) | instid1(VALU_DEP_3)
	v_ashrrev_i32_e32 v2, 31, v1
	v_cvt_f32_f16_e32 v9, v3
	v_fma_f32 v5, -v5, v8, v7
	s_delay_alu instid0(VALU_DEP_3) | instskip(SKIP_1) | instid1(VALU_DEP_3)
	v_lshlrev_b64 v[1:2], 2, v[1:2]
	v_cvt_f32_f16_e32 v7, v12
	v_div_fmas_f32 v5, v5, v6, v8
	s_delay_alu instid0(VALU_DEP_3) | instskip(NEXT) | instid1(VALU_DEP_4)
	v_add_co_u32 v1, vcc_lo, s2, v1
	v_add_co_ci_u32_e32 v2, vcc_lo, s3, v2, vcc_lo
	v_cmp_lt_f16_e32 vcc_lo, v3, v12
	s_delay_alu instid0(VALU_DEP_4)
	v_div_fixup_f32 v3, v5, v4, 1.0
	v_mov_b32_e32 v12, 0
	v_cndmask_b32_e32 v8, v9, v7, vcc_lo
	global_store_b32 v[1:2], v3, off
	s_cbranch_scc1 .LBB119_8
; %bb.5:
	v_dual_sub_f32 v12, v8, v8 :: v_dual_cndmask_b32 v9, 0xff800000, v9
	v_ashrrev_i32_e32 v1, 31, v0
	v_cndmask_b32_e64 v18, 0, 1, vcc_lo
	s_load_b128 s[8:11], s[0:1], 0x20
	s_delay_alu instid0(VALU_DEP_3)
	v_mul_f32_e32 v3, 0x3fb8aa3b, v12
	v_mul_lo_u32 v2, v13, s12
	v_lshlrev_b64 v[5:6], 2, v[0:1]
	v_cmp_le_i32_e32 vcc_lo, s5, v18
	v_cmp_gt_i32_e64 s0, s6, v18
	v_rndne_f32_e32 v4, v3
	v_fma_f32 v15, 0x3fb8aa3b, v12, -v3
	v_mul_lo_u32 v14, v13, s4
	v_subrev_nc_u32_e32 v16, s5, v18
	s_and_b32 s0, vcc_lo, s0
	v_sub_f32_e32 v3, v3, v4
	v_fmac_f32_e32 v15, 0x32a5705f, v12
	v_add_co_u32 v5, vcc_lo, s2, v5
	v_add_co_ci_u32_e32 v6, vcc_lo, s3, v6, vcc_lo
	s_and_b32 vcc_lo, s15, s0
	s_delay_alu instid0(VALU_DEP_3) | instskip(SKIP_3) | instid1(VALU_DEP_4)
	v_dual_add_f32 v1, v3, v15 :: v_dual_cndmask_b32 v20, 2, v16
	v_ashrrev_i32_e32 v3, 31, v2
	v_ashrrev_i32_e32 v15, 31, v14
	v_cvt_i32_f32_e32 v19, v4
	v_exp_f32_e32 v17, v1
	s_cmp_eq_u32 s4, 1
	v_lshlrev_b64 v[1:2], 2, v[2:3]
	v_lshlrev_b64 v[3:4], 2, v[14:15]
	s_waitcnt lgkmcnt(0)
	s_delay_alu instid0(VALU_DEP_2) | instskip(NEXT) | instid1(VALU_DEP_3)
	v_add_co_u32 v14, vcc_lo, s8, v1
	v_add_co_ci_u32_e32 v15, vcc_lo, s9, v2, vcc_lo
	s_waitcnt_depctr 0xfff
	v_ldexp_f32 v16, v17, v19
	v_cmp_ngt_f32_e32 vcc_lo, 0xc2ce8ed0, v12
	s_delay_alu instid0(VALU_DEP_2) | instskip(SKIP_3) | instid1(VALU_DEP_4)
	v_cndmask_b32_e32 v19, 0, v16, vcc_lo
	v_add_co_u32 v16, vcc_lo, s10, v3
	v_add_co_ci_u32_e32 v17, vcc_lo, s11, v4, vcc_lo
	v_cmp_nlt_f32_e32 vcc_lo, 0x42b17218, v12
	v_cndmask_b32_e32 v12, 0x7f800000, v19, vcc_lo
	v_cmp_ne_u32_e32 vcc_lo, 1, v18
	global_store_b32 v[14:15], v20, off
	global_store_b32 v[5:6], v12, off
	;; [unrolled: 1-line block ×3, first 2 shown]
	v_cndmask_b32_e32 v7, 0xff800000, v7, vcc_lo
	s_cbranch_scc1 .LBB119_8
; %bb.6:
	v_add_co_u32 v3, vcc_lo, v3, s10
	v_add_co_ci_u32_e32 v4, vcc_lo, s11, v4, vcc_lo
	v_add_co_u32 v13, vcc_lo, v1, s8
	v_add_co_ci_u32_e32 v14, vcc_lo, s9, v2, vcc_lo
	s_delay_alu instid0(VALU_DEP_4) | instskip(NEXT) | instid1(VALU_DEP_4)
	v_add_co_u32 v1, vcc_lo, v3, 4
	v_add_co_ci_u32_e32 v2, vcc_lo, 0, v4, vcc_lo
	s_delay_alu instid0(VALU_DEP_4) | instskip(NEXT) | instid1(VALU_DEP_4)
	v_add_co_u32 v3, vcc_lo, v13, 4
	v_add_co_ci_u32_e32 v4, vcc_lo, 0, v14, vcc_lo
	s_add_i32 s16, s16, s14
	v_add_co_u32 v5, vcc_lo, v5, 4
	v_add_co_ci_u32_e32 v6, vcc_lo, 0, v6, vcc_lo
	v_add3_u32 v10, s16, v11, v10
	s_add_i32 s1, s4, -1
.LBB119_7:                              ; =>This Inner Loop Header: Depth=1
	v_cmp_gt_f32_e32 vcc_lo, v7, v9
	s_add_i32 s1, s1, -1
	v_cndmask_b32_e64 v13, 0, 1, vcc_lo
	v_cndmask_b32_e32 v11, v9, v7, vcc_lo
	v_cndmask_b32_e64 v7, v7, 0xff800000, vcc_lo
	v_cndmask_b32_e32 v9, 0xff800000, v9, vcc_lo
	s_delay_alu instid0(VALU_DEP_4) | instskip(SKIP_3) | instid1(VALU_DEP_3)
	v_cmp_le_i32_e32 vcc_lo, s5, v13
	v_cmp_gt_i32_e64 s0, s6, v13
	v_subrev_nc_u32_e32 v13, s5, v13
	v_sub_f32_e32 v11, v11, v8
	s_and_b32 s0, vcc_lo, s0
	s_delay_alu instid0(SALU_CYCLE_1)
	s_and_b32 vcc_lo, s15, s0
	s_cmp_eq_u32 s1, 0
	v_cndmask_b32_e32 v13, 2, v13, vcc_lo
	global_store_b32 v[3:4], v13, off
	global_store_b32 v[1:2], v10, off
	v_add_nc_u32_e32 v10, s14, v10
	v_add_co_u32 v1, vcc_lo, v1, 4
	v_add_co_ci_u32_e32 v2, vcc_lo, 0, v2, vcc_lo
	v_add_co_u32 v3, vcc_lo, v3, 4
	v_add_co_ci_u32_e32 v4, vcc_lo, 0, v4, vcc_lo
	v_cmp_ngt_f32_e32 vcc_lo, 0xc2ce8ed0, v11
	v_mul_f32_e32 v14, 0x3fb8aa3b, v11
	s_delay_alu instid0(VALU_DEP_1) | instskip(SKIP_1) | instid1(VALU_DEP_1)
	v_fma_f32 v15, 0x3fb8aa3b, v11, -v14
	v_rndne_f32_e32 v16, v14
	v_dual_fmac_f32 v15, 0x32a5705f, v11 :: v_dual_sub_f32 v14, v14, v16
	v_cvt_i32_f32_e32 v16, v16
	s_delay_alu instid0(VALU_DEP_2) | instskip(NEXT) | instid1(VALU_DEP_1)
	v_add_f32_e32 v13, v14, v15
	v_exp_f32_e32 v13, v13
	s_waitcnt_depctr 0xfff
	v_ldexp_f32 v13, v13, v16
	s_delay_alu instid0(VALU_DEP_1) | instskip(SKIP_1) | instid1(VALU_DEP_2)
	v_cndmask_b32_e32 v13, 0, v13, vcc_lo
	v_cmp_nlt_f32_e32 vcc_lo, 0x42b17218, v11
	v_cndmask_b32_e32 v11, 0x7f800000, v13, vcc_lo
	global_store_b32 v[5:6], v11, off
	v_add_co_u32 v5, vcc_lo, v5, 4
	v_add_f32_e32 v12, v12, v11
	v_add_co_ci_u32_e32 v6, vcc_lo, 0, v6, vcc_lo
	s_cbranch_scc0 .LBB119_7
.LBB119_8:
	s_delay_alu instid0(VALU_DEP_1) | instskip(NEXT) | instid1(VALU_DEP_1)
	v_sub_f32_e32 v2, v7, v8
	v_dual_sub_f32 v1, v9, v8 :: v_dual_mul_f32 v4, 0x3fb8aa3b, v2
	s_delay_alu instid0(VALU_DEP_1) | instskip(SKIP_1) | instid1(VALU_DEP_3)
	v_mul_f32_e32 v3, 0x3fb8aa3b, v1
	v_cmp_ngt_f32_e32 vcc_lo, 0xc2ce8ed0, v1
	v_fma_f32 v7, 0x3fb8aa3b, v2, -v4
	s_delay_alu instid0(VALU_DEP_3) | instskip(SKIP_2) | instid1(VALU_DEP_4)
	v_fma_f32 v5, 0x3fb8aa3b, v1, -v3
	v_rndne_f32_e32 v6, v3
	v_rndne_f32_e32 v8, v4
	v_fmac_f32_e32 v7, 0x32a5705f, v2
	s_delay_alu instid0(VALU_DEP_2) | instskip(NEXT) | instid1(VALU_DEP_1)
	v_dual_fmac_f32 v5, 0x32a5705f, v1 :: v_dual_sub_f32 v4, v4, v8
	v_dual_sub_f32 v3, v3, v6 :: v_dual_add_f32 v4, v4, v7
	s_delay_alu instid0(VALU_DEP_1) | instskip(SKIP_2) | instid1(VALU_DEP_4)
	v_add_f32_e32 v3, v3, v5
	v_cvt_i32_f32_e32 v5, v6
	v_cvt_i32_f32_e32 v6, v8
	v_exp_f32_e32 v4, v4
	s_delay_alu instid0(VALU_DEP_3) | instskip(SKIP_3) | instid1(VALU_DEP_1)
	v_exp_f32_e32 v3, v3
	s_waitcnt_depctr 0xfff
	v_ldexp_f32 v4, v4, v6
	v_ldexp_f32 v3, v3, v5
	v_cndmask_b32_e32 v3, 0, v3, vcc_lo
	v_cmp_ngt_f32_e32 vcc_lo, 0xc2ce8ed0, v2
	s_delay_alu instid0(VALU_DEP_4) | instskip(SKIP_1) | instid1(VALU_DEP_4)
	v_cndmask_b32_e32 v4, 0, v4, vcc_lo
	v_cmp_nlt_f32_e32 vcc_lo, 0x42b17218, v1
	v_cndmask_b32_e32 v1, 0x7f800000, v3, vcc_lo
	v_cmp_nlt_f32_e32 vcc_lo, 0x42b17218, v2
	s_delay_alu instid0(VALU_DEP_4) | instskip(NEXT) | instid1(VALU_DEP_1)
	v_cndmask_b32_e32 v2, 0x7f800000, v4, vcc_lo
	v_add_f32_e32 v1, v1, v2
	s_delay_alu instid0(VALU_DEP_1) | instskip(NEXT) | instid1(VALU_DEP_1)
	v_add_f32_e32 v2, v12, v1
	v_cmp_neq_f32_e32 vcc_lo, 0, v2
	s_and_b32 exec_lo, exec_lo, vcc_lo
	s_cbranch_execz .LBB119_12
; %bb.9:
	s_and_not1_b32 vcc_lo, exec_lo, s7
	s_cbranch_vccnz .LBB119_12
; %bb.10:
	v_div_scale_f32 v1, null, v2, v2, 1.0
	v_div_scale_f32 v5, vcc_lo, 1.0, v2, 1.0
	s_delay_alu instid0(VALU_DEP_2) | instskip(SKIP_2) | instid1(VALU_DEP_1)
	v_rcp_f32_e32 v3, v1
	s_waitcnt_depctr 0xfff
	v_fma_f32 v4, -v1, v3, 1.0
	v_fmac_f32_e32 v3, v4, v3
	s_delay_alu instid0(VALU_DEP_1) | instskip(NEXT) | instid1(VALU_DEP_1)
	v_mul_f32_e32 v4, v5, v3
	v_fma_f32 v6, -v1, v4, v5
	s_delay_alu instid0(VALU_DEP_1) | instskip(NEXT) | instid1(VALU_DEP_1)
	v_fmac_f32_e32 v4, v6, v3
	v_fma_f32 v5, -v1, v4, v5
	v_ashrrev_i32_e32 v1, 31, v0
	s_delay_alu instid0(VALU_DEP_2) | instskip(NEXT) | instid1(VALU_DEP_2)
	v_div_fmas_f32 v3, v5, v3, v4
	v_lshlrev_b64 v[0:1], 2, v[0:1]
	s_delay_alu instid0(VALU_DEP_2) | instskip(NEXT) | instid1(VALU_DEP_2)
	v_div_fixup_f32 v2, v3, v2, 1.0
	v_add_co_u32 v0, vcc_lo, s2, v0
	s_delay_alu instid0(VALU_DEP_3)
	v_add_co_ci_u32_e32 v1, vcc_lo, s3, v1, vcc_lo
.LBB119_11:                             ; =>This Inner Loop Header: Depth=1
	global_load_b32 v3, v[0:1], off
	s_add_i32 s4, s4, -1
	s_delay_alu instid0(SALU_CYCLE_1)
	s_cmp_lg_u32 s4, 0
	s_waitcnt vmcnt(0)
	v_mul_f32_e32 v3, v2, v3
	global_store_b32 v[0:1], v3, off
	v_add_co_u32 v0, vcc_lo, v0, 4
	v_add_co_ci_u32_e32 v1, vcc_lo, 0, v1, vcc_lo
	s_cbranch_scc1 .LBB119_11
.LBB119_12:
	s_nop 0
	s_sendmsg sendmsg(MSG_DEALLOC_VGPRS)
	s_endpgm
	.section	.rodata,"a",@progbits
	.p2align	6, 0x0
	.amdhsa_kernel _ZN4vllm3moe17topkGatingSoftmaxIDF16_Li2ELi2ELi8ELi4ELb0ELi1ELNS0_23SharedExpertScoringFuncE1EEEvPKT_PKbPfiPiS9_iiiiii
		.amdhsa_group_segment_fixed_size 0
		.amdhsa_private_segment_fixed_size 0
		.amdhsa_kernarg_size 72
		.amdhsa_user_sgpr_count 15
		.amdhsa_user_sgpr_dispatch_ptr 0
		.amdhsa_user_sgpr_queue_ptr 0
		.amdhsa_user_sgpr_kernarg_segment_ptr 1
		.amdhsa_user_sgpr_dispatch_id 0
		.amdhsa_user_sgpr_private_segment_size 0
		.amdhsa_wavefront_size32 1
		.amdhsa_uses_dynamic_stack 0
		.amdhsa_enable_private_segment 0
		.amdhsa_system_sgpr_workgroup_id_x 1
		.amdhsa_system_sgpr_workgroup_id_y 0
		.amdhsa_system_sgpr_workgroup_id_z 0
		.amdhsa_system_sgpr_workgroup_info 0
		.amdhsa_system_vgpr_workitem_id 1
		.amdhsa_next_free_vgpr 21
		.amdhsa_next_free_sgpr 17
		.amdhsa_reserve_vcc 1
		.amdhsa_float_round_mode_32 0
		.amdhsa_float_round_mode_16_64 0
		.amdhsa_float_denorm_mode_32 3
		.amdhsa_float_denorm_mode_16_64 3
		.amdhsa_dx10_clamp 1
		.amdhsa_ieee_mode 1
		.amdhsa_fp16_overflow 0
		.amdhsa_workgroup_processor_mode 1
		.amdhsa_memory_ordered 1
		.amdhsa_forward_progress 0
		.amdhsa_shared_vgpr_count 0
		.amdhsa_exception_fp_ieee_invalid_op 0
		.amdhsa_exception_fp_denorm_src 0
		.amdhsa_exception_fp_ieee_div_zero 0
		.amdhsa_exception_fp_ieee_overflow 0
		.amdhsa_exception_fp_ieee_underflow 0
		.amdhsa_exception_fp_ieee_inexact 0
		.amdhsa_exception_int_div_zero 0
	.end_amdhsa_kernel
	.section	.text._ZN4vllm3moe17topkGatingSoftmaxIDF16_Li2ELi2ELi8ELi4ELb0ELi1ELNS0_23SharedExpertScoringFuncE1EEEvPKT_PKbPfiPiS9_iiiiii,"axG",@progbits,_ZN4vllm3moe17topkGatingSoftmaxIDF16_Li2ELi2ELi8ELi4ELb0ELi1ELNS0_23SharedExpertScoringFuncE1EEEvPKT_PKbPfiPiS9_iiiiii,comdat
.Lfunc_end119:
	.size	_ZN4vllm3moe17topkGatingSoftmaxIDF16_Li2ELi2ELi8ELi4ELb0ELi1ELNS0_23SharedExpertScoringFuncE1EEEvPKT_PKbPfiPiS9_iiiiii, .Lfunc_end119-_ZN4vllm3moe17topkGatingSoftmaxIDF16_Li2ELi2ELi8ELi4ELb0ELi1ELNS0_23SharedExpertScoringFuncE1EEEvPKT_PKbPfiPiS9_iiiiii
                                        ; -- End function
	.section	.AMDGPU.csdata,"",@progbits
; Kernel info:
; codeLenInByte = 1640
; NumSgprs: 19
; NumVgprs: 21
; ScratchSize: 0
; MemoryBound: 0
; FloatMode: 240
; IeeeMode: 1
; LDSByteSize: 0 bytes/workgroup (compile time only)
; SGPRBlocks: 2
; VGPRBlocks: 2
; NumSGPRsForWavesPerEU: 19
; NumVGPRsForWavesPerEU: 21
; Occupancy: 16
; WaveLimiterHint : 0
; COMPUTE_PGM_RSRC2:SCRATCH_EN: 0
; COMPUTE_PGM_RSRC2:USER_SGPR: 15
; COMPUTE_PGM_RSRC2:TRAP_HANDLER: 0
; COMPUTE_PGM_RSRC2:TGID_X_EN: 1
; COMPUTE_PGM_RSRC2:TGID_Y_EN: 0
; COMPUTE_PGM_RSRC2:TGID_Z_EN: 0
; COMPUTE_PGM_RSRC2:TIDIG_COMP_CNT: 1
	.section	.text._ZN4vllm3moe17topkGatingSoftmaxIDF16_Li2ELi2ELi8ELi4ELb1ELi2ELNS0_23SharedExpertScoringFuncE1EEEvPKT_PKbPfiPiS9_iiiiii,"axG",@progbits,_ZN4vllm3moe17topkGatingSoftmaxIDF16_Li2ELi2ELi8ELi4ELb1ELi2ELNS0_23SharedExpertScoringFuncE1EEEvPKT_PKbPfiPiS9_iiiiii,comdat
	.protected	_ZN4vllm3moe17topkGatingSoftmaxIDF16_Li2ELi2ELi8ELi4ELb1ELi2ELNS0_23SharedExpertScoringFuncE1EEEvPKT_PKbPfiPiS9_iiiiii ; -- Begin function _ZN4vllm3moe17topkGatingSoftmaxIDF16_Li2ELi2ELi8ELi4ELb1ELi2ELNS0_23SharedExpertScoringFuncE1EEEvPKT_PKbPfiPiS9_iiiiii
	.globl	_ZN4vllm3moe17topkGatingSoftmaxIDF16_Li2ELi2ELi8ELi4ELb1ELi2ELNS0_23SharedExpertScoringFuncE1EEEvPKT_PKbPfiPiS9_iiiiii
	.p2align	8
	.type	_ZN4vllm3moe17topkGatingSoftmaxIDF16_Li2ELi2ELi8ELi4ELb1ELi2ELNS0_23SharedExpertScoringFuncE1EEEvPKT_PKbPfiPiS9_iiiiii,@function
_ZN4vllm3moe17topkGatingSoftmaxIDF16_Li2ELi2ELi8ELi4ELb1ELi2ELNS0_23SharedExpertScoringFuncE1EEEvPKT_PKbPfiPiS9_iiiiii: ; @_ZN4vllm3moe17topkGatingSoftmaxIDF16_Li2ELi2ELi8ELi4ELb1ELi2ELNS0_23SharedExpertScoringFuncE1EEEvPKT_PKbPfiPiS9_iiiiii
; %bb.0:
	s_load_b32 s3, s[0:1], 0x18
	v_bfe_u32 v1, v0, 10, 10
	v_and_b32_e32 v8, 0x3ff, v0
	s_lshl_b32 s15, s15, 8
	s_mov_b32 s2, exec_lo
	s_delay_alu instid0(VALU_DEP_2) | instskip(NEXT) | instid1(VALU_DEP_1)
	v_lshlrev_b32_e32 v7, 5, v1
	v_add3_u32 v9, v7, v8, s15
	s_waitcnt lgkmcnt(0)
	s_delay_alu instid0(VALU_DEP_1)
	v_cmpx_gt_i32_e64 s3, v9
	s_cbranch_execz .LBB120_12
; %bb.1:
	s_clause 0x1
	s_load_b128 s[4:7], s[0:1], 0x0
	s_load_b64 s[12:13], s[0:1], 0x10
	s_waitcnt lgkmcnt(0)
	s_cmp_eq_u64 s[6:7], 0
	s_cbranch_scc1 .LBB120_3
; %bb.2:
	v_ashrrev_i32_e32 v1, 31, v9
	v_add_co_u32 v0, vcc_lo, s6, v9
	s_delay_alu instid0(VALU_DEP_2) | instskip(SKIP_3) | instid1(VALU_DEP_1)
	v_add_co_ci_u32_e32 v1, vcc_lo, s7, v1, vcc_lo
	global_load_u8 v0, v[0:1], off
	s_waitcnt vmcnt(0)
	v_and_b32_e32 v0, 1, v0
	v_cmp_eq_u32_e32 vcc_lo, 1, v0
	s_xor_b32 s2, vcc_lo, -1
	s_delay_alu instid0(SALU_CYCLE_1)
	s_or_not1_b32 s14, s2, exec_lo
	s_branch .LBB120_4
.LBB120_3:
	s_mov_b32 s14, -1
.LBB120_4:
	s_load_b64 s[8:9], s[0:1], 0x40
	s_mov_b32 s2, 0x3fb8aa3b
	s_waitcnt lgkmcnt(0)
	v_mul_lo_u32 v0, v9, s9
	s_delay_alu instid0(VALU_DEP_1) | instskip(NEXT) | instid1(VALU_DEP_1)
	v_ashrrev_i32_e32 v1, 31, v0
	v_lshlrev_b64 v[0:1], 1, v[0:1]
	s_delay_alu instid0(VALU_DEP_1) | instskip(NEXT) | instid1(VALU_DEP_2)
	v_add_co_u32 v0, vcc_lo, s4, v0
	v_add_co_ci_u32_e32 v1, vcc_lo, s5, v1, vcc_lo
	s_mov_b32 s4, 0x32a5705f
	global_load_b64 v[1:2], v[0:1], off
	s_waitcnt vmcnt(0)
	v_lshrrev_b32_e32 v0, 16, v2
	v_cvt_f32_f16_e64 v3, -v2
	s_delay_alu instid0(VALU_DEP_2) | instskip(NEXT) | instid1(VALU_DEP_2)
	v_cvt_f32_f16_e64 v0, -v0
	v_mul_f32_e32 v4, 0x3fb8aa3b, v3
	v_cmp_ngt_f32_e32 vcc_lo, 0xc2ce8ed0, v3
	s_delay_alu instid0(VALU_DEP_3) | instskip(NEXT) | instid1(VALU_DEP_3)
	v_mul_f32_e32 v5, 0x3fb8aa3b, v0
	v_fma_mix_f32 v6, -v2, s2, -v4 op_sel_hi:[1,0,0]
	v_rndne_f32_e32 v10, v4
	s_delay_alu instid0(VALU_DEP_3) | instskip(SKIP_1) | instid1(VALU_DEP_4)
	v_fma_mix_f32 v11, -v2, s2, -v5 op_sel:[1,0,0] op_sel_hi:[1,0,0]
	v_rndne_f32_e32 v12, v5
	v_fma_mix_f32 v6, -v2, s4, v6 op_sel_hi:[1,0,0]
	s_delay_alu instid0(VALU_DEP_4) | instskip(NEXT) | instid1(VALU_DEP_4)
	v_sub_f32_e32 v4, v4, v10
	v_fma_mix_f32 v2, -v2, s4, v11 op_sel:[1,0,0] op_sel_hi:[1,0,0]
	s_delay_alu instid0(VALU_DEP_4) | instskip(SKIP_1) | instid1(VALU_DEP_3)
	v_sub_f32_e32 v5, v5, v12
	s_load_b128 s[4:7], s[0:1], 0x30
	v_add_f32_e32 v4, v4, v6
	v_cvt_i32_f32_e32 v6, v12
	s_delay_alu instid0(VALU_DEP_3) | instskip(SKIP_1) | instid1(VALU_DEP_4)
	v_add_f32_e32 v2, v5, v2
	v_cvt_i32_f32_e32 v5, v10
	v_exp_f32_e32 v4, v4
	s_delay_alu instid0(VALU_DEP_2)
	v_exp_f32_e32 v2, v2
	s_waitcnt_depctr 0xfff
	v_ldexp_f32 v4, v4, v5
	v_ldexp_f32 v2, v2, v6
	s_waitcnt lgkmcnt(0)
	s_cmp_gt_i32 s4, 0
	s_delay_alu instid0(VALU_DEP_2) | instskip(SKIP_3) | instid1(VALU_DEP_4)
	v_cndmask_b32_e32 v4, 0, v4, vcc_lo
	v_cmp_ngt_f32_e32 vcc_lo, 0xc2ce8ed0, v0
	v_cndmask_b32_e32 v2, 0, v2, vcc_lo
	v_cmp_nlt_f32_e32 vcc_lo, 0x42b17218, v3
	v_cndmask_b32_e32 v3, 0x7f800000, v4, vcc_lo
	v_cmp_nlt_f32_e32 vcc_lo, 0x42b17218, v0
	s_delay_alu instid0(VALU_DEP_2) | instskip(SKIP_1) | instid1(VALU_DEP_2)
	v_add_f32_e32 v4, 1.0, v3
	v_cndmask_b32_e32 v0, 0x7f800000, v2, vcc_lo
	v_div_scale_f32 v6, null, v4, v4, 1.0
	s_delay_alu instid0(VALU_DEP_2) | instskip(SKIP_1) | instid1(VALU_DEP_3)
	v_add_f32_e32 v5, 1.0, v0
	v_div_scale_f32 v13, vcc_lo, 1.0, v4, 1.0
	v_rcp_f32_e32 v11, v6
	s_delay_alu instid0(VALU_DEP_2) | instskip(SKIP_1) | instid1(VALU_DEP_2)
	v_div_scale_f32 v10, null, v5, v5, 1.0
	v_div_scale_f32 v14, s2, 1.0, v5, 1.0
	v_rcp_f32_e32 v12, v10
	s_waitcnt_depctr 0xfff
	v_fma_f32 v0, -v6, v11, 1.0
	s_delay_alu instid0(VALU_DEP_1) | instskip(SKIP_2) | instid1(VALU_DEP_1)
	v_fmac_f32_e32 v11, v0, v11
	v_mul_lo_u32 v0, v9, s7
	v_fma_f32 v2, -v10, v12, 1.0
	v_dual_mul_f32 v15, v13, v11 :: v_dual_fmac_f32 v12, v2, v12
	s_delay_alu instid0(VALU_DEP_3) | instskip(NEXT) | instid1(VALU_DEP_2)
	v_add_nc_u32_e32 v2, s4, v0
	v_fma_f32 v3, -v6, v15, v13
	s_delay_alu instid0(VALU_DEP_1) | instskip(NEXT) | instid1(VALU_DEP_3)
	v_dual_mul_f32 v16, v14, v12 :: v_dual_fmac_f32 v15, v3, v11
	v_ashrrev_i32_e32 v3, 31, v2
	s_delay_alu instid0(VALU_DEP_2) | instskip(NEXT) | instid1(VALU_DEP_3)
	v_fma_f32 v17, -v10, v16, v14
	v_fma_f32 v6, -v6, v15, v13
	s_delay_alu instid0(VALU_DEP_3) | instskip(NEXT) | instid1(VALU_DEP_3)
	v_lshlrev_b64 v[2:3], 2, v[2:3]
	v_fmac_f32_e32 v16, v17, v12
	s_delay_alu instid0(VALU_DEP_3) | instskip(SKIP_1) | instid1(VALU_DEP_2)
	v_div_fmas_f32 v6, v6, v11, v15
	s_mov_b32 vcc_lo, s2
	v_fma_f32 v10, -v10, v16, v14
	v_mov_b32_e32 v11, 0
	s_cselect_b32 s2, -1, 0
	v_div_fixup_f32 v4, v6, v4, 1.0
	s_cmp_lt_i32 s4, 1
	v_div_fmas_f32 v10, v10, v12, v16
	v_add_co_u32 v2, vcc_lo, s12, v2
	v_add_co_ci_u32_e32 v3, vcc_lo, s13, v3, vcc_lo
	s_delay_alu instid0(VALU_DEP_3)
	v_div_fixup_f32 v5, v10, v5, 1.0
	global_store_b64 v[2:3], v[4:5], off
	s_cbranch_scc1 .LBB120_8
; %bb.5:
	v_lshrrev_b32_e32 v2, 16, v1
	v_cvt_f32_f16_e32 v13, v1
	v_mul_lo_u32 v15, v9, s4
	s_delay_alu instid0(VALU_DEP_3) | instskip(SKIP_3) | instid1(VALU_DEP_4)
	v_cvt_f32_f16_e32 v12, v2
	v_cmp_lt_f16_e32 vcc_lo, v1, v2
	v_mul_lo_u32 v2, v9, s8
	s_load_b128 s[8:11], s[0:1], 0x20
	v_ashrrev_i32_e32 v16, 31, v15
	v_cndmask_b32_e32 v10, v13, v12, vcc_lo
	s_delay_alu instid0(VALU_DEP_1) | instskip(NEXT) | instid1(VALU_DEP_1)
	v_sub_f32_e32 v11, v10, v10
	v_mul_f32_e32 v1, 0x3fb8aa3b, v11
	s_delay_alu instid0(VALU_DEP_1) | instskip(SKIP_1) | instid1(VALU_DEP_2)
	v_fma_f32 v3, 0x3fb8aa3b, v11, -v1
	v_rndne_f32_e32 v4, v1
	v_fmac_f32_e32 v3, 0x32a5705f, v11
	s_delay_alu instid0(VALU_DEP_2) | instskip(SKIP_2) | instid1(VALU_DEP_3)
	v_sub_f32_e32 v5, v1, v4
	v_ashrrev_i32_e32 v1, 31, v0
	v_cvt_i32_f32_e32 v4, v4
	v_add_f32_e32 v14, v5, v3
	s_delay_alu instid0(VALU_DEP_3) | instskip(SKIP_1) | instid1(VALU_DEP_3)
	v_lshlrev_b64 v[5:6], 2, v[0:1]
	v_ashrrev_i32_e32 v3, 31, v2
	v_exp_f32_e32 v17, v14
	v_cndmask_b32_e64 v14, 0, 1, vcc_lo
	s_delay_alu instid0(VALU_DEP_3) | instskip(NEXT) | instid1(VALU_DEP_1)
	v_add_co_u32 v5, s0, s12, v5
	v_add_co_ci_u32_e64 v6, s0, s13, v6, s0
	s_delay_alu instid0(VALU_DEP_3) | instskip(SKIP_3) | instid1(TRANS32_DEP_1)
	v_cmp_le_i32_e64 s0, s5, v14
	v_cmp_gt_i32_e64 s1, s6, v14
	v_lshlrev_b64 v[1:2], 2, v[2:3]
	v_subrev_nc_u32_e32 v18, s5, v14
	v_ldexp_f32 v17, v17, v4
	v_lshlrev_b64 v[3:4], 2, v[15:16]
	s_and_b32 s1, s0, s1
	v_cmp_ngt_f32_e64 s0, 0xc2ce8ed0, v11
	s_delay_alu instid0(VALU_DEP_1) | instskip(SKIP_2) | instid1(VALU_DEP_1)
	v_cndmask_b32_e64 v17, 0, v17, s0
	s_waitcnt lgkmcnt(0)
	v_add_co_u32 v15, s0, s8, v1
	v_add_co_ci_u32_e64 v16, s0, s9, v2, s0
	s_and_b32 s0, s14, s1
	s_cmp_eq_u32 s4, 1
	v_cndmask_b32_e64 v19, 2, v18, s0
	v_cmp_nlt_f32_e64 s0, 0x42b17218, v11
	s_delay_alu instid0(VALU_DEP_1) | instskip(SKIP_1) | instid1(VALU_DEP_1)
	v_cndmask_b32_e64 v11, 0x7f800000, v17, s0
	v_add_co_u32 v17, s0, s10, v3
	v_add_co_ci_u32_e64 v18, s0, s11, v4, s0
	global_store_b32 v[15:16], v19, off
	global_store_b32 v[5:6], v11, off
	;; [unrolled: 1-line block ×3, first 2 shown]
	s_cbranch_scc1 .LBB120_8
; %bb.6:
	v_cndmask_b32_e32 v9, 0xff800000, v13, vcc_lo
	v_cmp_ne_u32_e32 vcc_lo, 1, v14
	s_add_i32 s15, s15, s3
	s_add_i32 s1, s4, -1
	v_add3_u32 v7, s15, v8, v7
	v_cndmask_b32_e32 v12, 0xff800000, v12, vcc_lo
	v_add_co_u32 v3, vcc_lo, v3, s10
	v_add_co_ci_u32_e32 v4, vcc_lo, s11, v4, vcc_lo
	v_add_co_u32 v13, vcc_lo, v1, s8
	v_add_co_ci_u32_e32 v14, vcc_lo, s9, v2, vcc_lo
	s_delay_alu instid0(VALU_DEP_4) | instskip(NEXT) | instid1(VALU_DEP_4)
	v_add_co_u32 v1, vcc_lo, v3, 4
	v_add_co_ci_u32_e32 v2, vcc_lo, 0, v4, vcc_lo
	s_delay_alu instid0(VALU_DEP_4) | instskip(NEXT) | instid1(VALU_DEP_4)
	v_add_co_u32 v3, vcc_lo, v13, 4
	v_add_co_ci_u32_e32 v4, vcc_lo, 0, v14, vcc_lo
	v_add_co_u32 v5, vcc_lo, v5, 4
	v_add_co_ci_u32_e32 v6, vcc_lo, 0, v6, vcc_lo
.LBB120_7:                              ; =>This Inner Loop Header: Depth=1
	v_cmp_gt_f32_e32 vcc_lo, v12, v9
	s_add_i32 s1, s1, -1
	v_cndmask_b32_e64 v13, 0, 1, vcc_lo
	v_cndmask_b32_e32 v8, v9, v12, vcc_lo
	v_cndmask_b32_e64 v12, v12, 0xff800000, vcc_lo
	v_cndmask_b32_e32 v9, 0xff800000, v9, vcc_lo
	s_delay_alu instid0(VALU_DEP_4) | instskip(SKIP_2) | instid1(VALU_DEP_2)
	v_cmp_le_i32_e32 vcc_lo, s5, v13
	v_cmp_gt_i32_e64 s0, s6, v13
	v_subrev_nc_u32_e32 v13, s5, v13
	s_and_b32 s0, vcc_lo, s0
	s_delay_alu instid0(SALU_CYCLE_1) | instskip(SKIP_1) | instid1(VALU_DEP_1)
	s_and_b32 vcc_lo, s14, s0
	s_cmp_eq_u32 s1, 0
	v_dual_cndmask_b32 v13, 2, v13 :: v_dual_sub_f32 v8, v8, v10
	global_store_b32 v[3:4], v13, off
	global_store_b32 v[1:2], v7, off
	v_dual_mul_f32 v14, 0x3fb8aa3b, v8 :: v_dual_add_nc_u32 v7, s3, v7
	v_add_co_u32 v1, vcc_lo, v1, 4
	v_add_co_ci_u32_e32 v2, vcc_lo, 0, v2, vcc_lo
	s_delay_alu instid0(VALU_DEP_3) | instskip(SKIP_3) | instid1(VALU_DEP_4)
	v_fma_f32 v15, 0x3fb8aa3b, v8, -v14
	v_rndne_f32_e32 v16, v14
	v_add_co_u32 v3, vcc_lo, v3, 4
	v_add_co_ci_u32_e32 v4, vcc_lo, 0, v4, vcc_lo
	v_fmac_f32_e32 v15, 0x32a5705f, v8
	s_delay_alu instid0(VALU_DEP_4) | instskip(SKIP_1) | instid1(VALU_DEP_2)
	v_sub_f32_e32 v14, v14, v16
	v_cvt_i32_f32_e32 v16, v16
	v_add_f32_e32 v13, v14, v15
	v_cmp_ngt_f32_e32 vcc_lo, 0xc2ce8ed0, v8
	s_delay_alu instid0(VALU_DEP_2) | instskip(SKIP_2) | instid1(VALU_DEP_1)
	v_exp_f32_e32 v13, v13
	s_waitcnt_depctr 0xfff
	v_ldexp_f32 v13, v13, v16
	v_cndmask_b32_e32 v13, 0, v13, vcc_lo
	v_cmp_nlt_f32_e32 vcc_lo, 0x42b17218, v8
	s_delay_alu instid0(VALU_DEP_2)
	v_cndmask_b32_e32 v8, 0x7f800000, v13, vcc_lo
	global_store_b32 v[5:6], v8, off
	v_add_co_u32 v5, vcc_lo, v5, 4
	v_add_f32_e32 v11, v11, v8
	v_add_co_ci_u32_e32 v6, vcc_lo, 0, v6, vcc_lo
	s_cbranch_scc0 .LBB120_7
.LBB120_8:
	s_delay_alu instid0(VALU_DEP_2)
	v_cmp_neq_f32_e32 vcc_lo, 0, v11
	s_and_b32 exec_lo, exec_lo, vcc_lo
	s_cbranch_execz .LBB120_12
; %bb.9:
	s_and_not1_b32 vcc_lo, exec_lo, s2
	s_cbranch_vccnz .LBB120_12
; %bb.10:
	v_div_scale_f32 v1, null, v11, v11, 1.0
	v_div_scale_f32 v4, vcc_lo, 1.0, v11, 1.0
	s_delay_alu instid0(VALU_DEP_2) | instskip(SKIP_2) | instid1(VALU_DEP_1)
	v_rcp_f32_e32 v2, v1
	s_waitcnt_depctr 0xfff
	v_fma_f32 v3, -v1, v2, 1.0
	v_fmac_f32_e32 v2, v3, v2
	s_delay_alu instid0(VALU_DEP_1) | instskip(NEXT) | instid1(VALU_DEP_1)
	v_mul_f32_e32 v3, v4, v2
	v_fma_f32 v5, -v1, v3, v4
	s_delay_alu instid0(VALU_DEP_1) | instskip(NEXT) | instid1(VALU_DEP_1)
	v_fmac_f32_e32 v3, v5, v2
	v_fma_f32 v4, -v1, v3, v4
	v_ashrrev_i32_e32 v1, 31, v0
	s_delay_alu instid0(VALU_DEP_2) | instskip(NEXT) | instid1(VALU_DEP_2)
	v_div_fmas_f32 v2, v4, v2, v3
	v_lshlrev_b64 v[0:1], 2, v[0:1]
	s_delay_alu instid0(VALU_DEP_2) | instskip(NEXT) | instid1(VALU_DEP_2)
	v_div_fixup_f32 v2, v2, v11, 1.0
	v_add_co_u32 v0, vcc_lo, s12, v0
	s_delay_alu instid0(VALU_DEP_3)
	v_add_co_ci_u32_e32 v1, vcc_lo, s13, v1, vcc_lo
.LBB120_11:                             ; =>This Inner Loop Header: Depth=1
	global_load_b32 v3, v[0:1], off
	s_add_i32 s4, s4, -1
	s_delay_alu instid0(SALU_CYCLE_1)
	s_cmp_lg_u32 s4, 0
	s_waitcnt vmcnt(0)
	v_mul_f32_e32 v3, v2, v3
	global_store_b32 v[0:1], v3, off
	v_add_co_u32 v0, vcc_lo, v0, 4
	v_add_co_ci_u32_e32 v1, vcc_lo, 0, v1, vcc_lo
	s_cbranch_scc1 .LBB120_11
.LBB120_12:
	s_nop 0
	s_sendmsg sendmsg(MSG_DEALLOC_VGPRS)
	s_endpgm
	.section	.rodata,"a",@progbits
	.p2align	6, 0x0
	.amdhsa_kernel _ZN4vllm3moe17topkGatingSoftmaxIDF16_Li2ELi2ELi8ELi4ELb1ELi2ELNS0_23SharedExpertScoringFuncE1EEEvPKT_PKbPfiPiS9_iiiiii
		.amdhsa_group_segment_fixed_size 0
		.amdhsa_private_segment_fixed_size 0
		.amdhsa_kernarg_size 72
		.amdhsa_user_sgpr_count 15
		.amdhsa_user_sgpr_dispatch_ptr 0
		.amdhsa_user_sgpr_queue_ptr 0
		.amdhsa_user_sgpr_kernarg_segment_ptr 1
		.amdhsa_user_sgpr_dispatch_id 0
		.amdhsa_user_sgpr_private_segment_size 0
		.amdhsa_wavefront_size32 1
		.amdhsa_uses_dynamic_stack 0
		.amdhsa_enable_private_segment 0
		.amdhsa_system_sgpr_workgroup_id_x 1
		.amdhsa_system_sgpr_workgroup_id_y 0
		.amdhsa_system_sgpr_workgroup_id_z 0
		.amdhsa_system_sgpr_workgroup_info 0
		.amdhsa_system_vgpr_workitem_id 1
		.amdhsa_next_free_vgpr 20
		.amdhsa_next_free_sgpr 16
		.amdhsa_reserve_vcc 1
		.amdhsa_float_round_mode_32 0
		.amdhsa_float_round_mode_16_64 0
		.amdhsa_float_denorm_mode_32 3
		.amdhsa_float_denorm_mode_16_64 3
		.amdhsa_dx10_clamp 1
		.amdhsa_ieee_mode 1
		.amdhsa_fp16_overflow 0
		.amdhsa_workgroup_processor_mode 1
		.amdhsa_memory_ordered 1
		.amdhsa_forward_progress 0
		.amdhsa_shared_vgpr_count 0
		.amdhsa_exception_fp_ieee_invalid_op 0
		.amdhsa_exception_fp_denorm_src 0
		.amdhsa_exception_fp_ieee_div_zero 0
		.amdhsa_exception_fp_ieee_overflow 0
		.amdhsa_exception_fp_ieee_underflow 0
		.amdhsa_exception_fp_ieee_inexact 0
		.amdhsa_exception_int_div_zero 0
	.end_amdhsa_kernel
	.section	.text._ZN4vllm3moe17topkGatingSoftmaxIDF16_Li2ELi2ELi8ELi4ELb1ELi2ELNS0_23SharedExpertScoringFuncE1EEEvPKT_PKbPfiPiS9_iiiiii,"axG",@progbits,_ZN4vllm3moe17topkGatingSoftmaxIDF16_Li2ELi2ELi8ELi4ELb1ELi2ELNS0_23SharedExpertScoringFuncE1EEEvPKT_PKbPfiPiS9_iiiiii,comdat
.Lfunc_end120:
	.size	_ZN4vllm3moe17topkGatingSoftmaxIDF16_Li2ELi2ELi8ELi4ELb1ELi2ELNS0_23SharedExpertScoringFuncE1EEEvPKT_PKbPfiPiS9_iiiiii, .Lfunc_end120-_ZN4vllm3moe17topkGatingSoftmaxIDF16_Li2ELi2ELi8ELi4ELb1ELi2ELNS0_23SharedExpertScoringFuncE1EEEvPKT_PKbPfiPiS9_iiiiii
                                        ; -- End function
	.section	.AMDGPU.csdata,"",@progbits
; Kernel info:
; codeLenInByte = 1656
; NumSgprs: 18
; NumVgprs: 20
; ScratchSize: 0
; MemoryBound: 0
; FloatMode: 240
; IeeeMode: 1
; LDSByteSize: 0 bytes/workgroup (compile time only)
; SGPRBlocks: 2
; VGPRBlocks: 2
; NumSGPRsForWavesPerEU: 18
; NumVGPRsForWavesPerEU: 20
; Occupancy: 16
; WaveLimiterHint : 0
; COMPUTE_PGM_RSRC2:SCRATCH_EN: 0
; COMPUTE_PGM_RSRC2:USER_SGPR: 15
; COMPUTE_PGM_RSRC2:TRAP_HANDLER: 0
; COMPUTE_PGM_RSRC2:TGID_X_EN: 1
; COMPUTE_PGM_RSRC2:TGID_Y_EN: 0
; COMPUTE_PGM_RSRC2:TGID_Z_EN: 0
; COMPUTE_PGM_RSRC2:TIDIG_COMP_CNT: 1
	.section	.text._ZN4vllm3moe17topkGatingSoftmaxIDF16_Li2ELi2ELi8ELi4ELb0ELi2ELNS0_23SharedExpertScoringFuncE1EEEvPKT_PKbPfiPiS9_iiiiii,"axG",@progbits,_ZN4vllm3moe17topkGatingSoftmaxIDF16_Li2ELi2ELi8ELi4ELb0ELi2ELNS0_23SharedExpertScoringFuncE1EEEvPKT_PKbPfiPiS9_iiiiii,comdat
	.protected	_ZN4vllm3moe17topkGatingSoftmaxIDF16_Li2ELi2ELi8ELi4ELb0ELi2ELNS0_23SharedExpertScoringFuncE1EEEvPKT_PKbPfiPiS9_iiiiii ; -- Begin function _ZN4vllm3moe17topkGatingSoftmaxIDF16_Li2ELi2ELi8ELi4ELb0ELi2ELNS0_23SharedExpertScoringFuncE1EEEvPKT_PKbPfiPiS9_iiiiii
	.globl	_ZN4vllm3moe17topkGatingSoftmaxIDF16_Li2ELi2ELi8ELi4ELb0ELi2ELNS0_23SharedExpertScoringFuncE1EEEvPKT_PKbPfiPiS9_iiiiii
	.p2align	8
	.type	_ZN4vllm3moe17topkGatingSoftmaxIDF16_Li2ELi2ELi8ELi4ELb0ELi2ELNS0_23SharedExpertScoringFuncE1EEEvPKT_PKbPfiPiS9_iiiiii,@function
_ZN4vllm3moe17topkGatingSoftmaxIDF16_Li2ELi2ELi8ELi4ELb0ELi2ELNS0_23SharedExpertScoringFuncE1EEEvPKT_PKbPfiPiS9_iiiiii: ; @_ZN4vllm3moe17topkGatingSoftmaxIDF16_Li2ELi2ELi8ELi4ELb0ELi2ELNS0_23SharedExpertScoringFuncE1EEEvPKT_PKbPfiPiS9_iiiiii
; %bb.0:
	s_load_b32 s3, s[0:1], 0x18
	v_bfe_u32 v1, v0, 10, 10
	v_and_b32_e32 v8, 0x3ff, v0
	s_lshl_b32 s17, s15, 8
	s_mov_b32 s2, exec_lo
	s_delay_alu instid0(VALU_DEP_2) | instskip(NEXT) | instid1(VALU_DEP_1)
	v_lshlrev_b32_e32 v7, 5, v1
	v_add3_u32 v12, v7, v8, s17
	s_waitcnt lgkmcnt(0)
	s_delay_alu instid0(VALU_DEP_1)
	v_cmpx_gt_i32_e64 s3, v12
	s_cbranch_execz .LBB121_12
; %bb.1:
	s_clause 0x1
	s_load_b128 s[4:7], s[0:1], 0x0
	s_load_b64 s[12:13], s[0:1], 0x10
	s_waitcnt lgkmcnt(0)
	s_cmp_eq_u64 s[6:7], 0
	s_cbranch_scc1 .LBB121_3
; %bb.2:
	v_ashrrev_i32_e32 v1, 31, v12
	v_add_co_u32 v0, vcc_lo, s6, v12
	s_delay_alu instid0(VALU_DEP_2) | instskip(SKIP_3) | instid1(VALU_DEP_1)
	v_add_co_ci_u32_e32 v1, vcc_lo, s7, v1, vcc_lo
	global_load_u8 v0, v[0:1], off
	s_waitcnt vmcnt(0)
	v_and_b32_e32 v0, 1, v0
	v_cmp_eq_u32_e32 vcc_lo, 1, v0
	s_xor_b32 s2, vcc_lo, -1
	s_delay_alu instid0(SALU_CYCLE_1)
	s_or_not1_b32 s16, s2, exec_lo
	s_branch .LBB121_4
.LBB121_3:
	s_mov_b32 s16, -1
.LBB121_4:
	s_load_b64 s[14:15], s[0:1], 0x40
	s_mov_b32 s2, 0x3fb8aa3b
	s_waitcnt lgkmcnt(0)
	v_mul_lo_u32 v0, v12, s15
	s_delay_alu instid0(VALU_DEP_1) | instskip(NEXT) | instid1(VALU_DEP_1)
	v_ashrrev_i32_e32 v1, 31, v0
	v_lshlrev_b64 v[0:1], 1, v[0:1]
	s_delay_alu instid0(VALU_DEP_1) | instskip(NEXT) | instid1(VALU_DEP_2)
	v_add_co_u32 v0, vcc_lo, s4, v0
	v_add_co_ci_u32_e32 v1, vcc_lo, s5, v1, vcc_lo
	s_mov_b32 s4, 0x32a5705f
	global_load_b64 v[1:2], v[0:1], off
	s_waitcnt vmcnt(0)
	v_lshrrev_b32_e32 v0, 16, v2
	v_cvt_f32_f16_e64 v3, -v2
	v_lshrrev_b32_e32 v19, 16, v1
	s_delay_alu instid0(VALU_DEP_3) | instskip(NEXT) | instid1(VALU_DEP_3)
	v_cvt_f32_f16_e64 v0, -v0
	v_mul_f32_e32 v4, 0x3fb8aa3b, v3
	v_cmp_ngt_f32_e32 vcc_lo, 0xc2ce8ed0, v3
	s_delay_alu instid0(VALU_DEP_3) | instskip(NEXT) | instid1(VALU_DEP_3)
	v_mul_f32_e32 v5, 0x3fb8aa3b, v0
	v_fma_mix_f32 v6, -v2, s2, -v4 op_sel_hi:[1,0,0]
	v_rndne_f32_e32 v9, v4
	s_delay_alu instid0(VALU_DEP_3) | instskip(SKIP_1) | instid1(VALU_DEP_4)
	v_fma_mix_f32 v10, -v2, s2, -v5 op_sel:[1,0,0] op_sel_hi:[1,0,0]
	v_rndne_f32_e32 v11, v5
	v_fma_mix_f32 v6, -v2, s4, v6 op_sel_hi:[1,0,0]
	s_delay_alu instid0(VALU_DEP_4) | instskip(NEXT) | instid1(VALU_DEP_4)
	v_sub_f32_e32 v4, v4, v9
	v_fma_mix_f32 v2, -v2, s4, v10 op_sel:[1,0,0] op_sel_hi:[1,0,0]
	s_delay_alu instid0(VALU_DEP_4) | instskip(SKIP_1) | instid1(VALU_DEP_3)
	v_sub_f32_e32 v5, v5, v11
	s_load_b128 s[4:7], s[0:1], 0x30
	v_add_f32_e32 v4, v4, v6
	v_cvt_i32_f32_e32 v6, v11
	s_delay_alu instid0(VALU_DEP_3) | instskip(SKIP_1) | instid1(VALU_DEP_4)
	v_add_f32_e32 v2, v5, v2
	v_cvt_i32_f32_e32 v5, v9
	v_exp_f32_e32 v4, v4
	s_delay_alu instid0(VALU_DEP_2)
	v_exp_f32_e32 v2, v2
	s_waitcnt_depctr 0xfff
	v_ldexp_f32 v4, v4, v5
	v_ldexp_f32 v2, v2, v6
	s_waitcnt lgkmcnt(0)
	s_cmp_gt_i32 s4, 0
	s_delay_alu instid0(VALU_DEP_2) | instskip(SKIP_3) | instid1(VALU_DEP_4)
	v_cndmask_b32_e32 v4, 0, v4, vcc_lo
	v_cmp_ngt_f32_e32 vcc_lo, 0xc2ce8ed0, v0
	v_cndmask_b32_e32 v2, 0, v2, vcc_lo
	v_cmp_nlt_f32_e32 vcc_lo, 0x42b17218, v3
	v_cndmask_b32_e32 v3, 0x7f800000, v4, vcc_lo
	v_cmp_nlt_f32_e32 vcc_lo, 0x42b17218, v0
	s_delay_alu instid0(VALU_DEP_4) | instskip(NEXT) | instid1(VALU_DEP_1)
	v_cndmask_b32_e32 v0, 0x7f800000, v2, vcc_lo
	v_add_f32_e32 v5, 1.0, v0
	v_mul_lo_u32 v0, v12, s7
	s_delay_alu instid0(VALU_DEP_2) | instskip(SKIP_2) | instid1(VALU_DEP_3)
	v_div_scale_f32 v10, null, v5, v5, 1.0
	v_div_scale_f32 v15, s2, 1.0, v5, 1.0
	v_add_f32_e32 v4, 1.0, v3
	v_rcp_f32_e32 v14, v10
	s_waitcnt_depctr 0xfff
	v_fma_f32 v3, -v10, v14, 1.0
	s_delay_alu instid0(VALU_DEP_1) | instskip(NEXT) | instid1(VALU_DEP_1)
	v_fmac_f32_e32 v14, v3, v14
	v_mul_f32_e32 v17, v15, v14
	v_div_scale_f32 v6, null, v4, v4, 1.0
	v_div_scale_f32 v9, vcc_lo, 1.0, v4, 1.0
	s_delay_alu instid0(VALU_DEP_3) | instskip(NEXT) | instid1(VALU_DEP_3)
	v_fma_f32 v18, -v10, v17, v15
	v_rcp_f32_e32 v13, v6
	s_delay_alu instid0(VALU_DEP_1) | instskip(NEXT) | instid1(VALU_DEP_1)
	v_fmac_f32_e32 v17, v18, v14
	v_fma_f32 v10, -v10, v17, v15
	s_waitcnt_depctr 0xfff
	v_fma_f32 v2, -v6, v13, 1.0
	s_delay_alu instid0(VALU_DEP_1) | instskip(NEXT) | instid1(VALU_DEP_1)
	v_dual_fmac_f32 v13, v2, v13 :: v_dual_add_nc_u32 v2, s4, v0
	v_mul_f32_e32 v16, v9, v13
	s_delay_alu instid0(VALU_DEP_2) | instskip(NEXT) | instid1(VALU_DEP_2)
	v_ashrrev_i32_e32 v3, 31, v2
	v_fma_f32 v11, -v6, v16, v9
	s_delay_alu instid0(VALU_DEP_2) | instskip(NEXT) | instid1(VALU_DEP_2)
	v_lshlrev_b64 v[2:3], 2, v[2:3]
	v_fmac_f32_e32 v16, v11, v13
	v_cvt_f32_f16_e32 v11, v1
	s_delay_alu instid0(VALU_DEP_2) | instskip(SKIP_1) | instid1(VALU_DEP_2)
	v_fma_f32 v6, -v6, v16, v9
	v_cvt_f32_f16_e32 v9, v19
	v_div_fmas_f32 v6, v6, v13, v16
	s_mov_b32 vcc_lo, s2
	s_cselect_b32 s2, -1, 0
	v_div_fmas_f32 v13, v10, v14, v17
	v_add_co_u32 v2, vcc_lo, s12, v2
	v_add_co_ci_u32_e32 v3, vcc_lo, s13, v3, vcc_lo
	v_cmp_lt_f16_e32 vcc_lo, v1, v19
	v_div_fixup_f32 v4, v6, v4, 1.0
	v_div_fixup_f32 v5, v13, v5, 1.0
	v_mov_b32_e32 v13, 0
	s_cmp_lt_i32 s4, 1
	v_cndmask_b32_e32 v10, v11, v9, vcc_lo
	global_store_b64 v[2:3], v[4:5], off
	s_cbranch_scc1 .LBB121_8
; %bb.5:
	v_ashrrev_i32_e32 v1, 31, v0
	v_cndmask_b32_e64 v19, 0, 1, vcc_lo
	s_load_b128 s[8:11], s[0:1], 0x20
	v_dual_cndmask_b32 v11, 0xff800000, v11 :: v_dual_sub_f32 v18, v10, v10
	s_delay_alu instid0(VALU_DEP_3) | instskip(NEXT) | instid1(VALU_DEP_3)
	v_lshlrev_b64 v[5:6], 2, v[0:1]
	v_cmp_le_i32_e32 vcc_lo, s5, v19
	v_cmp_gt_i32_e64 s0, s6, v19
	v_subrev_nc_u32_e32 v15, s5, v19
	v_mul_lo_u32 v2, v12, s14
	v_mul_lo_u32 v13, v12, s4
	s_delay_alu instid0(VALU_DEP_4)
	s_and_b32 s0, vcc_lo, s0
	v_add_co_u32 v5, vcc_lo, s12, v5
	v_add_co_ci_u32_e32 v6, vcc_lo, s13, v6, vcc_lo
	s_and_b32 vcc_lo, s16, s0
	v_dual_mul_f32 v3, 0x3fb8aa3b, v18 :: v_dual_cndmask_b32 v20, 2, v15
	s_cmp_eq_u32 s4, 1
	s_delay_alu instid0(VALU_DEP_1) | instskip(SKIP_1) | instid1(VALU_DEP_1)
	v_rndne_f32_e32 v4, v3
	v_fma_f32 v14, 0x3fb8aa3b, v18, -v3
	v_dual_sub_f32 v3, v3, v4 :: v_dual_fmac_f32 v14, 0x32a5705f, v18
	v_cvt_i32_f32_e32 v17, v4
	s_delay_alu instid0(VALU_DEP_2) | instskip(SKIP_2) | instid1(VALU_DEP_3)
	v_add_f32_e32 v1, v3, v14
	v_ashrrev_i32_e32 v3, 31, v2
	v_ashrrev_i32_e32 v14, 31, v13
	v_exp_f32_e32 v16, v1
	s_delay_alu instid0(VALU_DEP_2) | instskip(NEXT) | instid1(VALU_DEP_2)
	v_lshlrev_b64 v[1:2], 2, v[2:3]
	v_lshlrev_b64 v[3:4], 2, v[13:14]
	s_waitcnt lgkmcnt(0)
	s_delay_alu instid0(VALU_DEP_2) | instskip(NEXT) | instid1(VALU_DEP_3)
	v_add_co_u32 v14, vcc_lo, s8, v1
	v_add_co_ci_u32_e32 v15, vcc_lo, s9, v2, vcc_lo
	s_waitcnt_depctr 0xfff
	v_ldexp_f32 v13, v16, v17
	v_cmp_ngt_f32_e32 vcc_lo, 0xc2ce8ed0, v18
	s_delay_alu instid0(VALU_DEP_2) | instskip(SKIP_3) | instid1(VALU_DEP_4)
	v_cndmask_b32_e32 v13, 0, v13, vcc_lo
	v_add_co_u32 v16, vcc_lo, s10, v3
	v_add_co_ci_u32_e32 v17, vcc_lo, s11, v4, vcc_lo
	v_cmp_nlt_f32_e32 vcc_lo, 0x42b17218, v18
	v_cndmask_b32_e32 v13, 0x7f800000, v13, vcc_lo
	v_cmp_ne_u32_e32 vcc_lo, 1, v19
	global_store_b32 v[14:15], v20, off
	global_store_b32 v[5:6], v13, off
	;; [unrolled: 1-line block ×3, first 2 shown]
	v_cndmask_b32_e32 v9, 0xff800000, v9, vcc_lo
	s_cbranch_scc1 .LBB121_8
; %bb.6:
	v_add_co_u32 v3, vcc_lo, v3, s10
	v_add_co_ci_u32_e32 v4, vcc_lo, s11, v4, vcc_lo
	v_add_co_u32 v12, vcc_lo, v1, s8
	v_add_co_ci_u32_e32 v14, vcc_lo, s9, v2, vcc_lo
	s_delay_alu instid0(VALU_DEP_4) | instskip(NEXT) | instid1(VALU_DEP_4)
	v_add_co_u32 v1, vcc_lo, v3, 4
	v_add_co_ci_u32_e32 v2, vcc_lo, 0, v4, vcc_lo
	s_delay_alu instid0(VALU_DEP_4) | instskip(NEXT) | instid1(VALU_DEP_4)
	v_add_co_u32 v3, vcc_lo, v12, 4
	v_add_co_ci_u32_e32 v4, vcc_lo, 0, v14, vcc_lo
	s_add_i32 s17, s17, s3
	v_add_co_u32 v5, vcc_lo, v5, 4
	v_add_co_ci_u32_e32 v6, vcc_lo, 0, v6, vcc_lo
	v_add3_u32 v7, s17, v8, v7
	s_add_i32 s1, s4, -1
.LBB121_7:                              ; =>This Inner Loop Header: Depth=1
	v_cmp_gt_f32_e32 vcc_lo, v9, v11
	s_add_i32 s1, s1, -1
	v_cndmask_b32_e64 v12, 0, 1, vcc_lo
	v_cndmask_b32_e32 v8, v11, v9, vcc_lo
	v_cndmask_b32_e64 v9, v9, 0xff800000, vcc_lo
	v_cndmask_b32_e32 v11, 0xff800000, v11, vcc_lo
	s_delay_alu instid0(VALU_DEP_4) | instskip(SKIP_2) | instid1(VALU_DEP_2)
	v_cmp_le_i32_e32 vcc_lo, s5, v12
	v_cmp_gt_i32_e64 s0, s6, v12
	v_subrev_nc_u32_e32 v12, s5, v12
	s_and_b32 s0, vcc_lo, s0
	s_delay_alu instid0(SALU_CYCLE_1) | instskip(SKIP_1) | instid1(VALU_DEP_1)
	s_and_b32 vcc_lo, s16, s0
	s_cmp_eq_u32 s1, 0
	v_cndmask_b32_e32 v12, 2, v12, vcc_lo
	global_store_b32 v[3:4], v12, off
	global_store_b32 v[1:2], v7, off
	v_dual_sub_f32 v8, v8, v10 :: v_dual_add_nc_u32 v7, s3, v7
	v_add_co_u32 v1, vcc_lo, v1, 4
	v_add_co_ci_u32_e32 v2, vcc_lo, 0, v2, vcc_lo
	s_delay_alu instid0(VALU_DEP_3) | instskip(SKIP_2) | instid1(VALU_DEP_3)
	v_mul_f32_e32 v14, 0x3fb8aa3b, v8
	v_add_co_u32 v3, vcc_lo, v3, 4
	v_add_co_ci_u32_e32 v4, vcc_lo, 0, v4, vcc_lo
	v_fma_f32 v15, 0x3fb8aa3b, v8, -v14
	v_rndne_f32_e32 v16, v14
	v_cmp_ngt_f32_e32 vcc_lo, 0xc2ce8ed0, v8
	s_delay_alu instid0(VALU_DEP_3) | instskip(NEXT) | instid1(VALU_DEP_3)
	v_fmac_f32_e32 v15, 0x32a5705f, v8
	v_sub_f32_e32 v14, v14, v16
	v_cvt_i32_f32_e32 v16, v16
	s_delay_alu instid0(VALU_DEP_2) | instskip(NEXT) | instid1(VALU_DEP_1)
	v_add_f32_e32 v12, v14, v15
	v_exp_f32_e32 v12, v12
	s_waitcnt_depctr 0xfff
	v_ldexp_f32 v12, v12, v16
	s_delay_alu instid0(VALU_DEP_1) | instskip(SKIP_1) | instid1(VALU_DEP_2)
	v_cndmask_b32_e32 v12, 0, v12, vcc_lo
	v_cmp_nlt_f32_e32 vcc_lo, 0x42b17218, v8
	v_cndmask_b32_e32 v8, 0x7f800000, v12, vcc_lo
	s_delay_alu instid0(VALU_DEP_1)
	v_add_f32_e32 v13, v13, v8
	global_store_b32 v[5:6], v8, off
	v_add_co_u32 v5, vcc_lo, v5, 4
	v_add_co_ci_u32_e32 v6, vcc_lo, 0, v6, vcc_lo
	s_cbranch_scc0 .LBB121_7
.LBB121_8:
	s_delay_alu instid0(VALU_DEP_1) | instskip(NEXT) | instid1(VALU_DEP_1)
	v_sub_f32_e32 v2, v9, v10
	v_mul_f32_e32 v4, 0x3fb8aa3b, v2
	s_delay_alu instid0(VALU_DEP_1) | instskip(SKIP_2) | instid1(VALU_DEP_2)
	v_rndne_f32_e32 v8, v4
	v_sub_f32_e32 v1, v11, v10
	v_fma_f32 v7, 0x3fb8aa3b, v2, -v4
	v_dual_sub_f32 v4, v4, v8 :: v_dual_mul_f32 v3, 0x3fb8aa3b, v1
	s_delay_alu instid0(VALU_DEP_2) | instskip(SKIP_1) | instid1(VALU_DEP_3)
	v_fmac_f32_e32 v7, 0x32a5705f, v2
	v_cmp_ngt_f32_e32 vcc_lo, 0xc2ce8ed0, v1
	v_fma_f32 v5, 0x3fb8aa3b, v1, -v3
	v_rndne_f32_e32 v6, v3
	s_delay_alu instid0(VALU_DEP_2) | instskip(NEXT) | instid1(VALU_DEP_2)
	v_dual_add_f32 v4, v4, v7 :: v_dual_fmac_f32 v5, 0x32a5705f, v1
	v_sub_f32_e32 v3, v3, v6
	s_delay_alu instid0(VALU_DEP_2) | instskip(NEXT) | instid1(VALU_DEP_1)
	v_exp_f32_e32 v4, v4
	v_add_f32_e32 v3, v3, v5
	v_cvt_i32_f32_e32 v5, v6
	v_cvt_i32_f32_e32 v6, v8
	s_delay_alu instid0(VALU_DEP_3) | instskip(SKIP_3) | instid1(VALU_DEP_1)
	v_exp_f32_e32 v3, v3
	s_waitcnt_depctr 0xfff
	v_ldexp_f32 v4, v4, v6
	v_ldexp_f32 v3, v3, v5
	v_cndmask_b32_e32 v3, 0, v3, vcc_lo
	v_cmp_ngt_f32_e32 vcc_lo, 0xc2ce8ed0, v2
	s_delay_alu instid0(VALU_DEP_4) | instskip(SKIP_1) | instid1(VALU_DEP_4)
	v_cndmask_b32_e32 v4, 0, v4, vcc_lo
	v_cmp_nlt_f32_e32 vcc_lo, 0x42b17218, v1
	v_cndmask_b32_e32 v1, 0x7f800000, v3, vcc_lo
	v_cmp_nlt_f32_e32 vcc_lo, 0x42b17218, v2
	s_delay_alu instid0(VALU_DEP_4) | instskip(NEXT) | instid1(VALU_DEP_1)
	v_cndmask_b32_e32 v2, 0x7f800000, v4, vcc_lo
	v_add_f32_e32 v1, v1, v2
	s_delay_alu instid0(VALU_DEP_1) | instskip(NEXT) | instid1(VALU_DEP_1)
	v_add_f32_e32 v2, v13, v1
	v_cmp_neq_f32_e32 vcc_lo, 0, v2
	s_and_b32 exec_lo, exec_lo, vcc_lo
	s_cbranch_execz .LBB121_12
; %bb.9:
	s_and_not1_b32 vcc_lo, exec_lo, s2
	s_cbranch_vccnz .LBB121_12
; %bb.10:
	v_div_scale_f32 v1, null, v2, v2, 1.0
	v_div_scale_f32 v5, vcc_lo, 1.0, v2, 1.0
	s_delay_alu instid0(VALU_DEP_2) | instskip(SKIP_2) | instid1(VALU_DEP_1)
	v_rcp_f32_e32 v3, v1
	s_waitcnt_depctr 0xfff
	v_fma_f32 v4, -v1, v3, 1.0
	v_fmac_f32_e32 v3, v4, v3
	s_delay_alu instid0(VALU_DEP_1) | instskip(NEXT) | instid1(VALU_DEP_1)
	v_mul_f32_e32 v4, v5, v3
	v_fma_f32 v6, -v1, v4, v5
	s_delay_alu instid0(VALU_DEP_1) | instskip(NEXT) | instid1(VALU_DEP_1)
	v_fmac_f32_e32 v4, v6, v3
	v_fma_f32 v5, -v1, v4, v5
	v_ashrrev_i32_e32 v1, 31, v0
	s_delay_alu instid0(VALU_DEP_2) | instskip(NEXT) | instid1(VALU_DEP_2)
	v_div_fmas_f32 v3, v5, v3, v4
	v_lshlrev_b64 v[0:1], 2, v[0:1]
	s_delay_alu instid0(VALU_DEP_2) | instskip(NEXT) | instid1(VALU_DEP_2)
	v_div_fixup_f32 v2, v3, v2, 1.0
	v_add_co_u32 v0, vcc_lo, s12, v0
	s_delay_alu instid0(VALU_DEP_3)
	v_add_co_ci_u32_e32 v1, vcc_lo, s13, v1, vcc_lo
.LBB121_11:                             ; =>This Inner Loop Header: Depth=1
	global_load_b32 v3, v[0:1], off
	s_add_i32 s4, s4, -1
	s_delay_alu instid0(SALU_CYCLE_1)
	s_cmp_lg_u32 s4, 0
	s_waitcnt vmcnt(0)
	v_mul_f32_e32 v3, v2, v3
	global_store_b32 v[0:1], v3, off
	v_add_co_u32 v0, vcc_lo, v0, 4
	v_add_co_ci_u32_e32 v1, vcc_lo, 0, v1, vcc_lo
	s_cbranch_scc1 .LBB121_11
.LBB121_12:
	s_nop 0
	s_sendmsg sendmsg(MSG_DEALLOC_VGPRS)
	s_endpgm
	.section	.rodata,"a",@progbits
	.p2align	6, 0x0
	.amdhsa_kernel _ZN4vllm3moe17topkGatingSoftmaxIDF16_Li2ELi2ELi8ELi4ELb0ELi2ELNS0_23SharedExpertScoringFuncE1EEEvPKT_PKbPfiPiS9_iiiiii
		.amdhsa_group_segment_fixed_size 0
		.amdhsa_private_segment_fixed_size 0
		.amdhsa_kernarg_size 72
		.amdhsa_user_sgpr_count 15
		.amdhsa_user_sgpr_dispatch_ptr 0
		.amdhsa_user_sgpr_queue_ptr 0
		.amdhsa_user_sgpr_kernarg_segment_ptr 1
		.amdhsa_user_sgpr_dispatch_id 0
		.amdhsa_user_sgpr_private_segment_size 0
		.amdhsa_wavefront_size32 1
		.amdhsa_uses_dynamic_stack 0
		.amdhsa_enable_private_segment 0
		.amdhsa_system_sgpr_workgroup_id_x 1
		.amdhsa_system_sgpr_workgroup_id_y 0
		.amdhsa_system_sgpr_workgroup_id_z 0
		.amdhsa_system_sgpr_workgroup_info 0
		.amdhsa_system_vgpr_workitem_id 1
		.amdhsa_next_free_vgpr 21
		.amdhsa_next_free_sgpr 18
		.amdhsa_reserve_vcc 1
		.amdhsa_float_round_mode_32 0
		.amdhsa_float_round_mode_16_64 0
		.amdhsa_float_denorm_mode_32 3
		.amdhsa_float_denorm_mode_16_64 3
		.amdhsa_dx10_clamp 1
		.amdhsa_ieee_mode 1
		.amdhsa_fp16_overflow 0
		.amdhsa_workgroup_processor_mode 1
		.amdhsa_memory_ordered 1
		.amdhsa_forward_progress 0
		.amdhsa_shared_vgpr_count 0
		.amdhsa_exception_fp_ieee_invalid_op 0
		.amdhsa_exception_fp_denorm_src 0
		.amdhsa_exception_fp_ieee_div_zero 0
		.amdhsa_exception_fp_ieee_overflow 0
		.amdhsa_exception_fp_ieee_underflow 0
		.amdhsa_exception_fp_ieee_inexact 0
		.amdhsa_exception_int_div_zero 0
	.end_amdhsa_kernel
	.section	.text._ZN4vllm3moe17topkGatingSoftmaxIDF16_Li2ELi2ELi8ELi4ELb0ELi2ELNS0_23SharedExpertScoringFuncE1EEEvPKT_PKbPfiPiS9_iiiiii,"axG",@progbits,_ZN4vllm3moe17topkGatingSoftmaxIDF16_Li2ELi2ELi8ELi4ELb0ELi2ELNS0_23SharedExpertScoringFuncE1EEEvPKT_PKbPfiPiS9_iiiiii,comdat
.Lfunc_end121:
	.size	_ZN4vllm3moe17topkGatingSoftmaxIDF16_Li2ELi2ELi8ELi4ELb0ELi2ELNS0_23SharedExpertScoringFuncE1EEEvPKT_PKbPfiPiS9_iiiiii, .Lfunc_end121-_ZN4vllm3moe17topkGatingSoftmaxIDF16_Li2ELi2ELi8ELi4ELb0ELi2ELNS0_23SharedExpertScoringFuncE1EEEvPKT_PKbPfiPiS9_iiiiii
                                        ; -- End function
	.section	.AMDGPU.csdata,"",@progbits
; Kernel info:
; codeLenInByte = 1840
; NumSgprs: 20
; NumVgprs: 21
; ScratchSize: 0
; MemoryBound: 0
; FloatMode: 240
; IeeeMode: 1
; LDSByteSize: 0 bytes/workgroup (compile time only)
; SGPRBlocks: 2
; VGPRBlocks: 2
; NumSGPRsForWavesPerEU: 20
; NumVGPRsForWavesPerEU: 21
; Occupancy: 16
; WaveLimiterHint : 0
; COMPUTE_PGM_RSRC2:SCRATCH_EN: 0
; COMPUTE_PGM_RSRC2:USER_SGPR: 15
; COMPUTE_PGM_RSRC2:TRAP_HANDLER: 0
; COMPUTE_PGM_RSRC2:TGID_X_EN: 1
; COMPUTE_PGM_RSRC2:TGID_Y_EN: 0
; COMPUTE_PGM_RSRC2:TGID_Z_EN: 0
; COMPUTE_PGM_RSRC2:TIDIG_COMP_CNT: 1
	.section	.text._ZN4vllm3moe17topkGatingSoftmaxIDF16_Li2ELi2ELi8ELi4ELb1ELi4ELNS0_23SharedExpertScoringFuncE1EEEvPKT_PKbPfiPiS9_iiiiii,"axG",@progbits,_ZN4vllm3moe17topkGatingSoftmaxIDF16_Li2ELi2ELi8ELi4ELb1ELi4ELNS0_23SharedExpertScoringFuncE1EEEvPKT_PKbPfiPiS9_iiiiii,comdat
	.protected	_ZN4vllm3moe17topkGatingSoftmaxIDF16_Li2ELi2ELi8ELi4ELb1ELi4ELNS0_23SharedExpertScoringFuncE1EEEvPKT_PKbPfiPiS9_iiiiii ; -- Begin function _ZN4vllm3moe17topkGatingSoftmaxIDF16_Li2ELi2ELi8ELi4ELb1ELi4ELNS0_23SharedExpertScoringFuncE1EEEvPKT_PKbPfiPiS9_iiiiii
	.globl	_ZN4vllm3moe17topkGatingSoftmaxIDF16_Li2ELi2ELi8ELi4ELb1ELi4ELNS0_23SharedExpertScoringFuncE1EEEvPKT_PKbPfiPiS9_iiiiii
	.p2align	8
	.type	_ZN4vllm3moe17topkGatingSoftmaxIDF16_Li2ELi2ELi8ELi4ELb1ELi4ELNS0_23SharedExpertScoringFuncE1EEEvPKT_PKbPfiPiS9_iiiiii,@function
_ZN4vllm3moe17topkGatingSoftmaxIDF16_Li2ELi2ELi8ELi4ELb1ELi4ELNS0_23SharedExpertScoringFuncE1EEEvPKT_PKbPfiPiS9_iiiiii: ; @_ZN4vllm3moe17topkGatingSoftmaxIDF16_Li2ELi2ELi8ELi4ELb1ELi4ELNS0_23SharedExpertScoringFuncE1EEEvPKT_PKbPfiPiS9_iiiiii
; %bb.0:
	s_load_b32 s14, s[0:1], 0x18
	v_bfe_u32 v1, v0, 10, 10
	v_and_b32_e32 v9, 0x3ff, v0
	s_lshl_b32 s16, s15, 8
	s_mov_b32 s2, exec_lo
	s_delay_alu instid0(VALU_DEP_2) | instskip(NEXT) | instid1(VALU_DEP_1)
	v_lshlrev_b32_e32 v8, 5, v1
	v_add3_u32 v10, v8, v9, s16
	s_waitcnt lgkmcnt(0)
	s_delay_alu instid0(VALU_DEP_1)
	v_cmpx_gt_i32_e64 s14, v10
	s_cbranch_execz .LBB122_12
; %bb.1:
	s_clause 0x1
	s_load_b128 s[4:7], s[0:1], 0x0
	s_load_b64 s[12:13], s[0:1], 0x10
	s_waitcnt lgkmcnt(0)
	s_cmp_eq_u64 s[6:7], 0
	s_cbranch_scc1 .LBB122_3
; %bb.2:
	v_ashrrev_i32_e32 v1, 31, v10
	v_add_co_u32 v0, vcc_lo, s6, v10
	s_delay_alu instid0(VALU_DEP_2) | instskip(SKIP_3) | instid1(VALU_DEP_1)
	v_add_co_ci_u32_e32 v1, vcc_lo, s7, v1, vcc_lo
	global_load_u8 v0, v[0:1], off
	s_waitcnt vmcnt(0)
	v_and_b32_e32 v0, 1, v0
	v_cmp_eq_u32_e32 vcc_lo, 1, v0
	s_xor_b32 s2, vcc_lo, -1
	s_delay_alu instid0(SALU_CYCLE_1)
	s_or_not1_b32 s15, s2, exec_lo
	s_branch .LBB122_4
.LBB122_3:
	s_mov_b32 s15, -1
.LBB122_4:
	s_clause 0x1
	s_load_b64 s[6:7], s[0:1], 0x40
	s_load_b128 s[8:11], s[0:1], 0x30
	s_mov_b32 s2, 0x3fb8aa3b
	s_mov_b32 s3, 0x32a5705f
	s_waitcnt lgkmcnt(0)
	v_mul_lo_u32 v0, v10, s7
	s_cmp_gt_i32 s8, 0
	s_delay_alu instid0(VALU_DEP_1) | instskip(NEXT) | instid1(VALU_DEP_1)
	v_ashrrev_i32_e32 v1, 31, v0
	v_lshlrev_b64 v[0:1], 1, v[0:1]
	s_delay_alu instid0(VALU_DEP_1) | instskip(NEXT) | instid1(VALU_DEP_2)
	v_add_co_u32 v0, vcc_lo, s4, v0
	v_add_co_ci_u32_e32 v1, vcc_lo, s5, v1, vcc_lo
	global_load_b96 v[0:2], v[0:1], off
	s_waitcnt vmcnt(0)
	v_cvt_f32_f16_e64 v3, -v1
	v_lshrrev_b32_e32 v4, 16, v1
	v_cvt_f32_f16_e64 v5, -v2
	v_lshrrev_b32_e32 v6, 16, v2
	s_delay_alu instid0(VALU_DEP_4) | instskip(NEXT) | instid1(VALU_DEP_4)
	v_cmp_ngt_f32_e32 vcc_lo, 0xc2ce8ed0, v3
	v_cvt_f32_f16_e64 v4, -v4
	v_mul_f32_e32 v7, 0x3fb8aa3b, v3
	s_delay_alu instid0(VALU_DEP_4) | instskip(NEXT) | instid1(VALU_DEP_3)
	v_cvt_f32_f16_e64 v6, -v6
	v_mul_f32_e32 v14, 0x3fb8aa3b, v4
	s_delay_alu instid0(VALU_DEP_3) | instskip(SKIP_1) | instid1(VALU_DEP_3)
	v_fma_mix_f32 v12, -v1, s2, -v7 op_sel_hi:[1,0,0]
	v_rndne_f32_e32 v13, v7
	v_rndne_f32_e32 v19, v14
	v_mul_f32_e32 v11, 0x3fb8aa3b, v5
	s_delay_alu instid0(VALU_DEP_4) | instskip(NEXT) | instid1(VALU_DEP_4)
	v_fma_mix_f32 v12, -v1, s3, v12 op_sel_hi:[1,0,0]
	v_sub_f32_e32 v7, v7, v13
	v_fma_mix_f32 v18, -v1, s2, -v14 op_sel:[1,0,0] op_sel_hi:[1,0,0]
	s_delay_alu instid0(VALU_DEP_2) | instskip(SKIP_2) | instid1(VALU_DEP_4)
	v_dual_add_f32 v7, v7, v12 :: v_dual_sub_f32 v12, v14, v19
	v_fma_mix_f32 v15, -v2, s2, -v11 op_sel_hi:[1,0,0]
	v_rndne_f32_e32 v16, v11
	v_fma_mix_f32 v1, -v1, s3, v18 op_sel:[1,0,0] op_sel_hi:[1,0,0]
	s_delay_alu instid0(VALU_DEP_4) | instskip(NEXT) | instid1(VALU_DEP_3)
	v_exp_f32_e32 v7, v7
	v_fma_mix_f32 v15, -v2, s3, v15 op_sel_hi:[1,0,0]
	s_delay_alu instid0(VALU_DEP_3) | instskip(NEXT) | instid1(VALU_DEP_3)
	v_sub_f32_e32 v11, v11, v16
	v_add_f32_e32 v1, v12, v1
	v_cvt_i32_f32_e32 v12, v13
	v_cvt_i32_f32_e32 v13, v16
	s_delay_alu instid0(VALU_DEP_4) | instskip(NEXT) | instid1(VALU_DEP_4)
	v_add_f32_e32 v11, v11, v15
	v_exp_f32_e32 v1, v1
	s_delay_alu instid0(TRANS32_DEP_2) | instid1(VALU_DEP_3)
	v_ldexp_f32 v7, v7, v12
	v_cvt_i32_f32_e32 v12, v19
	s_delay_alu instid0(VALU_DEP_3) | instskip(NEXT) | instid1(VALU_DEP_2)
	v_exp_f32_e32 v11, v11
	v_cndmask_b32_e32 v7, 0, v7, vcc_lo
	v_cmp_ngt_f32_e32 vcc_lo, 0xc2ce8ed0, v5
	s_waitcnt_depctr 0xfff
	v_ldexp_f32 v1, v1, v12
	v_ldexp_f32 v11, v11, v13
	s_delay_alu instid0(VALU_DEP_1)
	v_cndmask_b32_e32 v11, 0, v11, vcc_lo
	v_cmp_nlt_f32_e32 vcc_lo, 0x42b17218, v3
	v_cndmask_b32_e32 v3, 0x7f800000, v7, vcc_lo
	v_cmp_ngt_f32_e32 vcc_lo, 0xc2ce8ed0, v4
	v_cndmask_b32_e32 v1, 0, v1, vcc_lo
	v_cmp_nlt_f32_e32 vcc_lo, 0x42b17218, v5
	v_cndmask_b32_e32 v5, 0x7f800000, v11, vcc_lo
	v_mul_f32_e32 v17, 0x3fb8aa3b, v6
	v_cmp_ngt_f32_e32 vcc_lo, 0xc2ce8ed0, v6
	v_add_f32_e32 v11, 1.0, v3
	s_delay_alu instid0(VALU_DEP_3) | instskip(SKIP_1) | instid1(VALU_DEP_2)
	v_fma_mix_f32 v20, -v2, s2, -v17 op_sel:[1,0,0] op_sel_hi:[1,0,0]
	v_rndne_f32_e32 v21, v17
	v_fma_mix_f32 v2, -v2, s3, v20 op_sel:[1,0,0] op_sel_hi:[1,0,0]
	s_delay_alu instid0(VALU_DEP_2) | instskip(NEXT) | instid1(VALU_DEP_1)
	v_sub_f32_e32 v14, v17, v21
	v_add_f32_e32 v2, v14, v2
	v_cvt_i32_f32_e32 v14, v21
	s_delay_alu instid0(VALU_DEP_2) | instskip(SKIP_2) | instid1(VALU_DEP_1)
	v_exp_f32_e32 v2, v2
	s_waitcnt_depctr 0xfff
	v_ldexp_f32 v2, v2, v14
	v_cndmask_b32_e32 v2, 0, v2, vcc_lo
	v_cmp_nlt_f32_e32 vcc_lo, 0x42b17218, v4
	v_add_f32_e32 v4, 1.0, v5
	v_div_scale_f32 v5, null, v11, v11, 1.0
	v_cndmask_b32_e32 v1, 0x7f800000, v1, vcc_lo
	v_cmp_nlt_f32_e32 vcc_lo, 0x42b17218, v6
	s_delay_alu instid0(VALU_DEP_4) | instskip(SKIP_2) | instid1(VALU_DEP_3)
	v_div_scale_f32 v6, null, v4, v4, 1.0
	v_div_scale_f32 v20, s2, 1.0, v4, 1.0
	v_cndmask_b32_e32 v2, 0x7f800000, v2, vcc_lo
	v_rcp_f32_e32 v15, v6
	v_add_f32_e32 v12, 1.0, v1
	v_rcp_f32_e32 v14, v5
	v_div_scale_f32 v18, vcc_lo, 1.0, v11, 1.0
	v_mul_lo_u32 v1, v10, s11
	s_delay_alu instid0(VALU_DEP_3) | instskip(SKIP_1) | instid1(TRANS32_DEP_2)
	v_div_scale_f32 v7, null, v12, v12, 1.0
	v_div_scale_f32 v22, s3, 1.0, v12, 1.0
	v_fma_f32 v3, -v6, v15, 1.0
	s_delay_alu instid0(VALU_DEP_3) | instskip(NEXT) | instid1(VALU_DEP_1)
	v_rcp_f32_e32 v17, v7
	v_fmac_f32_e32 v15, v3, v15
	s_delay_alu instid0(VALU_DEP_1)
	v_mul_f32_e32 v24, v20, v15
	s_waitcnt_depctr 0xfff
	v_fma_f32 v21, -v7, v17, 1.0
	v_fma_f32 v27, -v6, v24, v20
	v_add_f32_e32 v13, 1.0, v2
	v_fma_f32 v2, -v5, v14, 1.0
	s_delay_alu instid0(VALU_DEP_3) | instskip(NEXT) | instid1(VALU_DEP_3)
	v_fmac_f32_e32 v24, v27, v15
	v_div_scale_f32 v16, null, v13, v13, 1.0
	s_delay_alu instid0(VALU_DEP_3) | instskip(NEXT) | instid1(VALU_DEP_3)
	v_fmac_f32_e32 v14, v2, v14
	v_fma_f32 v6, -v6, v24, v20
	s_delay_alu instid0(VALU_DEP_3) | instskip(NEXT) | instid1(VALU_DEP_2)
	v_rcp_f32_e32 v19, v16
	v_mul_f32_e32 v23, v18, v14
	s_delay_alu instid0(VALU_DEP_1) | instskip(SKIP_3) | instid1(VALU_DEP_2)
	v_fma_f32 v26, -v5, v23, v18
	s_waitcnt_depctr 0xfff
	v_fma_f32 v2, -v16, v19, 1.0
	v_fmac_f32_e32 v23, v26, v14
	v_fmac_f32_e32 v19, v2, v19
	;; [unrolled: 1-line block ×3, first 2 shown]
	v_div_scale_f32 v21, s4, 1.0, v13, 1.0
	v_add_nc_u32_e32 v2, s8, v1
	v_fma_f32 v5, -v5, v23, v18
	s_delay_alu instid0(VALU_DEP_3) | instskip(NEXT) | instid1(VALU_DEP_3)
	v_mul_f32_e32 v28, v21, v19
	v_ashrrev_i32_e32 v3, 31, v2
	s_delay_alu instid0(VALU_DEP_3) | instskip(SKIP_1) | instid1(VALU_DEP_3)
	v_div_fmas_f32 v5, v5, v14, v23
	s_mov_b32 vcc_lo, s3
	v_fma_f32 v26, -v16, v28, v21
	s_delay_alu instid0(VALU_DEP_3) | instskip(NEXT) | instid1(VALU_DEP_2)
	v_lshlrev_b64 v[2:3], 2, v[2:3]
	v_fmac_f32_e32 v28, v26, v19
	v_mul_f32_e32 v25, v22, v17
	s_delay_alu instid0(VALU_DEP_2) | instskip(NEXT) | instid1(VALU_DEP_2)
	v_fma_f32 v14, -v16, v28, v21
	v_fma_f32 v29, -v7, v25, v22
	s_delay_alu instid0(VALU_DEP_1) | instskip(NEXT) | instid1(VALU_DEP_1)
	v_fmac_f32_e32 v25, v29, v17
	v_fma_f32 v7, -v7, v25, v22
	s_delay_alu instid0(VALU_DEP_1)
	v_div_fmas_f32 v16, v7, v17, v25
	s_mov_b32 vcc_lo, s2
	s_cselect_b32 s2, -1, 0
	v_div_fmas_f32 v15, v6, v15, v24
	s_mov_b32 vcc_lo, s4
	s_cmp_lt_i32 s8, 1
	v_div_fmas_f32 v14, v14, v19, v28
	v_add_co_u32 v6, vcc_lo, s12, v2
	v_add_co_ci_u32_e32 v7, vcc_lo, s13, v3, vcc_lo
	v_div_fixup_f32 v2, v5, v11, 1.0
	v_div_fixup_f32 v3, v16, v12, 1.0
	;; [unrolled: 1-line block ×4, first 2 shown]
	v_mov_b32_e32 v11, 0
	global_store_b128 v[6:7], v[2:5], off
	s_cbranch_scc1 .LBB122_8
; %bb.5:
	v_lshrrev_b32_e32 v2, 16, v0
	v_cvt_f32_f16_e32 v13, v0
	v_mul_lo_u32 v3, v10, s6
	s_load_b128 s[4:7], s[0:1], 0x20
	v_mul_lo_u32 v15, v10, s8
	v_cvt_f32_f16_e32 v12, v2
	v_cmp_lt_f16_e32 vcc_lo, v0, v2
	s_delay_alu instid0(VALU_DEP_2) | instskip(NEXT) | instid1(VALU_DEP_4)
	v_cndmask_b32_e32 v0, v13, v12, vcc_lo
	v_ashrrev_i32_e32 v16, 31, v15
	s_delay_alu instid0(VALU_DEP_2) | instskip(NEXT) | instid1(VALU_DEP_1)
	v_sub_f32_e32 v11, v0, v0
	v_mul_f32_e32 v2, 0x3fb8aa3b, v11
	s_delay_alu instid0(VALU_DEP_1) | instskip(NEXT) | instid1(VALU_DEP_1)
	v_rndne_f32_e32 v5, v2
	v_sub_f32_e32 v6, v2, v5
	v_fma_f32 v4, 0x3fb8aa3b, v11, -v2
	v_ashrrev_i32_e32 v2, 31, v1
	v_cvt_i32_f32_e32 v5, v5
	s_delay_alu instid0(VALU_DEP_3) | instskip(NEXT) | instid1(VALU_DEP_1)
	v_fmac_f32_e32 v4, 0x32a5705f, v11
	v_add_f32_e32 v14, v6, v4
	s_delay_alu instid0(VALU_DEP_4) | instskip(SKIP_1) | instid1(VALU_DEP_3)
	v_lshlrev_b64 v[6:7], 2, v[1:2]
	v_ashrrev_i32_e32 v4, 31, v3
	v_exp_f32_e32 v17, v14
	v_cndmask_b32_e64 v14, 0, 1, vcc_lo
	s_delay_alu instid0(VALU_DEP_3) | instskip(NEXT) | instid1(VALU_DEP_1)
	v_add_co_u32 v6, s0, s12, v6
	v_add_co_ci_u32_e64 v7, s0, s13, v7, s0
	s_delay_alu instid0(VALU_DEP_3) | instskip(SKIP_3) | instid1(TRANS32_DEP_1)
	v_cmp_le_i32_e64 s0, s9, v14
	v_cmp_gt_i32_e64 s1, s10, v14
	v_lshlrev_b64 v[2:3], 2, v[3:4]
	v_subrev_nc_u32_e32 v18, s9, v14
	v_ldexp_f32 v17, v17, v5
	v_lshlrev_b64 v[4:5], 2, v[15:16]
	s_and_b32 s1, s0, s1
	v_cmp_ngt_f32_e64 s0, 0xc2ce8ed0, v11
	s_delay_alu instid0(VALU_DEP_1) | instskip(SKIP_2) | instid1(VALU_DEP_1)
	v_cndmask_b32_e64 v17, 0, v17, s0
	s_waitcnt lgkmcnt(0)
	v_add_co_u32 v15, s0, s4, v2
	v_add_co_ci_u32_e64 v16, s0, s5, v3, s0
	s_and_b32 s0, s15, s1
	s_cmp_eq_u32 s8, 1
	v_cndmask_b32_e64 v19, 2, v18, s0
	v_cmp_nlt_f32_e64 s0, 0x42b17218, v11
	s_delay_alu instid0(VALU_DEP_1) | instskip(SKIP_1) | instid1(VALU_DEP_1)
	v_cndmask_b32_e64 v11, 0x7f800000, v17, s0
	v_add_co_u32 v17, s0, s6, v4
	v_add_co_ci_u32_e64 v18, s0, s7, v5, s0
	global_store_b32 v[15:16], v19, off
	global_store_b32 v[6:7], v11, off
	;; [unrolled: 1-line block ×3, first 2 shown]
	s_cbranch_scc1 .LBB122_8
; %bb.6:
	v_cndmask_b32_e32 v10, 0xff800000, v13, vcc_lo
	v_cmp_ne_u32_e32 vcc_lo, 1, v14
	s_add_i32 s16, s16, s14
	s_add_i32 s1, s8, -1
	v_add3_u32 v8, s16, v9, v8
	v_cndmask_b32_e32 v12, 0xff800000, v12, vcc_lo
	v_add_co_u32 v4, vcc_lo, v4, s6
	v_add_co_ci_u32_e32 v5, vcc_lo, s7, v5, vcc_lo
	v_add_co_u32 v13, vcc_lo, v2, s4
	v_add_co_ci_u32_e32 v14, vcc_lo, s5, v3, vcc_lo
	s_delay_alu instid0(VALU_DEP_4) | instskip(NEXT) | instid1(VALU_DEP_4)
	v_add_co_u32 v2, vcc_lo, v4, 4
	v_add_co_ci_u32_e32 v3, vcc_lo, 0, v5, vcc_lo
	s_delay_alu instid0(VALU_DEP_4) | instskip(NEXT) | instid1(VALU_DEP_4)
	v_add_co_u32 v4, vcc_lo, v13, 4
	v_add_co_ci_u32_e32 v5, vcc_lo, 0, v14, vcc_lo
	v_add_co_u32 v6, vcc_lo, v6, 4
	v_add_co_ci_u32_e32 v7, vcc_lo, 0, v7, vcc_lo
.LBB122_7:                              ; =>This Inner Loop Header: Depth=1
	v_cmp_gt_f32_e32 vcc_lo, v12, v10
	s_add_i32 s1, s1, -1
	v_cndmask_b32_e32 v9, v10, v12, vcc_lo
	v_cndmask_b32_e64 v13, 0, 1, vcc_lo
	v_cndmask_b32_e64 v12, v12, 0xff800000, vcc_lo
	s_delay_alu instid0(VALU_DEP_3) | instskip(NEXT) | instid1(VALU_DEP_3)
	v_dual_cndmask_b32 v10, 0xff800000, v10 :: v_dual_sub_f32 v9, v9, v0
	v_cmp_le_i32_e32 vcc_lo, s9, v13
	v_cmp_gt_i32_e64 s0, s10, v13
	v_subrev_nc_u32_e32 v13, s9, v13
	s_delay_alu instid0(VALU_DEP_4) | instskip(NEXT) | instid1(VALU_DEP_3)
	v_mul_f32_e32 v14, 0x3fb8aa3b, v9
	s_and_b32 s0, vcc_lo, s0
	s_delay_alu instid0(SALU_CYCLE_1) | instskip(NEXT) | instid1(VALU_DEP_1)
	s_and_b32 vcc_lo, s15, s0
	v_fma_f32 v15, 0x3fb8aa3b, v9, -v14
	v_rndne_f32_e32 v16, v14
	v_cndmask_b32_e32 v13, 2, v13, vcc_lo
	s_cmp_eq_u32 s1, 0
	s_delay_alu instid0(VALU_DEP_2)
	v_dual_fmac_f32 v15, 0x32a5705f, v9 :: v_dual_sub_f32 v14, v14, v16
	global_store_b32 v[4:5], v13, off
	global_store_b32 v[2:3], v8, off
	v_add_nc_u32_e32 v8, s14, v8
	v_add_co_u32 v2, vcc_lo, v2, 4
	v_add_f32_e32 v13, v14, v15
	v_cvt_i32_f32_e32 v16, v16
	v_add_co_ci_u32_e32 v3, vcc_lo, 0, v3, vcc_lo
	v_add_co_u32 v4, vcc_lo, v4, 4
	s_delay_alu instid0(VALU_DEP_4) | instskip(SKIP_4) | instid1(VALU_DEP_1)
	v_exp_f32_e32 v13, v13
	v_add_co_ci_u32_e32 v5, vcc_lo, 0, v5, vcc_lo
	v_cmp_ngt_f32_e32 vcc_lo, 0xc2ce8ed0, v9
	s_waitcnt_depctr 0xfff
	v_ldexp_f32 v13, v13, v16
	v_cndmask_b32_e32 v13, 0, v13, vcc_lo
	v_cmp_nlt_f32_e32 vcc_lo, 0x42b17218, v9
	s_delay_alu instid0(VALU_DEP_2)
	v_cndmask_b32_e32 v9, 0x7f800000, v13, vcc_lo
	global_store_b32 v[6:7], v9, off
	v_add_co_u32 v6, vcc_lo, v6, 4
	v_add_f32_e32 v11, v11, v9
	v_add_co_ci_u32_e32 v7, vcc_lo, 0, v7, vcc_lo
	s_cbranch_scc0 .LBB122_7
.LBB122_8:
	s_delay_alu instid0(VALU_DEP_2)
	v_cmp_neq_f32_e32 vcc_lo, 0, v11
	s_and_b32 exec_lo, exec_lo, vcc_lo
	s_cbranch_execz .LBB122_12
; %bb.9:
	s_and_not1_b32 vcc_lo, exec_lo, s2
	s_cbranch_vccnz .LBB122_12
; %bb.10:
	v_div_scale_f32 v0, null, v11, v11, 1.0
	v_div_scale_f32 v4, vcc_lo, 1.0, v11, 1.0
	s_delay_alu instid0(VALU_DEP_2) | instskip(SKIP_2) | instid1(VALU_DEP_1)
	v_rcp_f32_e32 v3, v0
	s_waitcnt_depctr 0xfff
	v_fma_f32 v2, -v0, v3, 1.0
	v_fmac_f32_e32 v3, v2, v3
	s_delay_alu instid0(VALU_DEP_1) | instskip(NEXT) | instid1(VALU_DEP_1)
	v_mul_f32_e32 v5, v4, v3
	v_fma_f32 v2, -v0, v5, v4
	s_delay_alu instid0(VALU_DEP_1) | instskip(SKIP_1) | instid1(VALU_DEP_2)
	v_fmac_f32_e32 v5, v2, v3
	v_ashrrev_i32_e32 v2, 31, v1
	v_fma_f32 v0, -v0, v5, v4
	s_delay_alu instid0(VALU_DEP_1) | instskip(NEXT) | instid1(VALU_DEP_3)
	v_div_fmas_f32 v3, v0, v3, v5
	v_lshlrev_b64 v[0:1], 2, v[1:2]
	s_delay_alu instid0(VALU_DEP_2) | instskip(NEXT) | instid1(VALU_DEP_2)
	v_div_fixup_f32 v2, v3, v11, 1.0
	v_add_co_u32 v0, vcc_lo, s12, v0
	s_delay_alu instid0(VALU_DEP_3)
	v_add_co_ci_u32_e32 v1, vcc_lo, s13, v1, vcc_lo
.LBB122_11:                             ; =>This Inner Loop Header: Depth=1
	global_load_b32 v3, v[0:1], off
	s_add_i32 s8, s8, -1
	s_delay_alu instid0(SALU_CYCLE_1)
	s_cmp_lg_u32 s8, 0
	s_waitcnt vmcnt(0)
	v_mul_f32_e32 v3, v2, v3
	global_store_b32 v[0:1], v3, off
	v_add_co_u32 v0, vcc_lo, v0, 4
	v_add_co_ci_u32_e32 v1, vcc_lo, 0, v1, vcc_lo
	s_cbranch_scc1 .LBB122_11
.LBB122_12:
	s_nop 0
	s_sendmsg sendmsg(MSG_DEALLOC_VGPRS)
	s_endpgm
	.section	.rodata,"a",@progbits
	.p2align	6, 0x0
	.amdhsa_kernel _ZN4vllm3moe17topkGatingSoftmaxIDF16_Li2ELi2ELi8ELi4ELb1ELi4ELNS0_23SharedExpertScoringFuncE1EEEvPKT_PKbPfiPiS9_iiiiii
		.amdhsa_group_segment_fixed_size 0
		.amdhsa_private_segment_fixed_size 0
		.amdhsa_kernarg_size 72
		.amdhsa_user_sgpr_count 15
		.amdhsa_user_sgpr_dispatch_ptr 0
		.amdhsa_user_sgpr_queue_ptr 0
		.amdhsa_user_sgpr_kernarg_segment_ptr 1
		.amdhsa_user_sgpr_dispatch_id 0
		.amdhsa_user_sgpr_private_segment_size 0
		.amdhsa_wavefront_size32 1
		.amdhsa_uses_dynamic_stack 0
		.amdhsa_enable_private_segment 0
		.amdhsa_system_sgpr_workgroup_id_x 1
		.amdhsa_system_sgpr_workgroup_id_y 0
		.amdhsa_system_sgpr_workgroup_id_z 0
		.amdhsa_system_sgpr_workgroup_info 0
		.amdhsa_system_vgpr_workitem_id 1
		.amdhsa_next_free_vgpr 30
		.amdhsa_next_free_sgpr 17
		.amdhsa_reserve_vcc 1
		.amdhsa_float_round_mode_32 0
		.amdhsa_float_round_mode_16_64 0
		.amdhsa_float_denorm_mode_32 3
		.amdhsa_float_denorm_mode_16_64 3
		.amdhsa_dx10_clamp 1
		.amdhsa_ieee_mode 1
		.amdhsa_fp16_overflow 0
		.amdhsa_workgroup_processor_mode 1
		.amdhsa_memory_ordered 1
		.amdhsa_forward_progress 0
		.amdhsa_shared_vgpr_count 0
		.amdhsa_exception_fp_ieee_invalid_op 0
		.amdhsa_exception_fp_denorm_src 0
		.amdhsa_exception_fp_ieee_div_zero 0
		.amdhsa_exception_fp_ieee_overflow 0
		.amdhsa_exception_fp_ieee_underflow 0
		.amdhsa_exception_fp_ieee_inexact 0
		.amdhsa_exception_int_div_zero 0
	.end_amdhsa_kernel
	.section	.text._ZN4vllm3moe17topkGatingSoftmaxIDF16_Li2ELi2ELi8ELi4ELb1ELi4ELNS0_23SharedExpertScoringFuncE1EEEvPKT_PKbPfiPiS9_iiiiii,"axG",@progbits,_ZN4vllm3moe17topkGatingSoftmaxIDF16_Li2ELi2ELi8ELi4ELb1ELi4ELNS0_23SharedExpertScoringFuncE1EEEvPKT_PKbPfiPiS9_iiiiii,comdat
.Lfunc_end122:
	.size	_ZN4vllm3moe17topkGatingSoftmaxIDF16_Li2ELi2ELi8ELi4ELb1ELi4ELNS0_23SharedExpertScoringFuncE1EEEvPKT_PKbPfiPiS9_iiiiii, .Lfunc_end122-_ZN4vllm3moe17topkGatingSoftmaxIDF16_Li2ELi2ELi8ELi4ELb1ELi4ELNS0_23SharedExpertScoringFuncE1EEEvPKT_PKbPfiPiS9_iiiiii
                                        ; -- End function
	.section	.AMDGPU.csdata,"",@progbits
; Kernel info:
; codeLenInByte = 2044
; NumSgprs: 19
; NumVgprs: 30
; ScratchSize: 0
; MemoryBound: 0
; FloatMode: 240
; IeeeMode: 1
; LDSByteSize: 0 bytes/workgroup (compile time only)
; SGPRBlocks: 2
; VGPRBlocks: 3
; NumSGPRsForWavesPerEU: 19
; NumVGPRsForWavesPerEU: 30
; Occupancy: 16
; WaveLimiterHint : 0
; COMPUTE_PGM_RSRC2:SCRATCH_EN: 0
; COMPUTE_PGM_RSRC2:USER_SGPR: 15
; COMPUTE_PGM_RSRC2:TRAP_HANDLER: 0
; COMPUTE_PGM_RSRC2:TGID_X_EN: 1
; COMPUTE_PGM_RSRC2:TGID_Y_EN: 0
; COMPUTE_PGM_RSRC2:TGID_Z_EN: 0
; COMPUTE_PGM_RSRC2:TIDIG_COMP_CNT: 1
	.section	.text._ZN4vllm3moe17topkGatingSoftmaxIDF16_Li2ELi2ELi8ELi4ELb0ELi4ELNS0_23SharedExpertScoringFuncE1EEEvPKT_PKbPfiPiS9_iiiiii,"axG",@progbits,_ZN4vllm3moe17topkGatingSoftmaxIDF16_Li2ELi2ELi8ELi4ELb0ELi4ELNS0_23SharedExpertScoringFuncE1EEEvPKT_PKbPfiPiS9_iiiiii,comdat
	.protected	_ZN4vllm3moe17topkGatingSoftmaxIDF16_Li2ELi2ELi8ELi4ELb0ELi4ELNS0_23SharedExpertScoringFuncE1EEEvPKT_PKbPfiPiS9_iiiiii ; -- Begin function _ZN4vllm3moe17topkGatingSoftmaxIDF16_Li2ELi2ELi8ELi4ELb0ELi4ELNS0_23SharedExpertScoringFuncE1EEEvPKT_PKbPfiPiS9_iiiiii
	.globl	_ZN4vllm3moe17topkGatingSoftmaxIDF16_Li2ELi2ELi8ELi4ELb0ELi4ELNS0_23SharedExpertScoringFuncE1EEEvPKT_PKbPfiPiS9_iiiiii
	.p2align	8
	.type	_ZN4vllm3moe17topkGatingSoftmaxIDF16_Li2ELi2ELi8ELi4ELb0ELi4ELNS0_23SharedExpertScoringFuncE1EEEvPKT_PKbPfiPiS9_iiiiii,@function
_ZN4vllm3moe17topkGatingSoftmaxIDF16_Li2ELi2ELi8ELi4ELb0ELi4ELNS0_23SharedExpertScoringFuncE1EEEvPKT_PKbPfiPiS9_iiiiii: ; @_ZN4vllm3moe17topkGatingSoftmaxIDF16_Li2ELi2ELi8ELi4ELb0ELi4ELNS0_23SharedExpertScoringFuncE1EEEvPKT_PKbPfiPiS9_iiiiii
; %bb.0:
	s_load_b32 s16, s[0:1], 0x18
	v_bfe_u32 v1, v0, 10, 10
	v_and_b32_e32 v8, 0x3ff, v0
	s_lshl_b32 s18, s15, 8
	s_mov_b32 s2, exec_lo
	s_delay_alu instid0(VALU_DEP_2) | instskip(NEXT) | instid1(VALU_DEP_1)
	v_lshlrev_b32_e32 v7, 5, v1
	v_add3_u32 v9, v7, v8, s18
	s_waitcnt lgkmcnt(0)
	s_delay_alu instid0(VALU_DEP_1)
	v_cmpx_gt_i32_e64 s16, v9
	s_cbranch_execz .LBB123_12
; %bb.1:
	s_clause 0x1
	s_load_b128 s[4:7], s[0:1], 0x0
	s_load_b64 s[12:13], s[0:1], 0x10
	s_waitcnt lgkmcnt(0)
	s_cmp_eq_u64 s[6:7], 0
	s_cbranch_scc1 .LBB123_3
; %bb.2:
	v_ashrrev_i32_e32 v1, 31, v9
	v_add_co_u32 v0, vcc_lo, s6, v9
	s_delay_alu instid0(VALU_DEP_2) | instskip(SKIP_3) | instid1(VALU_DEP_1)
	v_add_co_ci_u32_e32 v1, vcc_lo, s7, v1, vcc_lo
	global_load_u8 v0, v[0:1], off
	s_waitcnt vmcnt(0)
	v_and_b32_e32 v0, 1, v0
	v_cmp_eq_u32_e32 vcc_lo, 1, v0
	s_xor_b32 s2, vcc_lo, -1
	s_delay_alu instid0(SALU_CYCLE_1)
	s_or_not1_b32 s17, s2, exec_lo
	s_branch .LBB123_4
.LBB123_3:
	s_mov_b32 s17, -1
.LBB123_4:
	s_clause 0x1
	s_load_b64 s[14:15], s[0:1], 0x40
	s_load_b128 s[8:11], s[0:1], 0x30
	s_mov_b32 s2, 0x3fb8aa3b
	s_mov_b32 s3, 0x32a5705f
	s_waitcnt lgkmcnt(0)
	v_mul_lo_u32 v0, v9, s15
	s_cmp_gt_i32 s8, 0
	s_delay_alu instid0(VALU_DEP_1) | instskip(NEXT) | instid1(VALU_DEP_1)
	v_ashrrev_i32_e32 v1, 31, v0
	v_lshlrev_b64 v[0:1], 1, v[0:1]
	s_delay_alu instid0(VALU_DEP_1) | instskip(NEXT) | instid1(VALU_DEP_2)
	v_add_co_u32 v0, vcc_lo, s4, v0
	v_add_co_ci_u32_e32 v1, vcc_lo, s5, v1, vcc_lo
	global_load_b96 v[1:3], v[0:1], off
	v_mul_lo_u32 v0, v9, s11
	s_waitcnt vmcnt(0)
	v_cvt_f32_f16_e64 v6, -v2
	v_lshrrev_b32_e32 v11, 16, v3
	v_lshrrev_b32_e32 v5, 16, v2
	v_cvt_f32_f16_e64 v10, -v3
	v_add_nc_u32_e32 v4, s8, v0
	v_cmp_ngt_f32_e32 vcc_lo, 0xc2ce8ed0, v6
	v_cvt_f32_f16_e64 v11, -v11
	v_mul_f32_e32 v12, 0x3fb8aa3b, v6
	v_cvt_f32_f16_e64 v13, -v5
	v_mul_f32_e32 v5, 0x3fb8aa3b, v10
	v_lshrrev_b32_e32 v31, 16, v1
	v_mul_f32_e32 v19, 0x3fb8aa3b, v11
	v_fma_mix_f32 v14, -v2, s2, -v12 op_sel_hi:[1,0,0]
	v_rndne_f32_e32 v15, v12
	v_fma_mix_f32 v17, -v3, s2, -v5 op_sel_hi:[1,0,0]
	v_rndne_f32_e32 v18, v5
	v_mul_f32_e32 v16, 0x3fb8aa3b, v13
	v_fma_mix_f32 v14, -v2, s3, v14 op_sel_hi:[1,0,0]
	v_sub_f32_e32 v12, v12, v15
	v_fma_mix_f32 v17, -v3, s3, v17 op_sel_hi:[1,0,0]
	v_sub_f32_e32 v5, v5, v18
	v_fma_mix_f32 v20, -v2, s2, -v16 op_sel:[1,0,0] op_sel_hi:[1,0,0]
	v_rndne_f32_e32 v21, v16
	v_rndne_f32_e32 v23, v19
	v_add_f32_e32 v12, v12, v14
	v_fma_mix_f32 v22, -v3, s2, -v19 op_sel:[1,0,0] op_sel_hi:[1,0,0]
	v_fma_mix_f32 v2, -v2, s3, v20 op_sel:[1,0,0] op_sel_hi:[1,0,0]
	v_sub_f32_e32 v14, v16, v21
	v_dual_add_f32 v16, v5, v17 :: v_dual_sub_f32 v17, v19, v23
	v_exp_f32_e32 v12, v12
	v_fma_mix_f32 v3, -v3, s3, v22 op_sel:[1,0,0] op_sel_hi:[1,0,0]
	s_delay_alu instid0(VALU_DEP_3)
	v_add_f32_e32 v2, v14, v2
	v_ashrrev_i32_e32 v5, 31, v4
	v_exp_f32_e32 v14, v16
	v_cvt_i32_f32_e32 v15, v15
	v_add_f32_e32 v16, v17, v3
	v_exp_f32_e32 v17, v2
	v_lshlrev_b64 v[2:3], 2, v[4:5]
	v_cvt_i32_f32_e32 v4, v18
	v_ldexp_f32 v12, v12, v15
	v_cvt_i32_f32_e32 v15, v21
	v_exp_f32_e32 v5, v16
	v_cvt_i32_f32_e32 v16, v23
	v_ldexp_f32 v4, v14, v4
	v_cndmask_b32_e32 v12, 0, v12, vcc_lo
	v_cmp_ngt_f32_e32 vcc_lo, 0xc2ce8ed0, v10
	v_ldexp_f32 v14, v17, v15
	s_delay_alu instid0(VALU_DEP_4) | instskip(SKIP_1) | instid1(TRANS32_DEP_1)
	v_cndmask_b32_e32 v4, 0, v4, vcc_lo
	v_cmp_nlt_f32_e32 vcc_lo, 0x42b17218, v6
	v_ldexp_f32 v5, v5, v16
	v_cndmask_b32_e32 v6, 0x7f800000, v12, vcc_lo
	v_cmp_ngt_f32_e32 vcc_lo, 0xc2ce8ed0, v13
	v_cndmask_b32_e32 v12, 0, v14, vcc_lo
	v_cmp_nlt_f32_e32 vcc_lo, 0x42b17218, v10
	s_delay_alu instid0(VALU_DEP_4)
	v_add_f32_e32 v14, 1.0, v6
	v_cndmask_b32_e32 v4, 0x7f800000, v4, vcc_lo
	v_cmp_ngt_f32_e32 vcc_lo, 0xc2ce8ed0, v11
	v_cndmask_b32_e32 v5, 0, v5, vcc_lo
	v_cmp_nlt_f32_e32 vcc_lo, 0x42b17218, v13
	v_cndmask_b32_e32 v6, 0x7f800000, v12, vcc_lo
	v_cmp_nlt_f32_e32 vcc_lo, 0x42b17218, v11
	s_delay_alu instid0(VALU_DEP_2) | instskip(SKIP_1) | instid1(VALU_DEP_2)
	v_add_f32_e32 v13, 1.0, v6
	v_cndmask_b32_e32 v5, 0x7f800000, v5, vcc_lo
	v_div_scale_f32 v17, null, v13, v13, 1.0
	v_div_scale_f32 v24, s3, 1.0, v13, 1.0
	s_delay_alu instid0(VALU_DEP_3) | instskip(NEXT) | instid1(VALU_DEP_3)
	v_add_f32_e32 v16, 1.0, v5
	v_rcp_f32_e32 v21, v17
	v_add_co_u32 v5, vcc_lo, s12, v2
	v_add_co_ci_u32_e32 v6, vcc_lo, s13, v3, vcc_lo
	s_delay_alu instid0(VALU_DEP_3) | instskip(SKIP_3) | instid1(VALU_DEP_1)
	v_div_scale_f32 v20, null, v16, v16, 1.0
	s_waitcnt_depctr 0xfff
	v_fma_f32 v23, -v17, v21, 1.0
	v_rcp_f32_e32 v3, v20
	v_fmac_f32_e32 v21, v23, v21
	v_div_scale_f32 v23, s4, 1.0, v16, 1.0
	s_delay_alu instid0(VALU_DEP_2) | instskip(NEXT) | instid1(VALU_DEP_1)
	v_mul_f32_e32 v27, v24, v21
	v_fma_f32 v30, -v17, v27, v24
	s_delay_alu instid0(VALU_DEP_1) | instskip(SKIP_2) | instid1(VALU_DEP_2)
	v_fmac_f32_e32 v27, v30, v21
	v_div_scale_f32 v12, null, v14, v14, 1.0
	v_div_scale_f32 v2, vcc_lo, 1.0, v14, 1.0
	v_rcp_f32_e32 v18, v12
	s_waitcnt_depctr 0xfff
	v_fma_f32 v10, -v12, v18, 1.0
	s_delay_alu instid0(VALU_DEP_1) | instskip(SKIP_1) | instid1(VALU_DEP_2)
	v_fmac_f32_e32 v18, v10, v18
	v_fma_f32 v10, -v20, v3, 1.0
	v_mul_f32_e32 v25, v2, v18
	s_delay_alu instid0(VALU_DEP_2) | instskip(NEXT) | instid1(VALU_DEP_2)
	v_fmac_f32_e32 v3, v10, v3
	v_fma_f32 v10, -v12, v25, v2
	s_delay_alu instid0(VALU_DEP_2) | instskip(NEXT) | instid1(VALU_DEP_2)
	v_mul_f32_e32 v29, v23, v3
	v_dual_fmac_f32 v25, v10, v18 :: v_dual_add_f32 v4, 1.0, v4
	v_cvt_f32_f16_e32 v10, v31
	s_delay_alu instid0(VALU_DEP_2) | instskip(NEXT) | instid1(VALU_DEP_3)
	v_fma_f32 v2, -v12, v25, v2
	v_div_scale_f32 v15, null, v4, v4, 1.0
	v_div_scale_f32 v22, s2, 1.0, v4, 1.0
	s_delay_alu instid0(VALU_DEP_3) | instskip(NEXT) | instid1(VALU_DEP_3)
	v_div_fmas_f32 v2, v2, v18, v25
	v_rcp_f32_e32 v19, v15
	s_mov_b32 vcc_lo, s3
	s_waitcnt_depctr 0xfff
	v_fma_f32 v11, -v15, v19, 1.0
	s_delay_alu instid0(VALU_DEP_1) | instskip(SKIP_1) | instid1(VALU_DEP_2)
	v_fmac_f32_e32 v19, v11, v19
	v_cvt_f32_f16_e32 v11, v1
	v_mul_f32_e32 v26, v22, v19
	s_delay_alu instid0(VALU_DEP_1) | instskip(NEXT) | instid1(VALU_DEP_1)
	v_fma_f32 v28, -v15, v26, v22
	v_fmac_f32_e32 v26, v28, v19
	v_fma_f32 v28, -v20, v29, v23
	s_delay_alu instid0(VALU_DEP_2) | instskip(NEXT) | instid1(VALU_DEP_2)
	v_fma_f32 v12, -v15, v26, v22
	v_fmac_f32_e32 v29, v28, v3
	v_fma_f32 v15, -v17, v27, v24
	s_delay_alu instid0(VALU_DEP_2) | instskip(NEXT) | instid1(VALU_DEP_2)
	v_fma_f32 v17, -v20, v29, v23
	v_div_fmas_f32 v15, v15, v21, v27
	s_mov_b32 vcc_lo, s2
	s_cselect_b32 s2, -1, 0
	v_div_fmas_f32 v18, v12, v19, v26
	s_mov_b32 vcc_lo, s4
	s_cmp_lt_i32 s8, 1
	v_div_fmas_f32 v17, v17, v3, v29
	v_cmp_lt_f16_e32 vcc_lo, v1, v31
	v_div_fixup_f32 v1, v2, v14, 1.0
	v_div_fixup_f32 v2, v15, v13, 1.0
	v_mov_b32_e32 v13, 0
	v_div_fixup_f32 v3, v18, v4, 1.0
	v_cndmask_b32_e32 v12, v11, v10, vcc_lo
	v_div_fixup_f32 v4, v17, v16, 1.0
	global_store_b128 v[5:6], v[1:4], off
	s_cbranch_scc1 .LBB123_8
; %bb.5:
	v_ashrrev_i32_e32 v1, 31, v0
	v_cndmask_b32_e64 v19, 0, 1, vcc_lo
	v_dual_sub_f32 v18, v12, v12 :: v_dual_cndmask_b32 v11, 0xff800000, v11
	s_load_b128 s[4:7], s[0:1], 0x20
	s_delay_alu instid0(VALU_DEP_3) | instskip(NEXT) | instid1(VALU_DEP_3)
	v_lshlrev_b64 v[5:6], 2, v[0:1]
	v_cmp_le_i32_e32 vcc_lo, s9, v19
	v_cmp_gt_i32_e64 s0, s10, v19
	v_subrev_nc_u32_e32 v15, s9, v19
	v_mul_lo_u32 v2, v9, s14
	v_mul_lo_u32 v13, v9, s8
	s_delay_alu instid0(VALU_DEP_4)
	s_and_b32 s0, vcc_lo, s0
	v_add_co_u32 v5, vcc_lo, s12, v5
	v_add_co_ci_u32_e32 v6, vcc_lo, s13, v6, vcc_lo
	s_and_b32 vcc_lo, s17, s0
	v_dual_mul_f32 v3, 0x3fb8aa3b, v18 :: v_dual_cndmask_b32 v20, 2, v15
	s_cmp_eq_u32 s8, 1
	s_delay_alu instid0(VALU_DEP_1) | instskip(SKIP_1) | instid1(VALU_DEP_1)
	v_rndne_f32_e32 v4, v3
	v_fma_f32 v14, 0x3fb8aa3b, v18, -v3
	v_dual_sub_f32 v3, v3, v4 :: v_dual_fmac_f32 v14, 0x32a5705f, v18
	v_cvt_i32_f32_e32 v17, v4
	s_delay_alu instid0(VALU_DEP_2) | instskip(SKIP_2) | instid1(VALU_DEP_3)
	v_add_f32_e32 v1, v3, v14
	v_ashrrev_i32_e32 v3, 31, v2
	v_ashrrev_i32_e32 v14, 31, v13
	v_exp_f32_e32 v16, v1
	s_delay_alu instid0(VALU_DEP_2) | instskip(NEXT) | instid1(VALU_DEP_2)
	v_lshlrev_b64 v[1:2], 2, v[2:3]
	v_lshlrev_b64 v[3:4], 2, v[13:14]
	s_waitcnt lgkmcnt(0)
	s_delay_alu instid0(VALU_DEP_2) | instskip(NEXT) | instid1(VALU_DEP_3)
	v_add_co_u32 v14, vcc_lo, s4, v1
	v_add_co_ci_u32_e32 v15, vcc_lo, s5, v2, vcc_lo
	s_waitcnt_depctr 0xfff
	v_ldexp_f32 v13, v16, v17
	v_cmp_ngt_f32_e32 vcc_lo, 0xc2ce8ed0, v18
	s_delay_alu instid0(VALU_DEP_2) | instskip(SKIP_3) | instid1(VALU_DEP_4)
	v_cndmask_b32_e32 v13, 0, v13, vcc_lo
	v_add_co_u32 v16, vcc_lo, s6, v3
	v_add_co_ci_u32_e32 v17, vcc_lo, s7, v4, vcc_lo
	v_cmp_nlt_f32_e32 vcc_lo, 0x42b17218, v18
	v_cndmask_b32_e32 v13, 0x7f800000, v13, vcc_lo
	v_cmp_ne_u32_e32 vcc_lo, 1, v19
	global_store_b32 v[14:15], v20, off
	global_store_b32 v[5:6], v13, off
	;; [unrolled: 1-line block ×3, first 2 shown]
	v_cndmask_b32_e32 v10, 0xff800000, v10, vcc_lo
	s_cbranch_scc1 .LBB123_8
; %bb.6:
	v_add_co_u32 v3, vcc_lo, v3, s6
	v_add_co_ci_u32_e32 v4, vcc_lo, s7, v4, vcc_lo
	v_add_co_u32 v9, vcc_lo, v1, s4
	v_add_co_ci_u32_e32 v14, vcc_lo, s5, v2, vcc_lo
	s_delay_alu instid0(VALU_DEP_4) | instskip(NEXT) | instid1(VALU_DEP_4)
	v_add_co_u32 v1, vcc_lo, v3, 4
	v_add_co_ci_u32_e32 v2, vcc_lo, 0, v4, vcc_lo
	s_delay_alu instid0(VALU_DEP_4) | instskip(NEXT) | instid1(VALU_DEP_4)
	v_add_co_u32 v3, vcc_lo, v9, 4
	v_add_co_ci_u32_e32 v4, vcc_lo, 0, v14, vcc_lo
	s_add_i32 s18, s18, s16
	v_add_co_u32 v5, vcc_lo, v5, 4
	v_add_co_ci_u32_e32 v6, vcc_lo, 0, v6, vcc_lo
	v_add3_u32 v7, s18, v8, v7
	s_add_i32 s1, s8, -1
.LBB123_7:                              ; =>This Inner Loop Header: Depth=1
	v_cmp_gt_f32_e32 vcc_lo, v10, v11
	s_add_i32 s1, s1, -1
	v_cndmask_b32_e64 v9, 0, 1, vcc_lo
	v_cndmask_b32_e32 v8, v11, v10, vcc_lo
	v_cndmask_b32_e64 v10, v10, 0xff800000, vcc_lo
	v_cndmask_b32_e32 v11, 0xff800000, v11, vcc_lo
	s_delay_alu instid0(VALU_DEP_4) | instskip(SKIP_2) | instid1(VALU_DEP_2)
	v_cmp_le_i32_e32 vcc_lo, s9, v9
	v_cmp_gt_i32_e64 s0, s10, v9
	v_subrev_nc_u32_e32 v9, s9, v9
	s_and_b32 s0, vcc_lo, s0
	s_delay_alu instid0(SALU_CYCLE_1) | instskip(SKIP_1) | instid1(VALU_DEP_1)
	s_and_b32 vcc_lo, s17, s0
	s_cmp_eq_u32 s1, 0
	v_dual_cndmask_b32 v9, 2, v9 :: v_dual_sub_f32 v8, v8, v12
	global_store_b32 v[3:4], v9, off
	global_store_b32 v[1:2], v7, off
	v_dual_mul_f32 v14, 0x3fb8aa3b, v8 :: v_dual_add_nc_u32 v7, s16, v7
	v_add_co_u32 v1, vcc_lo, v1, 4
	v_add_co_ci_u32_e32 v2, vcc_lo, 0, v2, vcc_lo
	s_delay_alu instid0(VALU_DEP_3) | instskip(SKIP_3) | instid1(VALU_DEP_4)
	v_fma_f32 v15, 0x3fb8aa3b, v8, -v14
	v_rndne_f32_e32 v16, v14
	v_add_co_u32 v3, vcc_lo, v3, 4
	v_add_co_ci_u32_e32 v4, vcc_lo, 0, v4, vcc_lo
	v_fmac_f32_e32 v15, 0x32a5705f, v8
	s_delay_alu instid0(VALU_DEP_4) | instskip(SKIP_1) | instid1(VALU_DEP_2)
	v_sub_f32_e32 v14, v14, v16
	v_cvt_i32_f32_e32 v16, v16
	v_add_f32_e32 v9, v14, v15
	v_cmp_ngt_f32_e32 vcc_lo, 0xc2ce8ed0, v8
	s_delay_alu instid0(VALU_DEP_2) | instskip(SKIP_2) | instid1(VALU_DEP_1)
	v_exp_f32_e32 v9, v9
	s_waitcnt_depctr 0xfff
	v_ldexp_f32 v9, v9, v16
	v_cndmask_b32_e32 v9, 0, v9, vcc_lo
	v_cmp_nlt_f32_e32 vcc_lo, 0x42b17218, v8
	s_delay_alu instid0(VALU_DEP_2)
	v_cndmask_b32_e32 v8, 0x7f800000, v9, vcc_lo
	global_store_b32 v[5:6], v8, off
	v_add_co_u32 v5, vcc_lo, v5, 4
	v_add_f32_e32 v13, v13, v8
	v_add_co_ci_u32_e32 v6, vcc_lo, 0, v6, vcc_lo
	s_cbranch_scc0 .LBB123_7
.LBB123_8:
	s_delay_alu instid0(VALU_DEP_1) | instskip(NEXT) | instid1(VALU_DEP_1)
	v_sub_f32_e32 v2, v10, v12
	v_dual_sub_f32 v1, v11, v12 :: v_dual_mul_f32 v4, 0x3fb8aa3b, v2
	s_delay_alu instid0(VALU_DEP_1) | instskip(SKIP_1) | instid1(VALU_DEP_3)
	v_mul_f32_e32 v3, 0x3fb8aa3b, v1
	v_cmp_ngt_f32_e32 vcc_lo, 0xc2ce8ed0, v1
	v_fma_f32 v7, 0x3fb8aa3b, v2, -v4
	s_delay_alu instid0(VALU_DEP_3) | instskip(SKIP_2) | instid1(VALU_DEP_4)
	v_fma_f32 v5, 0x3fb8aa3b, v1, -v3
	v_rndne_f32_e32 v6, v3
	v_rndne_f32_e32 v8, v4
	v_fmac_f32_e32 v7, 0x32a5705f, v2
	s_delay_alu instid0(VALU_DEP_2) | instskip(NEXT) | instid1(VALU_DEP_1)
	v_dual_fmac_f32 v5, 0x32a5705f, v1 :: v_dual_sub_f32 v4, v4, v8
	v_dual_sub_f32 v3, v3, v6 :: v_dual_add_f32 v4, v4, v7
	s_delay_alu instid0(VALU_DEP_1) | instskip(SKIP_2) | instid1(VALU_DEP_4)
	v_add_f32_e32 v3, v3, v5
	v_cvt_i32_f32_e32 v5, v6
	v_cvt_i32_f32_e32 v6, v8
	v_exp_f32_e32 v4, v4
	s_delay_alu instid0(VALU_DEP_3) | instskip(SKIP_3) | instid1(VALU_DEP_1)
	v_exp_f32_e32 v3, v3
	s_waitcnt_depctr 0xfff
	v_ldexp_f32 v4, v4, v6
	v_ldexp_f32 v3, v3, v5
	v_cndmask_b32_e32 v3, 0, v3, vcc_lo
	v_cmp_ngt_f32_e32 vcc_lo, 0xc2ce8ed0, v2
	s_delay_alu instid0(VALU_DEP_4) | instskip(SKIP_1) | instid1(VALU_DEP_4)
	v_cndmask_b32_e32 v4, 0, v4, vcc_lo
	v_cmp_nlt_f32_e32 vcc_lo, 0x42b17218, v1
	v_cndmask_b32_e32 v1, 0x7f800000, v3, vcc_lo
	v_cmp_nlt_f32_e32 vcc_lo, 0x42b17218, v2
	s_delay_alu instid0(VALU_DEP_4) | instskip(NEXT) | instid1(VALU_DEP_1)
	v_cndmask_b32_e32 v2, 0x7f800000, v4, vcc_lo
	v_add_f32_e32 v1, v1, v2
	s_delay_alu instid0(VALU_DEP_1) | instskip(NEXT) | instid1(VALU_DEP_1)
	v_add_f32_e32 v2, v13, v1
	v_cmp_neq_f32_e32 vcc_lo, 0, v2
	s_and_b32 exec_lo, exec_lo, vcc_lo
	s_cbranch_execz .LBB123_12
; %bb.9:
	s_and_not1_b32 vcc_lo, exec_lo, s2
	s_cbranch_vccnz .LBB123_12
; %bb.10:
	v_div_scale_f32 v1, null, v2, v2, 1.0
	v_div_scale_f32 v5, vcc_lo, 1.0, v2, 1.0
	s_delay_alu instid0(VALU_DEP_2) | instskip(SKIP_2) | instid1(VALU_DEP_1)
	v_rcp_f32_e32 v3, v1
	s_waitcnt_depctr 0xfff
	v_fma_f32 v4, -v1, v3, 1.0
	v_fmac_f32_e32 v3, v4, v3
	s_delay_alu instid0(VALU_DEP_1) | instskip(NEXT) | instid1(VALU_DEP_1)
	v_mul_f32_e32 v4, v5, v3
	v_fma_f32 v6, -v1, v4, v5
	s_delay_alu instid0(VALU_DEP_1) | instskip(NEXT) | instid1(VALU_DEP_1)
	v_fmac_f32_e32 v4, v6, v3
	v_fma_f32 v5, -v1, v4, v5
	v_ashrrev_i32_e32 v1, 31, v0
	s_delay_alu instid0(VALU_DEP_2) | instskip(NEXT) | instid1(VALU_DEP_2)
	v_div_fmas_f32 v3, v5, v3, v4
	v_lshlrev_b64 v[0:1], 2, v[0:1]
	s_delay_alu instid0(VALU_DEP_2) | instskip(NEXT) | instid1(VALU_DEP_2)
	v_div_fixup_f32 v2, v3, v2, 1.0
	v_add_co_u32 v0, vcc_lo, s12, v0
	s_delay_alu instid0(VALU_DEP_3)
	v_add_co_ci_u32_e32 v1, vcc_lo, s13, v1, vcc_lo
.LBB123_11:                             ; =>This Inner Loop Header: Depth=1
	global_load_b32 v3, v[0:1], off
	s_add_i32 s8, s8, -1
	s_delay_alu instid0(SALU_CYCLE_1)
	s_cmp_lg_u32 s8, 0
	s_waitcnt vmcnt(0)
	v_mul_f32_e32 v3, v2, v3
	global_store_b32 v[0:1], v3, off
	v_add_co_u32 v0, vcc_lo, v0, 4
	v_add_co_ci_u32_e32 v1, vcc_lo, 0, v1, vcc_lo
	s_cbranch_scc1 .LBB123_11
.LBB123_12:
	s_nop 0
	s_sendmsg sendmsg(MSG_DEALLOC_VGPRS)
	s_endpgm
	.section	.rodata,"a",@progbits
	.p2align	6, 0x0
	.amdhsa_kernel _ZN4vllm3moe17topkGatingSoftmaxIDF16_Li2ELi2ELi8ELi4ELb0ELi4ELNS0_23SharedExpertScoringFuncE1EEEvPKT_PKbPfiPiS9_iiiiii
		.amdhsa_group_segment_fixed_size 0
		.amdhsa_private_segment_fixed_size 0
		.amdhsa_kernarg_size 72
		.amdhsa_user_sgpr_count 15
		.amdhsa_user_sgpr_dispatch_ptr 0
		.amdhsa_user_sgpr_queue_ptr 0
		.amdhsa_user_sgpr_kernarg_segment_ptr 1
		.amdhsa_user_sgpr_dispatch_id 0
		.amdhsa_user_sgpr_private_segment_size 0
		.amdhsa_wavefront_size32 1
		.amdhsa_uses_dynamic_stack 0
		.amdhsa_enable_private_segment 0
		.amdhsa_system_sgpr_workgroup_id_x 1
		.amdhsa_system_sgpr_workgroup_id_y 0
		.amdhsa_system_sgpr_workgroup_id_z 0
		.amdhsa_system_sgpr_workgroup_info 0
		.amdhsa_system_vgpr_workitem_id 1
		.amdhsa_next_free_vgpr 32
		.amdhsa_next_free_sgpr 19
		.amdhsa_reserve_vcc 1
		.amdhsa_float_round_mode_32 0
		.amdhsa_float_round_mode_16_64 0
		.amdhsa_float_denorm_mode_32 3
		.amdhsa_float_denorm_mode_16_64 3
		.amdhsa_dx10_clamp 1
		.amdhsa_ieee_mode 1
		.amdhsa_fp16_overflow 0
		.amdhsa_workgroup_processor_mode 1
		.amdhsa_memory_ordered 1
		.amdhsa_forward_progress 0
		.amdhsa_shared_vgpr_count 0
		.amdhsa_exception_fp_ieee_invalid_op 0
		.amdhsa_exception_fp_denorm_src 0
		.amdhsa_exception_fp_ieee_div_zero 0
		.amdhsa_exception_fp_ieee_overflow 0
		.amdhsa_exception_fp_ieee_underflow 0
		.amdhsa_exception_fp_ieee_inexact 0
		.amdhsa_exception_int_div_zero 0
	.end_amdhsa_kernel
	.section	.text._ZN4vllm3moe17topkGatingSoftmaxIDF16_Li2ELi2ELi8ELi4ELb0ELi4ELNS0_23SharedExpertScoringFuncE1EEEvPKT_PKbPfiPiS9_iiiiii,"axG",@progbits,_ZN4vllm3moe17topkGatingSoftmaxIDF16_Li2ELi2ELi8ELi4ELb0ELi4ELNS0_23SharedExpertScoringFuncE1EEEvPKT_PKbPfiPiS9_iiiiii,comdat
.Lfunc_end123:
	.size	_ZN4vllm3moe17topkGatingSoftmaxIDF16_Li2ELi2ELi8ELi4ELb0ELi4ELNS0_23SharedExpertScoringFuncE1EEEvPKT_PKbPfiPiS9_iiiiii, .Lfunc_end123-_ZN4vllm3moe17topkGatingSoftmaxIDF16_Li2ELi2ELi8ELi4ELb0ELi4ELNS0_23SharedExpertScoringFuncE1EEEvPKT_PKbPfiPiS9_iiiiii
                                        ; -- End function
	.section	.AMDGPU.csdata,"",@progbits
; Kernel info:
; codeLenInByte = 2176
; NumSgprs: 21
; NumVgprs: 32
; ScratchSize: 0
; MemoryBound: 0
; FloatMode: 240
; IeeeMode: 1
; LDSByteSize: 0 bytes/workgroup (compile time only)
; SGPRBlocks: 2
; VGPRBlocks: 3
; NumSGPRsForWavesPerEU: 21
; NumVGPRsForWavesPerEU: 32
; Occupancy: 16
; WaveLimiterHint : 0
; COMPUTE_PGM_RSRC2:SCRATCH_EN: 0
; COMPUTE_PGM_RSRC2:USER_SGPR: 15
; COMPUTE_PGM_RSRC2:TRAP_HANDLER: 0
; COMPUTE_PGM_RSRC2:TGID_X_EN: 1
; COMPUTE_PGM_RSRC2:TGID_Y_EN: 0
; COMPUTE_PGM_RSRC2:TGID_Z_EN: 0
; COMPUTE_PGM_RSRC2:TIDIG_COMP_CNT: 1
	.section	.text._ZN4vllm3moe17topkGatingSoftmaxIDF16_Li2ELi2ELi8ELi4ELb1ELi8ELNS0_23SharedExpertScoringFuncE1EEEvPKT_PKbPfiPiS9_iiiiii,"axG",@progbits,_ZN4vllm3moe17topkGatingSoftmaxIDF16_Li2ELi2ELi8ELi4ELb1ELi8ELNS0_23SharedExpertScoringFuncE1EEEvPKT_PKbPfiPiS9_iiiiii,comdat
	.protected	_ZN4vllm3moe17topkGatingSoftmaxIDF16_Li2ELi2ELi8ELi4ELb1ELi8ELNS0_23SharedExpertScoringFuncE1EEEvPKT_PKbPfiPiS9_iiiiii ; -- Begin function _ZN4vllm3moe17topkGatingSoftmaxIDF16_Li2ELi2ELi8ELi4ELb1ELi8ELNS0_23SharedExpertScoringFuncE1EEEvPKT_PKbPfiPiS9_iiiiii
	.globl	_ZN4vllm3moe17topkGatingSoftmaxIDF16_Li2ELi2ELi8ELi4ELb1ELi8ELNS0_23SharedExpertScoringFuncE1EEEvPKT_PKbPfiPiS9_iiiiii
	.p2align	8
	.type	_ZN4vllm3moe17topkGatingSoftmaxIDF16_Li2ELi2ELi8ELi4ELb1ELi8ELNS0_23SharedExpertScoringFuncE1EEEvPKT_PKbPfiPiS9_iiiiii,@function
_ZN4vllm3moe17topkGatingSoftmaxIDF16_Li2ELi2ELi8ELi4ELb1ELi8ELNS0_23SharedExpertScoringFuncE1EEEvPKT_PKbPfiPiS9_iiiiii: ; @_ZN4vllm3moe17topkGatingSoftmaxIDF16_Li2ELi2ELi8ELi4ELb1ELi8ELNS0_23SharedExpertScoringFuncE1EEEvPKT_PKbPfiPiS9_iiiiii
; %bb.0:
	s_load_b32 s9, s[0:1], 0x18
	v_bfe_u32 v1, v0, 10, 10
	v_and_b32_e32 v8, 0x3ff, v0
	s_lshl_b32 s19, s15, 8
	s_mov_b32 s2, exec_lo
	s_delay_alu instid0(VALU_DEP_2) | instskip(NEXT) | instid1(VALU_DEP_1)
	v_lshlrev_b32_e32 v7, 5, v1
	v_add3_u32 v9, v7, v8, s19
	s_waitcnt lgkmcnt(0)
	s_delay_alu instid0(VALU_DEP_1)
	v_cmpx_gt_i32_e64 s9, v9
	s_cbranch_execz .LBB124_12
; %bb.1:
	s_clause 0x1
	s_load_b128 s[4:7], s[0:1], 0x0
	s_load_b64 s[10:11], s[0:1], 0x10
	s_waitcnt lgkmcnt(0)
	s_cmp_eq_u64 s[6:7], 0
	s_cbranch_scc1 .LBB124_3
; %bb.2:
	v_ashrrev_i32_e32 v1, 31, v9
	v_add_co_u32 v0, vcc_lo, s6, v9
	s_delay_alu instid0(VALU_DEP_2) | instskip(SKIP_3) | instid1(VALU_DEP_1)
	v_add_co_ci_u32_e32 v1, vcc_lo, s7, v1, vcc_lo
	global_load_u8 v0, v[0:1], off
	s_waitcnt vmcnt(0)
	v_and_b32_e32 v0, 1, v0
	v_cmp_eq_u32_e32 vcc_lo, 1, v0
	s_xor_b32 s2, vcc_lo, -1
	s_delay_alu instid0(SALU_CYCLE_1)
	s_or_not1_b32 s18, s2, exec_lo
	s_branch .LBB124_4
.LBB124_3:
	s_mov_b32 s18, -1
.LBB124_4:
	s_clause 0x1
	s_load_b64 s[16:17], s[0:1], 0x40
	s_load_b128 s[12:15], s[0:1], 0x30
	s_mov_b32 s2, 0x3fb8aa3b
	s_mov_b32 s3, 0x32a5705f
	s_waitcnt lgkmcnt(0)
	v_mul_lo_u32 v0, v9, s17
	s_cmp_gt_i32 s12, 0
	s_delay_alu instid0(VALU_DEP_1) | instskip(NEXT) | instid1(VALU_DEP_1)
	v_ashrrev_i32_e32 v1, 31, v0
	v_lshlrev_b64 v[0:1], 1, v[0:1]
	s_delay_alu instid0(VALU_DEP_1) | instskip(NEXT) | instid1(VALU_DEP_2)
	v_add_co_u32 v4, vcc_lo, s4, v0
	v_add_co_ci_u32_e32 v5, vcc_lo, s5, v1, vcc_lo
	s_clause 0x1
	global_load_b128 v[0:3], v[4:5], off
	global_load_b32 v10, v[4:5], off offset:16
	v_mul_lo_u32 v4, v9, s15
	s_waitcnt vmcnt(1)
	v_lshrrev_b32_e32 v12, 16, v2
	v_cvt_f32_f16_e64 v14, -v1
	v_cvt_f32_f16_e64 v15, -v2
	;; [unrolled: 1-line block ×3, first 2 shown]
	s_waitcnt vmcnt(0)
	v_cvt_f32_f16_e64 v18, -v10
	v_cvt_f32_f16_e64 v12, -v12
	v_mul_f32_e32 v19, 0x3fb8aa3b, v14
	v_dual_mul_f32 v20, 0x3fb8aa3b, v15 :: v_dual_add_nc_u32 v5, s12, v4
	v_lshrrev_b32_e32 v11, 16, v1
	v_lshrrev_b32_e32 v13, 16, v3
	v_dual_mul_f32 v21, 0x3fb8aa3b, v16 :: v_dual_mul_f32 v22, 0x3fb8aa3b, v18
	v_mul_f32_e32 v28, 0x3fb8aa3b, v12
	v_fma_mix_f32 v23, -v1, s2, -v19 op_sel_hi:[1,0,0]
	v_rndne_f32_e32 v24, v19
	v_lshrrev_b32_e32 v17, 16, v10
	v_cvt_f32_f16_e64 v11, -v11
	v_cvt_f32_f16_e64 v13, -v13
	v_fma_mix_f32 v26, -v2, s2, -v20 op_sel_hi:[1,0,0]
	v_rndne_f32_e32 v27, v20
	v_fma_mix_f32 v32, -v10, s2, -v22 op_sel_hi:[1,0,0]
	v_rndne_f32_e32 v33, v22
	v_fma_mix_f32 v23, -v1, s3, v23 op_sel_hi:[1,0,0]
	v_sub_f32_e32 v19, v19, v24
	v_cvt_f32_f16_e64 v17, -v17
	v_mul_f32_e32 v25, 0x3fb8aa3b, v11
	v_fma_mix_f32 v29, -v3, s2, -v21 op_sel_hi:[1,0,0]
	v_rndne_f32_e32 v30, v21
	v_dual_mul_f32 v31, 0x3fb8aa3b, v13 :: v_dual_sub_f32 v20, v20, v27
	v_fma_mix_f32 v26, -v2, s3, v26 op_sel_hi:[1,0,0]
	v_fma_mix_f32 v32, -v10, s3, v32 op_sel_hi:[1,0,0]
	v_dual_sub_f32 v22, v22, v33 :: v_dual_add_f32 v19, v19, v23
	v_ashrrev_i32_e32 v6, 31, v5
	s_delay_alu instid0(VALU_DEP_4)
	v_add_f32_e32 v20, v20, v26
	v_mul_f32_e32 v34, 0x3fb8aa3b, v17
	v_rndne_f32_e32 v36, v25
	v_fma_mix_f32 v37, -v2, s2, -v28 op_sel:[1,0,0] op_sel_hi:[1,0,0]
	v_rndne_f32_e32 v38, v28
	v_fma_mix_f32 v29, -v3, s3, v29 op_sel_hi:[1,0,0]
	v_dual_sub_f32 v21, v21, v30 :: v_dual_add_f32 v22, v22, v32
	v_exp_f32_e32 v19, v19
	v_lshlrev_b64 v[5:6], 2, v[5:6]
	v_cvt_i32_f32_e32 v24, v24
	v_rndne_f32_e32 v40, v31
	v_rndne_f32_e32 v42, v34
	v_dual_sub_f32 v23, v25, v36 :: v_dual_sub_f32 v26, v28, v38
	v_fma_mix_f32 v2, -v2, s3, v37 op_sel:[1,0,0] op_sel_hi:[1,0,0]
	s_delay_alu instid0(VALU_DEP_3)
	v_dual_add_f32 v21, v21, v29 :: v_dual_sub_f32 v32, v34, v42
	v_exp_f32_e32 v20, v20
	v_exp_f32_e32 v22, v22
	v_add_co_u32 v5, vcc_lo, s10, v5
	v_add_co_ci_u32_e32 v6, vcc_lo, s11, v6, vcc_lo
	v_fma_mix_f32 v35, -v1, s2, -v25 op_sel:[1,0,0] op_sel_hi:[1,0,0]
	v_cvt_i32_f32_e32 v27, v27
	v_fma_mix_f32 v39, -v3, s2, -v31 op_sel:[1,0,0] op_sel_hi:[1,0,0]
	v_cvt_i32_f32_e32 v33, v33
	v_dual_sub_f32 v29, v31, v40 :: v_dual_add_f32 v2, v26, v2
	v_exp_f32_e32 v21, v21
	v_ldexp_f32 v19, v19, v24
	v_cmp_ngt_f32_e32 vcc_lo, 0xc2ce8ed0, v14
	v_cvt_i32_f32_e32 v30, v30
	v_fma_mix_f32 v41, -v10, s2, -v34 op_sel:[1,0,0] op_sel_hi:[1,0,0]
	v_fma_mix_f32 v1, -v1, s3, v35 op_sel:[1,0,0] op_sel_hi:[1,0,0]
	v_fma_mix_f32 v3, -v3, s3, v39 op_sel:[1,0,0] op_sel_hi:[1,0,0]
	v_exp_f32_e32 v2, v2
	v_ldexp_f32 v20, v20, v27
	v_ldexp_f32 v22, v22, v33
	v_cndmask_b32_e32 v19, 0, v19, vcc_lo
	v_cmp_ngt_f32_e32 vcc_lo, 0xc2ce8ed0, v15
	v_cvt_i32_f32_e32 v28, v38
	v_fma_mix_f32 v10, -v10, s3, v41 op_sel:[1,0,0] op_sel_hi:[1,0,0]
	v_add_f32_e32 v1, v23, v1
	v_dual_add_f32 v3, v29, v3 :: v_dual_cndmask_b32 v20, 0, v20
	v_ldexp_f32 v21, v21, v30
	v_cmp_ngt_f32_e32 vcc_lo, 0xc2ce8ed0, v16
	v_add_f32_e32 v10, v32, v10
	v_exp_f32_e32 v1, v1
	v_ldexp_f32 v2, v2, v28
	v_cvt_i32_f32_e32 v25, v36
	v_cndmask_b32_e32 v21, 0, v21, vcc_lo
	v_cmp_ngt_f32_e32 vcc_lo, 0xc2ce8ed0, v18
	v_exp_f32_e32 v10, v10
	v_cvt_i32_f32_e32 v23, v42
	v_exp_f32_e32 v3, v3
	v_cvt_i32_f32_e32 v31, v40
	v_cndmask_b32_e32 v22, 0, v22, vcc_lo
	v_cmp_nlt_f32_e32 vcc_lo, 0x42b17218, v14
	v_ldexp_f32 v1, v1, v25
	v_cndmask_b32_e32 v14, 0x7f800000, v19, vcc_lo
	v_cmp_ngt_f32_e32 vcc_lo, 0xc2ce8ed0, v11
	s_delay_alu instid0(TRANS32_DEP_2) | instskip(NEXT) | instid1(TRANS32_DEP_1)
	v_ldexp_f32 v10, v10, v23
	v_ldexp_f32 v3, v3, v31
	v_cndmask_b32_e32 v1, 0, v1, vcc_lo
	v_cmp_nlt_f32_e32 vcc_lo, 0x42b17218, v15
	v_cndmask_b32_e32 v15, 0x7f800000, v20, vcc_lo
	v_cmp_ngt_f32_e32 vcc_lo, 0xc2ce8ed0, v12
	v_cndmask_b32_e32 v2, 0, v2, vcc_lo
	v_cmp_nlt_f32_e32 vcc_lo, 0x42b17218, v16
	v_cndmask_b32_e32 v16, 0x7f800000, v21, vcc_lo
	v_cmp_ngt_f32_e32 vcc_lo, 0xc2ce8ed0, v13
	;; [unrolled: 4-line block ×3, first 2 shown]
	v_cndmask_b32_e32 v10, 0, v10, vcc_lo
	v_cmp_nlt_f32_e32 vcc_lo, 0x42b17218, v11
	v_cndmask_b32_e32 v1, 0x7f800000, v1, vcc_lo
	v_cmp_nlt_f32_e32 vcc_lo, 0x42b17218, v12
	s_delay_alu instid0(VALU_DEP_2) | instskip(SKIP_1) | instid1(VALU_DEP_2)
	v_dual_add_f32 v1, 1.0, v1 :: v_dual_add_f32 v14, 1.0, v14
	v_dual_add_f32 v11, 1.0, v15 :: v_dual_add_f32 v16, 1.0, v16
	v_div_scale_f32 v24, null, v1, v1, 1.0
	s_delay_alu instid0(VALU_DEP_3) | instskip(NEXT) | instid1(VALU_DEP_3)
	v_div_scale_f32 v12, null, v14, v14, 1.0
	v_div_scale_f32 v19, null, v16, v16, 1.0
	s_delay_alu instid0(VALU_DEP_4) | instskip(NEXT) | instid1(VALU_DEP_3)
	v_div_scale_f32 v15, null, v11, v11, 1.0
	v_rcp_f32_e32 v23, v12
	s_delay_alu instid0(VALU_DEP_2) | instskip(SKIP_1) | instid1(VALU_DEP_1)
	v_rcp_f32_e32 v29, v19
	v_rcp_f32_e32 v34, v24
	v_rcp_f32_e32 v26, v15
	v_div_scale_f32 v25, s5, 1.0, v1, 1.0
	v_div_scale_f32 v20, s3, 1.0, v16, 1.0
	v_fma_f32 v38, -v12, v23, 1.0
	v_cndmask_b32_e32 v2, 0x7f800000, v2, vcc_lo
	v_cmp_nlt_f32_e32 vcc_lo, 0x42b17218, v13
	s_delay_alu instid0(TRANS32_DEP_3) | instskip(NEXT) | instid1(TRANS32_DEP_1)
	v_fma_f32 v41, -v19, v29, 1.0
	v_fma_f32 v40, -v15, v26, 1.0
	s_delay_alu instid0(VALU_DEP_4)
	v_dual_fmac_f32 v23, v38, v23 :: v_dual_add_f32 v2, 1.0, v2
	v_cndmask_b32_e32 v3, 0x7f800000, v3, vcc_lo
	v_cmp_nlt_f32_e32 vcc_lo, 0x42b17218, v17
	v_fmac_f32_e32 v29, v41, v29
	v_fma_f32 v38, -v24, v34, 1.0
	v_div_scale_f32 v27, null, v2, v2, 1.0
	v_dual_add_f32 v3, 1.0, v3 :: v_dual_add_f32 v18, 1.0, v18
	v_cndmask_b32_e32 v10, 0x7f800000, v10, vcc_lo
	v_div_scale_f32 v13, vcc_lo, 1.0, v14, 1.0
	s_delay_alu instid0(VALU_DEP_3) | instskip(NEXT) | instid1(VALU_DEP_4)
	v_div_scale_f32 v30, null, v3, v3, 1.0
	v_div_scale_f32 v21, null, v18, v18, 1.0
	s_delay_alu instid0(VALU_DEP_3) | instskip(NEXT) | instid1(VALU_DEP_3)
	v_dual_add_f32 v10, 1.0, v10 :: v_dual_mul_f32 v43, v13, v23
	v_rcp_f32_e32 v37, v30
	s_delay_alu instid0(VALU_DEP_2) | instskip(SKIP_1) | instid1(VALU_DEP_1)
	v_rcp_f32_e32 v32, v21
	v_rcp_f32_e32 v36, v27
	v_div_scale_f32 v33, null, v10, v10, 1.0
	v_div_scale_f32 v22, s4, 1.0, v18, 1.0
	v_div_scale_f32 v17, s2, 1.0, v11, 1.0
	s_delay_alu instid0(VALU_DEP_3) | instskip(SKIP_1) | instid1(TRANS32_DEP_3)
	v_rcp_f32_e32 v39, v33
	v_fma_f32 v41, -v30, v37, 1.0
	v_fma_f32 v42, -v21, v32, 1.0
	v_fmac_f32_e32 v26, v40, v26
	s_delay_alu instid0(TRANS32_DEP_2) | instskip(SKIP_1) | instid1(VALU_DEP_4)
	v_fma_f32 v40, -v27, v36, 1.0
	v_div_scale_f32 v28, s6, 1.0, v2, 1.0
	v_dual_fmac_f32 v37, v41, v37 :: v_dual_fmac_f32 v32, v42, v32
	v_div_scale_f32 v31, s7, 1.0, v3, 1.0
	s_delay_alu instid0(TRANS32_DEP_1) | instskip(SKIP_1) | instid1(VALU_DEP_3)
	v_fma_f32 v42, -v33, v39, 1.0
	v_div_scale_f32 v35, s8, 1.0, v10, 1.0
	v_dual_mul_f32 v41, v22, v32 :: v_dual_mul_f32 v48, v31, v37
	s_delay_alu instid0(VALU_DEP_3) | instskip(SKIP_2) | instid1(VALU_DEP_4)
	v_fmac_f32_e32 v39, v42, v39
	v_fma_f32 v42, -v12, v43, v13
	v_fmac_f32_e32 v36, v40, v36
	v_fma_f32 v49, -v21, v41, v22
	v_fmac_f32_e32 v34, v38, v34
	v_mul_f32_e32 v38, v17, v26
	v_dual_mul_f32 v40, v20, v29 :: v_dual_fmac_f32 v43, v42, v23
	s_delay_alu instid0(VALU_DEP_4) | instskip(NEXT) | instid1(VALU_DEP_4)
	v_fmac_f32_e32 v41, v49, v32
	v_mul_f32_e32 v44, v25, v34
	s_delay_alu instid0(VALU_DEP_4)
	v_fma_f32 v45, -v15, v38, v17
	v_mul_f32_e32 v46, v28, v36
	v_fma_f32 v47, -v19, v40, v20
	v_fma_f32 v12, -v12, v43, v13
	;; [unrolled: 1-line block ×3, first 2 shown]
	v_fmac_f32_e32 v38, v45, v26
	v_fma_f32 v45, -v27, v46, v28
	v_fmac_f32_e32 v40, v47, v29
	v_mul_f32_e32 v50, v35, v39
	v_fmac_f32_e32 v44, v42, v34
	v_fma_f32 v47, -v30, v48, v31
	v_fmac_f32_e32 v46, v45, v36
	v_fma_f32 v13, -v15, v38, v17
	v_fma_f32 v15, -v19, v40, v20
	v_div_fmas_f32 v12, v12, v23, v43
	v_fma_f32 v19, -v24, v44, v25
	v_fma_f32 v49, -v33, v50, v35
	v_fmac_f32_e32 v48, v47, v37
	s_mov_b32 vcc_lo, s5
	v_fma_f32 v20, -v27, v46, v28
	v_div_fixup_f32 v12, v12, v14, 1.0
	v_div_fmas_f32 v14, v19, v34, v44
	s_mov_b32 vcc_lo, s2
	v_fmac_f32_e32 v50, v49, v39
	v_div_fmas_f32 v19, v13, v26, v38
	s_mov_b32 vcc_lo, s6
	v_fma_f32 v17, -v21, v41, v22
	v_fma_f32 v21, -v30, v48, v31
	v_div_fmas_f32 v20, v20, v36, v46
	s_mov_b32 vcc_lo, s3
	v_div_fixup_f32 v13, v14, v1, 1.0
	v_div_fmas_f32 v1, v15, v29, v40
	s_mov_b32 vcc_lo, s7
	v_fma_f32 v22, -v33, v50, v35
	v_div_fixup_f32 v14, v19, v11, 1.0
	v_div_fmas_f32 v11, v21, v37, v48
	s_mov_b32 vcc_lo, s4
	v_div_fixup_f32 v15, v20, v2, 1.0
	v_div_fmas_f32 v19, v17, v32, v41
	s_mov_b32 vcc_lo, s8
	v_div_fixup_f32 v17, v11, v3, 1.0
	v_div_fmas_f32 v21, v22, v39, v50
	v_mov_b32_e32 v11, 0
	v_div_fixup_f32 v16, v1, v16, 1.0
	v_div_fixup_f32 v18, v19, v18, 1.0
	s_cselect_b32 s2, -1, 0
	v_div_fixup_f32 v19, v21, v10, 1.0
	s_cmp_lt_i32 s12, 1
	s_clause 0x1
	global_store_b128 v[5:6], v[12:15], off
	global_store_b128 v[5:6], v[16:19], off offset:16
	s_cbranch_scc1 .LBB124_8
; %bb.5:
	v_lshrrev_b32_e32 v1, 16, v0
	v_cvt_f32_f16_e32 v13, v0
	v_ashrrev_i32_e32 v5, 31, v4
	s_load_b128 s[4:7], s[0:1], 0x20
	v_mul_lo_u32 v2, v9, s12
	v_cvt_f32_f16_e32 v12, v1
	v_cmp_lt_f16_e32 vcc_lo, v0, v1
	v_mul_lo_u32 v0, v9, s16
	v_lshlrev_b64 v[5:6], 2, v[4:5]
	s_delay_alu instid0(VALU_DEP_4) | instskip(NEXT) | instid1(VALU_DEP_2)
	v_cndmask_b32_e32 v10, v13, v12, vcc_lo
	v_add_co_u32 v5, s0, s10, v5
	s_delay_alu instid0(VALU_DEP_2) | instskip(NEXT) | instid1(VALU_DEP_4)
	v_sub_f32_e32 v11, v10, v10
	v_add_co_ci_u32_e64 v6, s0, s11, v6, s0
	s_delay_alu instid0(VALU_DEP_2) | instskip(NEXT) | instid1(VALU_DEP_1)
	v_mul_f32_e32 v1, 0x3fb8aa3b, v11
	v_fma_f32 v3, 0x3fb8aa3b, v11, -v1
	v_rndne_f32_e32 v15, v1
	s_delay_alu instid0(VALU_DEP_2) | instskip(NEXT) | instid1(VALU_DEP_2)
	v_fmac_f32_e32 v3, 0x32a5705f, v11
	v_sub_f32_e32 v1, v1, v15
	v_cvt_i32_f32_e32 v15, v15
	s_delay_alu instid0(VALU_DEP_2) | instskip(SKIP_2) | instid1(VALU_DEP_3)
	v_add_f32_e32 v14, v1, v3
	v_ashrrev_i32_e32 v1, 31, v0
	v_ashrrev_i32_e32 v3, 31, v2
	v_exp_f32_e32 v16, v14
	v_cndmask_b32_e64 v14, 0, 1, vcc_lo
	s_delay_alu instid0(VALU_DEP_3) | instskip(NEXT) | instid1(VALU_DEP_3)
	v_lshlrev_b64 v[0:1], 2, v[0:1]
	v_lshlrev_b64 v[2:3], 2, v[2:3]
	s_delay_alu instid0(VALU_DEP_3) | instskip(SKIP_2) | instid1(TRANS32_DEP_1)
	v_cmp_le_i32_e64 s0, s13, v14
	v_cmp_gt_i32_e64 s1, s14, v14
	v_subrev_nc_u32_e32 v17, s13, v14
	v_ldexp_f32 v15, v16, v15
	s_delay_alu instid0(VALU_DEP_3) | instskip(SKIP_1) | instid1(VALU_DEP_1)
	s_and_b32 s1, s0, s1
	v_cmp_ngt_f32_e64 s0, 0xc2ce8ed0, v11
	v_cndmask_b32_e64 v18, 0, v15, s0
	s_waitcnt lgkmcnt(0)
	v_add_co_u32 v15, s0, s4, v0
	s_delay_alu instid0(VALU_DEP_1) | instskip(SKIP_4) | instid1(VALU_DEP_1)
	v_add_co_ci_u32_e64 v16, s0, s5, v1, s0
	s_and_b32 s0, s18, s1
	s_cmp_eq_u32 s12, 1
	v_cndmask_b32_e64 v19, 2, v17, s0
	v_cmp_nlt_f32_e64 s0, 0x42b17218, v11
	v_cndmask_b32_e64 v11, 0x7f800000, v18, s0
	v_add_co_u32 v17, s0, s6, v2
	s_delay_alu instid0(VALU_DEP_1)
	v_add_co_ci_u32_e64 v18, s0, s7, v3, s0
	global_store_b32 v[15:16], v19, off
	global_store_b32 v[5:6], v11, off
	;; [unrolled: 1-line block ×3, first 2 shown]
	s_cbranch_scc1 .LBB124_8
; %bb.6:
	v_cndmask_b32_e32 v9, 0xff800000, v13, vcc_lo
	v_cmp_ne_u32_e32 vcc_lo, 1, v14
	s_add_i32 s19, s19, s9
	s_add_i32 s1, s12, -1
	v_add3_u32 v7, s19, v8, v7
	v_cndmask_b32_e32 v12, 0xff800000, v12, vcc_lo
	v_add_co_u32 v2, vcc_lo, v2, s6
	v_add_co_ci_u32_e32 v3, vcc_lo, s7, v3, vcc_lo
	v_add_co_u32 v13, vcc_lo, v0, s4
	v_add_co_ci_u32_e32 v14, vcc_lo, s5, v1, vcc_lo
	s_delay_alu instid0(VALU_DEP_4) | instskip(NEXT) | instid1(VALU_DEP_4)
	v_add_co_u32 v0, vcc_lo, v2, 4
	v_add_co_ci_u32_e32 v1, vcc_lo, 0, v3, vcc_lo
	s_delay_alu instid0(VALU_DEP_4) | instskip(NEXT) | instid1(VALU_DEP_4)
	v_add_co_u32 v2, vcc_lo, v13, 4
	v_add_co_ci_u32_e32 v3, vcc_lo, 0, v14, vcc_lo
	v_add_co_u32 v5, vcc_lo, v5, 4
	v_add_co_ci_u32_e32 v6, vcc_lo, 0, v6, vcc_lo
.LBB124_7:                              ; =>This Inner Loop Header: Depth=1
	v_cmp_gt_f32_e32 vcc_lo, v12, v9
	s_add_i32 s1, s1, -1
	v_cndmask_b32_e64 v13, 0, 1, vcc_lo
	v_cndmask_b32_e32 v8, v9, v12, vcc_lo
	v_cndmask_b32_e64 v12, v12, 0xff800000, vcc_lo
	v_cndmask_b32_e32 v9, 0xff800000, v9, vcc_lo
	s_delay_alu instid0(VALU_DEP_4) | instskip(SKIP_2) | instid1(VALU_DEP_2)
	v_cmp_le_i32_e32 vcc_lo, s13, v13
	v_cmp_gt_i32_e64 s0, s14, v13
	v_subrev_nc_u32_e32 v13, s13, v13
	s_and_b32 s0, vcc_lo, s0
	s_delay_alu instid0(SALU_CYCLE_1) | instskip(SKIP_1) | instid1(VALU_DEP_1)
	s_and_b32 vcc_lo, s18, s0
	s_cmp_eq_u32 s1, 0
	v_dual_cndmask_b32 v13, 2, v13 :: v_dual_sub_f32 v8, v8, v10
	global_store_b32 v[2:3], v13, off
	global_store_b32 v[0:1], v7, off
	v_dual_mul_f32 v14, 0x3fb8aa3b, v8 :: v_dual_add_nc_u32 v7, s9, v7
	v_add_co_u32 v0, vcc_lo, v0, 4
	v_add_co_ci_u32_e32 v1, vcc_lo, 0, v1, vcc_lo
	s_delay_alu instid0(VALU_DEP_3) | instskip(SKIP_3) | instid1(VALU_DEP_4)
	v_fma_f32 v15, 0x3fb8aa3b, v8, -v14
	v_rndne_f32_e32 v16, v14
	v_add_co_u32 v2, vcc_lo, v2, 4
	v_add_co_ci_u32_e32 v3, vcc_lo, 0, v3, vcc_lo
	v_fmac_f32_e32 v15, 0x32a5705f, v8
	s_delay_alu instid0(VALU_DEP_4) | instskip(SKIP_1) | instid1(VALU_DEP_2)
	v_sub_f32_e32 v14, v14, v16
	v_cvt_i32_f32_e32 v16, v16
	v_add_f32_e32 v13, v14, v15
	v_cmp_ngt_f32_e32 vcc_lo, 0xc2ce8ed0, v8
	s_delay_alu instid0(VALU_DEP_2) | instskip(SKIP_2) | instid1(VALU_DEP_1)
	v_exp_f32_e32 v13, v13
	s_waitcnt_depctr 0xfff
	v_ldexp_f32 v13, v13, v16
	v_cndmask_b32_e32 v13, 0, v13, vcc_lo
	v_cmp_nlt_f32_e32 vcc_lo, 0x42b17218, v8
	s_delay_alu instid0(VALU_DEP_2)
	v_cndmask_b32_e32 v8, 0x7f800000, v13, vcc_lo
	global_store_b32 v[5:6], v8, off
	v_add_co_u32 v5, vcc_lo, v5, 4
	v_add_f32_e32 v11, v11, v8
	v_add_co_ci_u32_e32 v6, vcc_lo, 0, v6, vcc_lo
	s_cbranch_scc0 .LBB124_7
.LBB124_8:
	s_delay_alu instid0(VALU_DEP_2)
	v_cmp_neq_f32_e32 vcc_lo, 0, v11
	s_and_b32 exec_lo, exec_lo, vcc_lo
	s_cbranch_execz .LBB124_12
; %bb.9:
	s_and_not1_b32 vcc_lo, exec_lo, s2
	s_cbranch_vccnz .LBB124_12
; %bb.10:
	v_div_scale_f32 v0, null, v11, v11, 1.0
	v_div_scale_f32 v3, vcc_lo, 1.0, v11, 1.0
	s_delay_alu instid0(VALU_DEP_2) | instskip(SKIP_2) | instid1(VALU_DEP_1)
	v_rcp_f32_e32 v1, v0
	s_waitcnt_depctr 0xfff
	v_fma_f32 v2, -v0, v1, 1.0
	v_fmac_f32_e32 v1, v2, v1
	s_delay_alu instid0(VALU_DEP_1) | instskip(NEXT) | instid1(VALU_DEP_1)
	v_mul_f32_e32 v2, v3, v1
	v_fma_f32 v5, -v0, v2, v3
	s_delay_alu instid0(VALU_DEP_1) | instskip(SKIP_1) | instid1(VALU_DEP_2)
	v_fmac_f32_e32 v2, v5, v1
	v_ashrrev_i32_e32 v5, 31, v4
	v_fma_f32 v0, -v0, v2, v3
	s_delay_alu instid0(VALU_DEP_1) | instskip(NEXT) | instid1(VALU_DEP_3)
	v_div_fmas_f32 v2, v0, v1, v2
	v_lshlrev_b64 v[0:1], 2, v[4:5]
	s_delay_alu instid0(VALU_DEP_2) | instskip(NEXT) | instid1(VALU_DEP_2)
	v_div_fixup_f32 v2, v2, v11, 1.0
	v_add_co_u32 v0, vcc_lo, s10, v0
	s_delay_alu instid0(VALU_DEP_3)
	v_add_co_ci_u32_e32 v1, vcc_lo, s11, v1, vcc_lo
.LBB124_11:                             ; =>This Inner Loop Header: Depth=1
	global_load_b32 v3, v[0:1], off
	s_add_i32 s12, s12, -1
	s_delay_alu instid0(SALU_CYCLE_1)
	s_cmp_lg_u32 s12, 0
	s_waitcnt vmcnt(0)
	v_mul_f32_e32 v3, v2, v3
	global_store_b32 v[0:1], v3, off
	v_add_co_u32 v0, vcc_lo, v0, 4
	v_add_co_ci_u32_e32 v1, vcc_lo, 0, v1, vcc_lo
	s_cbranch_scc1 .LBB124_11
.LBB124_12:
	s_nop 0
	s_sendmsg sendmsg(MSG_DEALLOC_VGPRS)
	s_endpgm
	.section	.rodata,"a",@progbits
	.p2align	6, 0x0
	.amdhsa_kernel _ZN4vllm3moe17topkGatingSoftmaxIDF16_Li2ELi2ELi8ELi4ELb1ELi8ELNS0_23SharedExpertScoringFuncE1EEEvPKT_PKbPfiPiS9_iiiiii
		.amdhsa_group_segment_fixed_size 0
		.amdhsa_private_segment_fixed_size 0
		.amdhsa_kernarg_size 72
		.amdhsa_user_sgpr_count 15
		.amdhsa_user_sgpr_dispatch_ptr 0
		.amdhsa_user_sgpr_queue_ptr 0
		.amdhsa_user_sgpr_kernarg_segment_ptr 1
		.amdhsa_user_sgpr_dispatch_id 0
		.amdhsa_user_sgpr_private_segment_size 0
		.amdhsa_wavefront_size32 1
		.amdhsa_uses_dynamic_stack 0
		.amdhsa_enable_private_segment 0
		.amdhsa_system_sgpr_workgroup_id_x 1
		.amdhsa_system_sgpr_workgroup_id_y 0
		.amdhsa_system_sgpr_workgroup_id_z 0
		.amdhsa_system_sgpr_workgroup_info 0
		.amdhsa_system_vgpr_workitem_id 1
		.amdhsa_next_free_vgpr 51
		.amdhsa_next_free_sgpr 20
		.amdhsa_reserve_vcc 1
		.amdhsa_float_round_mode_32 0
		.amdhsa_float_round_mode_16_64 0
		.amdhsa_float_denorm_mode_32 3
		.amdhsa_float_denorm_mode_16_64 3
		.amdhsa_dx10_clamp 1
		.amdhsa_ieee_mode 1
		.amdhsa_fp16_overflow 0
		.amdhsa_workgroup_processor_mode 1
		.amdhsa_memory_ordered 1
		.amdhsa_forward_progress 0
		.amdhsa_shared_vgpr_count 0
		.amdhsa_exception_fp_ieee_invalid_op 0
		.amdhsa_exception_fp_denorm_src 0
		.amdhsa_exception_fp_ieee_div_zero 0
		.amdhsa_exception_fp_ieee_overflow 0
		.amdhsa_exception_fp_ieee_underflow 0
		.amdhsa_exception_fp_ieee_inexact 0
		.amdhsa_exception_int_div_zero 0
	.end_amdhsa_kernel
	.section	.text._ZN4vllm3moe17topkGatingSoftmaxIDF16_Li2ELi2ELi8ELi4ELb1ELi8ELNS0_23SharedExpertScoringFuncE1EEEvPKT_PKbPfiPiS9_iiiiii,"axG",@progbits,_ZN4vllm3moe17topkGatingSoftmaxIDF16_Li2ELi2ELi8ELi4ELb1ELi8ELNS0_23SharedExpertScoringFuncE1EEEvPKT_PKbPfiPiS9_iiiiii,comdat
.Lfunc_end124:
	.size	_ZN4vllm3moe17topkGatingSoftmaxIDF16_Li2ELi2ELi8ELi4ELb1ELi8ELNS0_23SharedExpertScoringFuncE1EEEvPKT_PKbPfiPiS9_iiiiii, .Lfunc_end124-_ZN4vllm3moe17topkGatingSoftmaxIDF16_Li2ELi2ELi8ELi4ELb1ELi8ELNS0_23SharedExpertScoringFuncE1EEEvPKT_PKbPfiPiS9_iiiiii
                                        ; -- End function
	.section	.AMDGPU.csdata,"",@progbits
; Kernel info:
; codeLenInByte = 2696
; NumSgprs: 22
; NumVgprs: 51
; ScratchSize: 0
; MemoryBound: 0
; FloatMode: 240
; IeeeMode: 1
; LDSByteSize: 0 bytes/workgroup (compile time only)
; SGPRBlocks: 2
; VGPRBlocks: 6
; NumSGPRsForWavesPerEU: 22
; NumVGPRsForWavesPerEU: 51
; Occupancy: 16
; WaveLimiterHint : 0
; COMPUTE_PGM_RSRC2:SCRATCH_EN: 0
; COMPUTE_PGM_RSRC2:USER_SGPR: 15
; COMPUTE_PGM_RSRC2:TRAP_HANDLER: 0
; COMPUTE_PGM_RSRC2:TGID_X_EN: 1
; COMPUTE_PGM_RSRC2:TGID_Y_EN: 0
; COMPUTE_PGM_RSRC2:TGID_Z_EN: 0
; COMPUTE_PGM_RSRC2:TIDIG_COMP_CNT: 1
	.section	.text._ZN4vllm3moe17topkGatingSoftmaxIDF16_Li2ELi2ELi8ELi4ELb0ELi8ELNS0_23SharedExpertScoringFuncE1EEEvPKT_PKbPfiPiS9_iiiiii,"axG",@progbits,_ZN4vllm3moe17topkGatingSoftmaxIDF16_Li2ELi2ELi8ELi4ELb0ELi8ELNS0_23SharedExpertScoringFuncE1EEEvPKT_PKbPfiPiS9_iiiiii,comdat
	.protected	_ZN4vllm3moe17topkGatingSoftmaxIDF16_Li2ELi2ELi8ELi4ELb0ELi8ELNS0_23SharedExpertScoringFuncE1EEEvPKT_PKbPfiPiS9_iiiiii ; -- Begin function _ZN4vllm3moe17topkGatingSoftmaxIDF16_Li2ELi2ELi8ELi4ELb0ELi8ELNS0_23SharedExpertScoringFuncE1EEEvPKT_PKbPfiPiS9_iiiiii
	.globl	_ZN4vllm3moe17topkGatingSoftmaxIDF16_Li2ELi2ELi8ELi4ELb0ELi8ELNS0_23SharedExpertScoringFuncE1EEEvPKT_PKbPfiPiS9_iiiiii
	.p2align	8
	.type	_ZN4vllm3moe17topkGatingSoftmaxIDF16_Li2ELi2ELi8ELi4ELb0ELi8ELNS0_23SharedExpertScoringFuncE1EEEvPKT_PKbPfiPiS9_iiiiii,@function
_ZN4vllm3moe17topkGatingSoftmaxIDF16_Li2ELi2ELi8ELi4ELb0ELi8ELNS0_23SharedExpertScoringFuncE1EEEvPKT_PKbPfiPiS9_iiiiii: ; @_ZN4vllm3moe17topkGatingSoftmaxIDF16_Li2ELi2ELi8ELi4ELb0ELi8ELNS0_23SharedExpertScoringFuncE1EEEvPKT_PKbPfiPiS9_iiiiii
; %bb.0:
	s_load_b32 s18, s[0:1], 0x18
	v_bfe_u32 v1, v0, 10, 10
	v_and_b32_e32 v8, 0x3ff, v0
	s_lshl_b32 s20, s15, 8
	s_mov_b32 s2, exec_lo
	s_delay_alu instid0(VALU_DEP_2) | instskip(NEXT) | instid1(VALU_DEP_1)
	v_lshlrev_b32_e32 v7, 5, v1
	v_add3_u32 v9, v7, v8, s20
	s_waitcnt lgkmcnt(0)
	s_delay_alu instid0(VALU_DEP_1)
	v_cmpx_gt_i32_e64 s18, v9
	s_cbranch_execz .LBB125_12
; %bb.1:
	s_clause 0x1
	s_load_b128 s[4:7], s[0:1], 0x0
	s_load_b64 s[10:11], s[0:1], 0x10
	s_waitcnt lgkmcnt(0)
	s_cmp_eq_u64 s[6:7], 0
	s_cbranch_scc1 .LBB125_3
; %bb.2:
	v_ashrrev_i32_e32 v1, 31, v9
	v_add_co_u32 v0, vcc_lo, s6, v9
	s_delay_alu instid0(VALU_DEP_2) | instskip(SKIP_3) | instid1(VALU_DEP_1)
	v_add_co_ci_u32_e32 v1, vcc_lo, s7, v1, vcc_lo
	global_load_u8 v0, v[0:1], off
	s_waitcnt vmcnt(0)
	v_and_b32_e32 v0, 1, v0
	v_cmp_eq_u32_e32 vcc_lo, 1, v0
	s_xor_b32 s2, vcc_lo, -1
	s_delay_alu instid0(SALU_CYCLE_1)
	s_or_not1_b32 s19, s2, exec_lo
	s_branch .LBB125_4
.LBB125_3:
	s_mov_b32 s19, -1
.LBB125_4:
	s_clause 0x1
	s_load_b64 s[16:17], s[0:1], 0x40
	s_load_b128 s[12:15], s[0:1], 0x30
	s_mov_b32 s3, 0x3fb8aa3b
	s_waitcnt lgkmcnt(0)
	v_mul_lo_u32 v0, v9, s17
	s_cmp_gt_i32 s12, 0
	s_delay_alu instid0(VALU_DEP_1) | instskip(NEXT) | instid1(VALU_DEP_1)
	v_ashrrev_i32_e32 v1, 31, v0
	v_lshlrev_b64 v[0:1], 1, v[0:1]
	s_delay_alu instid0(VALU_DEP_1) | instskip(NEXT) | instid1(VALU_DEP_2)
	v_add_co_u32 v5, vcc_lo, s4, v0
	v_add_co_ci_u32_e32 v6, vcc_lo, s5, v1, vcc_lo
	v_mul_lo_u32 v0, v9, s15
	s_mov_b32 s4, 0x32a5705f
	s_clause 0x1
	global_load_b128 v[1:4], v[5:6], off
	global_load_b32 v13, v[5:6], off offset:16
	s_waitcnt vmcnt(1)
	v_cvt_f32_f16_e64 v17, -v2
	v_cvt_f32_f16_e64 v18, -v3
	;; [unrolled: 1-line block ×3, first 2 shown]
	v_add_nc_u32_e32 v5, s12, v0
	v_lshrrev_b32_e32 v12, 16, v2
	v_mul_f32_e32 v22, 0x3fb8aa3b, v17
	s_waitcnt vmcnt(0)
	v_lshrrev_b32_e32 v20, 16, v13
	v_dual_mul_f32 v24, 0x3fb8aa3b, v18 :: v_dual_mul_f32 v25, 0x3fb8aa3b, v19
	v_lshrrev_b32_e32 v16, 16, v1
	v_cvt_f32_f16_e64 v21, -v13
	v_cvt_f32_f16_e64 v23, -v12
	;; [unrolled: 1-line block ×3, first 2 shown]
	v_fma_mix_f32 v27, -v2, s3, -v22 op_sel_hi:[1,0,0]
	v_rndne_f32_e32 v28, v22
	v_fma_mix_f32 v33, -v4, s3, -v25 op_sel_hi:[1,0,0]
	v_rndne_f32_e32 v34, v25
	v_lshrrev_b32_e32 v14, 16, v3
	v_cvt_f32_f16_e32 v11, v1
	v_cvt_f32_f16_e32 v10, v16
	v_dual_mul_f32 v26, 0x3fb8aa3b, v21 :: v_dual_mul_f32 v29, 0x3fb8aa3b, v23
	v_dual_mul_f32 v38, 0x3fb8aa3b, v20 :: v_dual_sub_f32 v25, v25, v34
	v_cmp_lt_f16_e64 s2, v1, v16
	v_fma_mix_f32 v1, -v2, s4, v27 op_sel_hi:[1,0,0]
	v_fma_mix_f32 v33, -v4, s4, v33 op_sel_hi:[1,0,0]
	v_sub_f32_e32 v16, v22, v28
	v_lshrrev_b32_e32 v15, 16, v4
	v_cvt_f32_f16_e64 v14, -v14
	v_cvt_i32_f32_e32 v22, v28
	v_add_f32_e32 v25, v25, v33
	v_rndne_f32_e32 v28, v29
	v_add_f32_e32 v1, v16, v1
	v_ashrrev_i32_e32 v6, 31, v5
	v_cvt_f32_f16_e64 v15, -v15
	v_mul_f32_e32 v32, 0x3fb8aa3b, v14
	v_sub_f32_e32 v16, v29, v28
	v_exp_f32_e32 v1, v1
	v_lshlrev_b64 v[5:6], 2, v[5:6]
	v_mul_f32_e32 v35, 0x3fb8aa3b, v15
	v_fma_mix_f32 v30, -v3, s3, -v24 op_sel_hi:[1,0,0]
	v_fma_mix_f32 v27, -v2, s3, -v29 op_sel:[1,0,0] op_sel_hi:[1,0,0]
	v_fma_mix_f32 v39, -v3, s3, -v32 op_sel:[1,0,0] op_sel_hi:[1,0,0]
	v_rndne_f32_e32 v40, v32
	v_add_co_u32 v5, vcc_lo, s10, v5
	v_add_co_ci_u32_e32 v6, vcc_lo, s11, v6, vcc_lo
	v_rndne_f32_e32 v31, v24
	v_rndne_f32_e32 v37, v26
	v_fma_mix_f32 v30, -v3, s4, v30 op_sel_hi:[1,0,0]
	v_fma_mix_f32 v2, -v2, s4, v27 op_sel:[1,0,0] op_sel_hi:[1,0,0]
	v_cvt_i32_f32_e32 v27, v28
	v_fma_mix_f32 v3, -v3, s4, v39 op_sel:[1,0,0] op_sel_hi:[1,0,0]
	v_ldexp_f32 v1, v1, v22
	v_cmp_ngt_f32_e32 vcc_lo, 0xc2ce8ed0, v17
	v_sub_f32_e32 v28, v32, v40
	v_fma_mix_f32 v36, -v13, s3, -v26 op_sel_hi:[1,0,0]
	v_fma_mix_f32 v43, -v13, s3, -v38 op_sel:[1,0,0] op_sel_hi:[1,0,0]
	v_rndne_f32_e32 v44, v38
	v_dual_cndmask_b32 v1, 0, v1 :: v_dual_sub_f32 v24, v24, v31
	v_dual_sub_f32 v26, v26, v37 :: v_dual_add_f32 v3, v28, v3
	v_fma_mix_f32 v36, -v13, s4, v36 op_sel_hi:[1,0,0]
	v_fma_mix_f32 v13, -v13, s4, v43 op_sel:[1,0,0] op_sel_hi:[1,0,0]
	s_delay_alu instid0(VALU_DEP_4) | instskip(NEXT) | instid1(VALU_DEP_4)
	v_dual_sub_f32 v33, v38, v44 :: v_dual_add_f32 v24, v24, v30
	v_exp_f32_e32 v3, v3
	v_cvt_i32_f32_e32 v29, v40
	s_delay_alu instid0(VALU_DEP_2) | instskip(NEXT) | instid1(VALU_DEP_3)
	v_dual_add_f32 v2, v16, v2 :: v_dual_add_f32 v13, v33, v13
	v_exp_f32_e32 v16, v24
	v_cvt_i32_f32_e32 v31, v31
	v_exp_f32_e32 v24, v25
	v_cvt_i32_f32_e32 v34, v34
	v_cmp_ngt_f32_e32 vcc_lo, 0xc2ce8ed0, v18
	v_cvt_i32_f32_e32 v37, v37
	s_delay_alu instid0(TRANS32_DEP_3)
	v_ldexp_f32 v3, v3, v29
	v_add_f32_e32 v26, v26, v36
	v_exp_f32_e32 v2, v2
	v_rndne_f32_e32 v42, v35
	v_ldexp_f32 v16, v16, v31
	v_fma_mix_f32 v41, -v4, s3, -v35 op_sel:[1,0,0] op_sel_hi:[1,0,0]
	v_exp_f32_e32 v25, v26
	v_ldexp_f32 v22, v24, v34
	v_cvt_i32_f32_e32 v32, v42
	v_cndmask_b32_e32 v16, 0, v16, vcc_lo
	v_cmp_ngt_f32_e32 vcc_lo, 0xc2ce8ed0, v19
	v_fma_mix_f32 v4, -v4, s4, v41 op_sel:[1,0,0] op_sel_hi:[1,0,0]
	v_ldexp_f32 v2, v2, v27
	v_exp_f32_e32 v13, v13
	v_cvt_i32_f32_e32 v26, v44
	v_cndmask_b32_e32 v22, 0, v22, vcc_lo
	v_ldexp_f32 v24, v25, v37
	v_cmp_ngt_f32_e32 vcc_lo, 0xc2ce8ed0, v21
	v_cndmask_b32_e64 v12, v11, v10, s2
	s_delay_alu instid0(VALU_DEP_3) | instskip(SKIP_2) | instid1(TRANS32_DEP_1)
	v_cndmask_b32_e32 v24, 0, v24, vcc_lo
	v_cmp_nlt_f32_e32 vcc_lo, 0x42b17218, v17
	v_sub_f32_e32 v30, v35, v42
	v_ldexp_f32 v13, v13, v26
	v_cndmask_b32_e32 v1, 0x7f800000, v1, vcc_lo
	v_cmp_ngt_f32_e32 vcc_lo, 0xc2ce8ed0, v23
	s_delay_alu instid0(VALU_DEP_2)
	v_dual_add_f32 v1, 1.0, v1 :: v_dual_cndmask_b32 v2, 0, v2
	v_cmp_nlt_f32_e32 vcc_lo, 0x42b17218, v18
	v_cndmask_b32_e32 v16, 0x7f800000, v16, vcc_lo
	v_cmp_ngt_f32_e32 vcc_lo, 0xc2ce8ed0, v14
	v_cndmask_b32_e32 v3, 0, v3, vcc_lo
	v_cmp_nlt_f32_e32 vcc_lo, 0x42b17218, v19
	v_dual_add_f32 v4, v30, v4 :: v_dual_cndmask_b32 v17, 0x7f800000, v22
	s_delay_alu instid0(VALU_DEP_1) | instskip(SKIP_3) | instid1(VALU_DEP_1)
	v_exp_f32_e32 v4, v4
	v_cmp_ngt_f32_e32 vcc_lo, 0xc2ce8ed0, v15
	s_waitcnt_depctr 0xfff
	v_ldexp_f32 v4, v4, v32
	v_cndmask_b32_e32 v4, 0, v4, vcc_lo
	v_cmp_nlt_f32_e32 vcc_lo, 0x42b17218, v21
	v_cndmask_b32_e32 v18, 0x7f800000, v24, vcc_lo
	v_cmp_ngt_f32_e32 vcc_lo, 0xc2ce8ed0, v20
	v_cndmask_b32_e32 v13, 0, v13, vcc_lo
	v_cmp_nlt_f32_e32 vcc_lo, 0x42b17218, v23
	v_cndmask_b32_e32 v2, 0x7f800000, v2, vcc_lo
	v_cmp_nlt_f32_e32 vcc_lo, 0x42b17218, v14
	v_dual_add_f32 v14, 1.0, v17 :: v_dual_cndmask_b32 v3, 0x7f800000, v3
	v_cmp_nlt_f32_e32 vcc_lo, 0x42b17218, v15
	v_div_scale_f32 v15, null, v1, v1, 1.0
	s_delay_alu instid0(VALU_DEP_3) | instskip(NEXT) | instid1(VALU_DEP_4)
	v_div_scale_f32 v22, s4, 1.0, v14, 1.0
	v_add_f32_e32 v21, 1.0, v3
	v_div_scale_f32 v3, null, v14, v14, 1.0
	s_delay_alu instid0(VALU_DEP_4) | instskip(NEXT) | instid1(VALU_DEP_2)
	v_rcp_f32_e32 v25, v15
	v_div_scale_f32 v29, null, v21, v21, 1.0
	s_delay_alu instid0(VALU_DEP_2) | instskip(SKIP_1) | instid1(VALU_DEP_2)
	v_rcp_f32_e32 v31, v3
	v_div_scale_f32 v30, s7, 1.0, v21, 1.0
	v_rcp_f32_e32 v38, v29
	s_delay_alu instid0(TRANS32_DEP_3) | instskip(SKIP_3) | instid1(VALU_DEP_2)
	v_fma_f32 v40, -v15, v25, 1.0
	s_waitcnt_depctr 0xfff
	v_fma_f32 v43, -v3, v31, 1.0
	v_fmac_f32_e32 v25, v40, v25
	v_fmac_f32_e32 v31, v43, v31
	v_add_f32_e32 v17, 1.0, v18
	s_delay_alu instid0(VALU_DEP_1) | instskip(SKIP_2) | instid1(VALU_DEP_2)
	v_div_scale_f32 v24, s5, 1.0, v17, 1.0
	v_cndmask_b32_e32 v4, 0x7f800000, v4, vcc_lo
	v_cmp_nlt_f32_e32 vcc_lo, 0x42b17218, v20
	v_add_f32_e32 v23, 1.0, v4
	v_cndmask_b32_e32 v13, 0x7f800000, v13, vcc_lo
	v_div_scale_f32 v18, vcc_lo, 1.0, v1, 1.0
	v_div_scale_f32 v4, null, v17, v17, 1.0
	s_delay_alu instid0(VALU_DEP_4) | instskip(NEXT) | instid1(VALU_DEP_3)
	v_div_scale_f32 v32, null, v23, v23, 1.0
	v_dual_mul_f32 v45, v18, v25 :: v_dual_add_f32 v2, 1.0, v2
	v_add_f32_e32 v13, 1.0, v13
	s_delay_alu instid0(VALU_DEP_3)
	v_rcp_f32_e32 v39, v32
	v_rcp_f32_e32 v34, v4
	v_div_scale_f32 v33, s8, 1.0, v23, 1.0
	v_div_scale_f32 v26, null, v2, v2, 1.0
	v_div_scale_f32 v35, null, v13, v13, 1.0
	v_div_scale_f32 v27, s6, 1.0, v2, 1.0
	s_waitcnt_depctr 0xfff
	v_fma_f32 v43, -v32, v39, 1.0
	v_add_f32_e32 v16, 1.0, v16
	v_rcp_f32_e32 v36, v26
	v_fma_f32 v44, -v4, v34, 1.0
	v_rcp_f32_e32 v41, v35
	v_fmac_f32_e32 v39, v43, v39
	v_div_scale_f32 v19, null, v16, v16, 1.0
	s_delay_alu instid0(VALU_DEP_3) | instskip(SKIP_1) | instid1(VALU_DEP_3)
	v_fmac_f32_e32 v34, v44, v34
	v_div_scale_f32 v20, s3, 1.0, v16, 1.0
	v_rcp_f32_e32 v28, v19
	s_delay_alu instid0(TRANS32_DEP_3) | instskip(NEXT) | instid1(VALU_DEP_3)
	v_fma_f32 v40, -v26, v36, 1.0
	v_mul_f32_e32 v43, v24, v34
	s_delay_alu instid0(TRANS32_DEP_2) | instskip(SKIP_2) | instid1(VALU_DEP_4)
	v_fma_f32 v44, -v35, v41, 1.0
	v_div_scale_f32 v37, s9, 1.0, v13, 1.0
	v_mul_f32_e32 v50, v33, v39
	v_fma_f32 v51, -v4, v43, v24
	v_fmac_f32_e32 v36, v40, v36
	v_fmac_f32_e32 v41, v44, v41
	s_delay_alu instid0(TRANS32_DEP_1)
	v_fma_f32 v42, -v19, v28, 1.0
	v_fma_f32 v44, -v15, v45, v18
	v_fmac_f32_e32 v43, v51, v34
	v_mul_f32_e32 v46, v27, v36
	v_mul_f32_e32 v52, v37, v41
	v_fmac_f32_e32 v28, v42, v28
	v_fma_f32 v42, -v29, v38, 1.0
	v_fmac_f32_e32 v45, v44, v25
	v_fma_f32 v44, -v26, v46, v27
	v_fma_f32 v51, -v35, v52, v37
	v_mul_f32_e32 v40, v20, v28
	v_fmac_f32_e32 v38, v42, v38
	v_mul_f32_e32 v42, v22, v31
	v_fma_f32 v15, -v15, v45, v18
	v_fmac_f32_e32 v46, v44, v36
	v_fma_f32 v47, -v19, v40, v20
	v_mul_f32_e32 v48, v30, v38
	v_fma_f32 v49, -v3, v42, v22
	v_div_fmas_f32 v15, v15, v25, v45
	s_mov_b32 vcc_lo, s6
	v_fmac_f32_e32 v40, v47, v28
	v_fma_f32 v47, -v29, v48, v30
	v_fmac_f32_e32 v42, v49, v31
	v_fma_f32 v49, -v32, v50, v33
	v_div_fixup_f32 v1, v15, v1, 1.0
	v_fma_f32 v18, -v19, v40, v20
	v_fmac_f32_e32 v48, v47, v38
	v_fma_f32 v19, -v26, v46, v27
	v_fmac_f32_e32 v50, v49, v39
	;; [unrolled: 2-line block ×3, first 2 shown]
	v_fma_f32 v20, -v29, v48, v30
	v_div_fmas_f32 v15, v19, v36, v46
	s_mov_b32 vcc_lo, s3
	v_fma_f32 v22, -v32, v50, v33
	v_div_fmas_f32 v18, v18, v28, v40
	s_mov_b32 vcc_lo, s7
	;; [unrolled: 3-line block ×3, first 2 shown]
	v_div_fixup_f32 v2, v15, v2, 1.0
	v_div_fmas_f32 v15, v3, v31, v42
	s_mov_b32 vcc_lo, s8
	v_fma_f32 v24, -v35, v52, v37
	v_div_fixup_f32 v3, v18, v16, 1.0
	v_div_fmas_f32 v16, v22, v39, v50
	s_mov_b32 vcc_lo, s5
	v_div_fixup_f32 v14, v15, v14, 1.0
	v_div_fmas_f32 v18, v4, v34, v43
	s_mov_b32 vcc_lo, s9
	v_div_fixup_f32 v4, v19, v21, 1.0
	v_div_fmas_f32 v20, v24, v41, v52
	v_div_fixup_f32 v15, v16, v23, 1.0
	v_div_fixup_f32 v16, v18, v17, 1.0
	s_cselect_b32 s3, -1, 0
	s_cmp_lt_i32 s12, 1
	v_div_fixup_f32 v17, v20, v13, 1.0
	v_mov_b32_e32 v13, 0
	s_clause 0x1
	global_store_b128 v[5:6], v[1:4], off
	global_store_b128 v[5:6], v[14:17], off offset:16
	s_cbranch_scc1 .LBB125_8
; %bb.5:
	v_ashrrev_i32_e32 v1, 31, v0
	v_cndmask_b32_e64 v19, 0, 1, s2
	s_load_b128 s[4:7], s[0:1], 0x20
	v_sub_f32_e32 v18, v12, v12
	v_mul_lo_u32 v2, v9, s16
	v_lshlrev_b64 v[5:6], 2, v[0:1]
	v_cmp_le_i32_e32 vcc_lo, s13, v19
	v_cmp_gt_i32_e64 s0, s14, v19
	v_subrev_nc_u32_e32 v15, s13, v19
	v_mul_lo_u32 v13, v9, s12
	v_cndmask_b32_e64 v11, 0xff800000, v11, s2
	s_delay_alu instid0(VALU_DEP_4)
	s_and_b32 s0, vcc_lo, s0
	v_add_co_u32 v5, vcc_lo, s10, v5
	v_add_co_ci_u32_e32 v6, vcc_lo, s11, v6, vcc_lo
	s_and_b32 vcc_lo, s19, s0
	v_dual_mul_f32 v3, 0x3fb8aa3b, v18 :: v_dual_cndmask_b32 v20, 2, v15
	s_cmp_eq_u32 s12, 1
	s_delay_alu instid0(VALU_DEP_1) | instskip(SKIP_1) | instid1(VALU_DEP_1)
	v_rndne_f32_e32 v4, v3
	v_fma_f32 v14, 0x3fb8aa3b, v18, -v3
	v_dual_sub_f32 v3, v3, v4 :: v_dual_fmac_f32 v14, 0x32a5705f, v18
	v_cvt_i32_f32_e32 v17, v4
	s_delay_alu instid0(VALU_DEP_2) | instskip(SKIP_2) | instid1(VALU_DEP_3)
	v_add_f32_e32 v1, v3, v14
	v_ashrrev_i32_e32 v3, 31, v2
	v_ashrrev_i32_e32 v14, 31, v13
	v_exp_f32_e32 v16, v1
	s_delay_alu instid0(VALU_DEP_2) | instskip(NEXT) | instid1(VALU_DEP_2)
	v_lshlrev_b64 v[1:2], 2, v[2:3]
	v_lshlrev_b64 v[3:4], 2, v[13:14]
	s_waitcnt lgkmcnt(0)
	s_delay_alu instid0(VALU_DEP_2) | instskip(NEXT) | instid1(VALU_DEP_3)
	v_add_co_u32 v14, vcc_lo, s4, v1
	v_add_co_ci_u32_e32 v15, vcc_lo, s5, v2, vcc_lo
	s_waitcnt_depctr 0xfff
	v_ldexp_f32 v13, v16, v17
	v_cmp_ngt_f32_e32 vcc_lo, 0xc2ce8ed0, v18
	s_delay_alu instid0(VALU_DEP_2) | instskip(SKIP_3) | instid1(VALU_DEP_4)
	v_cndmask_b32_e32 v13, 0, v13, vcc_lo
	v_add_co_u32 v16, vcc_lo, s6, v3
	v_add_co_ci_u32_e32 v17, vcc_lo, s7, v4, vcc_lo
	v_cmp_nlt_f32_e32 vcc_lo, 0x42b17218, v18
	v_cndmask_b32_e32 v13, 0x7f800000, v13, vcc_lo
	v_cmp_ne_u32_e32 vcc_lo, 1, v19
	global_store_b32 v[14:15], v20, off
	global_store_b32 v[5:6], v13, off
	;; [unrolled: 1-line block ×3, first 2 shown]
	v_cndmask_b32_e32 v10, 0xff800000, v10, vcc_lo
	s_cbranch_scc1 .LBB125_8
; %bb.6:
	v_add_co_u32 v3, vcc_lo, v3, s6
	v_add_co_ci_u32_e32 v4, vcc_lo, s7, v4, vcc_lo
	v_add_co_u32 v9, vcc_lo, v1, s4
	v_add_co_ci_u32_e32 v14, vcc_lo, s5, v2, vcc_lo
	s_delay_alu instid0(VALU_DEP_4) | instskip(NEXT) | instid1(VALU_DEP_4)
	v_add_co_u32 v1, vcc_lo, v3, 4
	v_add_co_ci_u32_e32 v2, vcc_lo, 0, v4, vcc_lo
	s_delay_alu instid0(VALU_DEP_4) | instskip(NEXT) | instid1(VALU_DEP_4)
	v_add_co_u32 v3, vcc_lo, v9, 4
	v_add_co_ci_u32_e32 v4, vcc_lo, 0, v14, vcc_lo
	s_add_i32 s20, s20, s18
	v_add_co_u32 v5, vcc_lo, v5, 4
	v_add_co_ci_u32_e32 v6, vcc_lo, 0, v6, vcc_lo
	v_add3_u32 v7, s20, v8, v7
	s_add_i32 s1, s12, -1
.LBB125_7:                              ; =>This Inner Loop Header: Depth=1
	v_cmp_gt_f32_e32 vcc_lo, v10, v11
	s_add_i32 s1, s1, -1
	v_cndmask_b32_e64 v9, 0, 1, vcc_lo
	v_cndmask_b32_e32 v8, v11, v10, vcc_lo
	v_cndmask_b32_e64 v10, v10, 0xff800000, vcc_lo
	v_cndmask_b32_e32 v11, 0xff800000, v11, vcc_lo
	s_delay_alu instid0(VALU_DEP_4) | instskip(SKIP_2) | instid1(VALU_DEP_2)
	v_cmp_le_i32_e32 vcc_lo, s13, v9
	v_cmp_gt_i32_e64 s0, s14, v9
	v_subrev_nc_u32_e32 v9, s13, v9
	s_and_b32 s0, vcc_lo, s0
	s_delay_alu instid0(SALU_CYCLE_1) | instskip(SKIP_1) | instid1(VALU_DEP_1)
	s_and_b32 vcc_lo, s19, s0
	s_cmp_eq_u32 s1, 0
	v_dual_cndmask_b32 v9, 2, v9 :: v_dual_sub_f32 v8, v8, v12
	global_store_b32 v[3:4], v9, off
	global_store_b32 v[1:2], v7, off
	v_dual_mul_f32 v14, 0x3fb8aa3b, v8 :: v_dual_add_nc_u32 v7, s18, v7
	v_add_co_u32 v1, vcc_lo, v1, 4
	v_add_co_ci_u32_e32 v2, vcc_lo, 0, v2, vcc_lo
	s_delay_alu instid0(VALU_DEP_3) | instskip(SKIP_3) | instid1(VALU_DEP_4)
	v_fma_f32 v15, 0x3fb8aa3b, v8, -v14
	v_rndne_f32_e32 v16, v14
	v_add_co_u32 v3, vcc_lo, v3, 4
	v_add_co_ci_u32_e32 v4, vcc_lo, 0, v4, vcc_lo
	v_fmac_f32_e32 v15, 0x32a5705f, v8
	s_delay_alu instid0(VALU_DEP_4) | instskip(SKIP_1) | instid1(VALU_DEP_2)
	v_sub_f32_e32 v14, v14, v16
	v_cvt_i32_f32_e32 v16, v16
	v_add_f32_e32 v9, v14, v15
	v_cmp_ngt_f32_e32 vcc_lo, 0xc2ce8ed0, v8
	s_delay_alu instid0(VALU_DEP_2) | instskip(SKIP_2) | instid1(VALU_DEP_1)
	v_exp_f32_e32 v9, v9
	s_waitcnt_depctr 0xfff
	v_ldexp_f32 v9, v9, v16
	v_cndmask_b32_e32 v9, 0, v9, vcc_lo
	v_cmp_nlt_f32_e32 vcc_lo, 0x42b17218, v8
	s_delay_alu instid0(VALU_DEP_2)
	v_cndmask_b32_e32 v8, 0x7f800000, v9, vcc_lo
	global_store_b32 v[5:6], v8, off
	v_add_co_u32 v5, vcc_lo, v5, 4
	v_add_f32_e32 v13, v13, v8
	v_add_co_ci_u32_e32 v6, vcc_lo, 0, v6, vcc_lo
	s_cbranch_scc0 .LBB125_7
.LBB125_8:
	s_delay_alu instid0(VALU_DEP_1) | instskip(NEXT) | instid1(VALU_DEP_1)
	v_sub_f32_e32 v2, v10, v12
	v_dual_sub_f32 v1, v11, v12 :: v_dual_mul_f32 v4, 0x3fb8aa3b, v2
	s_delay_alu instid0(VALU_DEP_1) | instskip(SKIP_1) | instid1(VALU_DEP_3)
	v_mul_f32_e32 v3, 0x3fb8aa3b, v1
	v_cmp_ngt_f32_e32 vcc_lo, 0xc2ce8ed0, v1
	v_fma_f32 v7, 0x3fb8aa3b, v2, -v4
	s_delay_alu instid0(VALU_DEP_3) | instskip(SKIP_2) | instid1(VALU_DEP_4)
	v_fma_f32 v5, 0x3fb8aa3b, v1, -v3
	v_rndne_f32_e32 v6, v3
	v_rndne_f32_e32 v8, v4
	v_fmac_f32_e32 v7, 0x32a5705f, v2
	s_delay_alu instid0(VALU_DEP_2) | instskip(NEXT) | instid1(VALU_DEP_1)
	v_dual_fmac_f32 v5, 0x32a5705f, v1 :: v_dual_sub_f32 v4, v4, v8
	v_dual_sub_f32 v3, v3, v6 :: v_dual_add_f32 v4, v4, v7
	s_delay_alu instid0(VALU_DEP_1) | instskip(SKIP_2) | instid1(VALU_DEP_4)
	v_add_f32_e32 v3, v3, v5
	v_cvt_i32_f32_e32 v5, v6
	v_cvt_i32_f32_e32 v6, v8
	v_exp_f32_e32 v4, v4
	s_delay_alu instid0(VALU_DEP_3) | instskip(SKIP_3) | instid1(VALU_DEP_1)
	v_exp_f32_e32 v3, v3
	s_waitcnt_depctr 0xfff
	v_ldexp_f32 v4, v4, v6
	v_ldexp_f32 v3, v3, v5
	v_cndmask_b32_e32 v3, 0, v3, vcc_lo
	v_cmp_ngt_f32_e32 vcc_lo, 0xc2ce8ed0, v2
	s_delay_alu instid0(VALU_DEP_4) | instskip(SKIP_1) | instid1(VALU_DEP_4)
	v_cndmask_b32_e32 v4, 0, v4, vcc_lo
	v_cmp_nlt_f32_e32 vcc_lo, 0x42b17218, v1
	v_cndmask_b32_e32 v1, 0x7f800000, v3, vcc_lo
	v_cmp_nlt_f32_e32 vcc_lo, 0x42b17218, v2
	s_delay_alu instid0(VALU_DEP_4) | instskip(NEXT) | instid1(VALU_DEP_1)
	v_cndmask_b32_e32 v2, 0x7f800000, v4, vcc_lo
	v_add_f32_e32 v1, v1, v2
	s_delay_alu instid0(VALU_DEP_1) | instskip(NEXT) | instid1(VALU_DEP_1)
	v_add_f32_e32 v2, v13, v1
	v_cmp_neq_f32_e32 vcc_lo, 0, v2
	s_and_b32 exec_lo, exec_lo, vcc_lo
	s_cbranch_execz .LBB125_12
; %bb.9:
	s_and_not1_b32 vcc_lo, exec_lo, s3
	s_cbranch_vccnz .LBB125_12
; %bb.10:
	v_div_scale_f32 v1, null, v2, v2, 1.0
	v_div_scale_f32 v5, vcc_lo, 1.0, v2, 1.0
	s_delay_alu instid0(VALU_DEP_2) | instskip(SKIP_2) | instid1(VALU_DEP_1)
	v_rcp_f32_e32 v3, v1
	s_waitcnt_depctr 0xfff
	v_fma_f32 v4, -v1, v3, 1.0
	v_fmac_f32_e32 v3, v4, v3
	s_delay_alu instid0(VALU_DEP_1) | instskip(NEXT) | instid1(VALU_DEP_1)
	v_mul_f32_e32 v4, v5, v3
	v_fma_f32 v6, -v1, v4, v5
	s_delay_alu instid0(VALU_DEP_1) | instskip(NEXT) | instid1(VALU_DEP_1)
	v_fmac_f32_e32 v4, v6, v3
	v_fma_f32 v5, -v1, v4, v5
	v_ashrrev_i32_e32 v1, 31, v0
	s_delay_alu instid0(VALU_DEP_2) | instskip(NEXT) | instid1(VALU_DEP_2)
	v_div_fmas_f32 v3, v5, v3, v4
	v_lshlrev_b64 v[0:1], 2, v[0:1]
	s_delay_alu instid0(VALU_DEP_2) | instskip(NEXT) | instid1(VALU_DEP_2)
	v_div_fixup_f32 v2, v3, v2, 1.0
	v_add_co_u32 v0, vcc_lo, s10, v0
	s_delay_alu instid0(VALU_DEP_3)
	v_add_co_ci_u32_e32 v1, vcc_lo, s11, v1, vcc_lo
.LBB125_11:                             ; =>This Inner Loop Header: Depth=1
	global_load_b32 v3, v[0:1], off
	s_add_i32 s12, s12, -1
	s_delay_alu instid0(SALU_CYCLE_1)
	s_cmp_lg_u32 s12, 0
	s_waitcnt vmcnt(0)
	v_mul_f32_e32 v3, v2, v3
	global_store_b32 v[0:1], v3, off
	v_add_co_u32 v0, vcc_lo, v0, 4
	v_add_co_ci_u32_e32 v1, vcc_lo, 0, v1, vcc_lo
	s_cbranch_scc1 .LBB125_11
.LBB125_12:
	s_nop 0
	s_sendmsg sendmsg(MSG_DEALLOC_VGPRS)
	s_endpgm
	.section	.rodata,"a",@progbits
	.p2align	6, 0x0
	.amdhsa_kernel _ZN4vllm3moe17topkGatingSoftmaxIDF16_Li2ELi2ELi8ELi4ELb0ELi8ELNS0_23SharedExpertScoringFuncE1EEEvPKT_PKbPfiPiS9_iiiiii
		.amdhsa_group_segment_fixed_size 0
		.amdhsa_private_segment_fixed_size 0
		.amdhsa_kernarg_size 72
		.amdhsa_user_sgpr_count 15
		.amdhsa_user_sgpr_dispatch_ptr 0
		.amdhsa_user_sgpr_queue_ptr 0
		.amdhsa_user_sgpr_kernarg_segment_ptr 1
		.amdhsa_user_sgpr_dispatch_id 0
		.amdhsa_user_sgpr_private_segment_size 0
		.amdhsa_wavefront_size32 1
		.amdhsa_uses_dynamic_stack 0
		.amdhsa_enable_private_segment 0
		.amdhsa_system_sgpr_workgroup_id_x 1
		.amdhsa_system_sgpr_workgroup_id_y 0
		.amdhsa_system_sgpr_workgroup_id_z 0
		.amdhsa_system_sgpr_workgroup_info 0
		.amdhsa_system_vgpr_workitem_id 1
		.amdhsa_next_free_vgpr 53
		.amdhsa_next_free_sgpr 21
		.amdhsa_reserve_vcc 1
		.amdhsa_float_round_mode_32 0
		.amdhsa_float_round_mode_16_64 0
		.amdhsa_float_denorm_mode_32 3
		.amdhsa_float_denorm_mode_16_64 3
		.amdhsa_dx10_clamp 1
		.amdhsa_ieee_mode 1
		.amdhsa_fp16_overflow 0
		.amdhsa_workgroup_processor_mode 1
		.amdhsa_memory_ordered 1
		.amdhsa_forward_progress 0
		.amdhsa_shared_vgpr_count 0
		.amdhsa_exception_fp_ieee_invalid_op 0
		.amdhsa_exception_fp_denorm_src 0
		.amdhsa_exception_fp_ieee_div_zero 0
		.amdhsa_exception_fp_ieee_overflow 0
		.amdhsa_exception_fp_ieee_underflow 0
		.amdhsa_exception_fp_ieee_inexact 0
		.amdhsa_exception_int_div_zero 0
	.end_amdhsa_kernel
	.section	.text._ZN4vllm3moe17topkGatingSoftmaxIDF16_Li2ELi2ELi8ELi4ELb0ELi8ELNS0_23SharedExpertScoringFuncE1EEEvPKT_PKbPfiPiS9_iiiiii,"axG",@progbits,_ZN4vllm3moe17topkGatingSoftmaxIDF16_Li2ELi2ELi8ELi4ELb0ELi8ELNS0_23SharedExpertScoringFuncE1EEEvPKT_PKbPfiPiS9_iiiiii,comdat
.Lfunc_end125:
	.size	_ZN4vllm3moe17topkGatingSoftmaxIDF16_Li2ELi2ELi8ELi4ELb0ELi8ELNS0_23SharedExpertScoringFuncE1EEEvPKT_PKbPfiPiS9_iiiiii, .Lfunc_end125-_ZN4vllm3moe17topkGatingSoftmaxIDF16_Li2ELi2ELi8ELi4ELb0ELi8ELNS0_23SharedExpertScoringFuncE1EEEvPKT_PKbPfiPiS9_iiiiii
                                        ; -- End function
	.section	.AMDGPU.csdata,"",@progbits
; Kernel info:
; codeLenInByte = 2884
; NumSgprs: 23
; NumVgprs: 53
; ScratchSize: 0
; MemoryBound: 0
; FloatMode: 240
; IeeeMode: 1
; LDSByteSize: 0 bytes/workgroup (compile time only)
; SGPRBlocks: 2
; VGPRBlocks: 6
; NumSGPRsForWavesPerEU: 23
; NumVGPRsForWavesPerEU: 53
; Occupancy: 16
; WaveLimiterHint : 0
; COMPUTE_PGM_RSRC2:SCRATCH_EN: 0
; COMPUTE_PGM_RSRC2:USER_SGPR: 15
; COMPUTE_PGM_RSRC2:TRAP_HANDLER: 0
; COMPUTE_PGM_RSRC2:TGID_X_EN: 1
; COMPUTE_PGM_RSRC2:TGID_Y_EN: 0
; COMPUTE_PGM_RSRC2:TGID_Z_EN: 0
; COMPUTE_PGM_RSRC2:TIDIG_COMP_CNT: 1
	.section	.text._ZN4vllm3moe17topkGatingSoftmaxIDF16_Li4ELi4ELi8ELi8ELb1ELi0ELNS0_23SharedExpertScoringFuncE0EEEvPKT_PKbPfiPiS9_iiiiii,"axG",@progbits,_ZN4vllm3moe17topkGatingSoftmaxIDF16_Li4ELi4ELi8ELi8ELb1ELi0ELNS0_23SharedExpertScoringFuncE0EEEvPKT_PKbPfiPiS9_iiiiii,comdat
	.protected	_ZN4vllm3moe17topkGatingSoftmaxIDF16_Li4ELi4ELi8ELi8ELb1ELi0ELNS0_23SharedExpertScoringFuncE0EEEvPKT_PKbPfiPiS9_iiiiii ; -- Begin function _ZN4vllm3moe17topkGatingSoftmaxIDF16_Li4ELi4ELi8ELi8ELb1ELi0ELNS0_23SharedExpertScoringFuncE0EEEvPKT_PKbPfiPiS9_iiiiii
	.globl	_ZN4vllm3moe17topkGatingSoftmaxIDF16_Li4ELi4ELi8ELi8ELb1ELi0ELNS0_23SharedExpertScoringFuncE0EEEvPKT_PKbPfiPiS9_iiiiii
	.p2align	8
	.type	_ZN4vllm3moe17topkGatingSoftmaxIDF16_Li4ELi4ELi8ELi8ELb1ELi0ELNS0_23SharedExpertScoringFuncE0EEEvPKT_PKbPfiPiS9_iiiiii,@function
_ZN4vllm3moe17topkGatingSoftmaxIDF16_Li4ELi4ELi8ELi8ELb1ELi0ELNS0_23SharedExpertScoringFuncE0EEEvPKT_PKbPfiPiS9_iiiiii: ; @_ZN4vllm3moe17topkGatingSoftmaxIDF16_Li4ELi4ELi8ELi8ELb1ELi0ELNS0_23SharedExpertScoringFuncE0EEEvPKT_PKbPfiPiS9_iiiiii
; %bb.0:
	s_load_b32 s16, s[0:1], 0x18
	v_bfe_u32 v1, v0, 10, 10
	v_and_b32_e32 v10, 0x3ff, v0
	s_lshl_b32 s17, s15, 8
	s_mov_b32 s2, exec_lo
	s_delay_alu instid0(VALU_DEP_2) | instskip(NEXT) | instid1(VALU_DEP_1)
	v_lshlrev_b32_e32 v9, 5, v1
	v_add3_u32 v6, v9, v10, s17
	s_waitcnt lgkmcnt(0)
	s_delay_alu instid0(VALU_DEP_1)
	v_cmpx_gt_i32_e64 s16, v6
	s_cbranch_execz .LBB126_13
; %bb.1:
	s_clause 0x1
	s_load_b128 s[12:15], s[0:1], 0x0
	s_load_b64 s[2:3], s[0:1], 0x10
	s_waitcnt lgkmcnt(0)
	s_cmp_eq_u64 s[14:15], 0
	s_cbranch_scc1 .LBB126_3
; %bb.2:
	v_ashrrev_i32_e32 v1, 31, v6
	v_add_co_u32 v0, vcc_lo, s14, v6
	s_delay_alu instid0(VALU_DEP_2) | instskip(SKIP_3) | instid1(VALU_DEP_1)
	v_add_co_ci_u32_e32 v1, vcc_lo, s15, v1, vcc_lo
	global_load_u8 v0, v[0:1], off
	s_waitcnt vmcnt(0)
	v_and_b32_e32 v0, 1, v0
	v_cmp_eq_u32_e32 vcc_lo, 1, v0
	s_xor_b32 s4, vcc_lo, -1
	s_delay_alu instid0(SALU_CYCLE_1)
	s_or_not1_b32 s15, s4, exec_lo
	s_branch .LBB126_4
.LBB126_3:
	s_mov_b32 s15, -1
.LBB126_4:
	s_load_b128 s[4:7], s[0:1], 0x30
	s_waitcnt lgkmcnt(0)
	s_cmp_gt_i32 s4, 0
	s_cselect_b32 s14, -1, 0
	s_cmp_lt_i32 s4, 1
	s_cbranch_scc1 .LBB126_9
; %bb.5:
	s_clause 0x1
	s_load_b64 s[18:19], s[0:1], 0x40
	s_load_b128 s[8:11], s[0:1], 0x20
	s_waitcnt lgkmcnt(0)
	v_mul_lo_u32 v0, v6, s19
	v_mul_lo_u32 v16, v6, s18
	s_delay_alu instid0(VALU_DEP_2) | instskip(NEXT) | instid1(VALU_DEP_1)
	v_ashrrev_i32_e32 v1, 31, v0
	v_lshlrev_b64 v[0:1], 1, v[0:1]
	s_delay_alu instid0(VALU_DEP_1) | instskip(NEXT) | instid1(VALU_DEP_2)
	v_add_co_u32 v0, vcc_lo, s12, v0
	v_add_co_ci_u32_e32 v1, vcc_lo, s13, v1, vcc_lo
	global_load_b64 v[0:1], v[0:1], off
	s_waitcnt vmcnt(0)
	v_lshrrev_b32_e32 v2, 16, v0
	v_cvt_f32_f16_e32 v14, v0
	v_cvt_f32_f16_e32 v12, v1
	v_lshrrev_b32_e32 v1, 16, v1
	s_delay_alu instid0(VALU_DEP_4) | instskip(SKIP_1) | instid1(VALU_DEP_3)
	v_cvt_f32_f16_e32 v13, v2
	v_cmp_lt_f16_e32 vcc_lo, v0, v2
	v_cvt_f32_f16_e32 v11, v1
	s_delay_alu instid0(VALU_DEP_3) | instskip(SKIP_1) | instid1(VALU_DEP_2)
	v_cndmask_b32_e32 v2, v14, v13, vcc_lo
	v_cndmask_b32_e64 v0, 0, 1, vcc_lo
	v_cmp_lt_f32_e32 vcc_lo, v2, v12
	v_cndmask_b32_e32 v1, v2, v12, vcc_lo
	s_delay_alu instid0(VALU_DEP_3) | instskip(SKIP_1) | instid1(VALU_DEP_3)
	v_cndmask_b32_e64 v0, v0, 2, vcc_lo
	v_mul_lo_u32 v2, v6, s4
	v_cmp_lt_f32_e32 vcc_lo, v1, v11
	s_delay_alu instid0(VALU_DEP_3) | instskip(SKIP_2) | instid1(VALU_DEP_3)
	v_cndmask_b32_e64 v15, v0, 3, vcc_lo
	v_cndmask_b32_e32 v7, v1, v11, vcc_lo
	v_mul_lo_u32 v0, v6, s7
	v_cmp_le_i32_e32 vcc_lo, s5, v15
	s_delay_alu instid0(VALU_DEP_3) | instskip(SKIP_1) | instid1(VALU_DEP_1)
	v_sub_f32_e32 v8, v7, v7
	v_cmp_gt_i32_e64 s0, s6, v15
	s_and_b32 s0, vcc_lo, s0
	s_delay_alu instid0(VALU_DEP_2) | instskip(SKIP_1) | instid1(VALU_DEP_1)
	v_cmp_ngt_f32_e32 vcc_lo, 0xc2ce8ed0, v8
	v_mul_f32_e32 v1, 0x3fb8aa3b, v8
	v_fma_f32 v3, 0x3fb8aa3b, v8, -v1
	v_rndne_f32_e32 v18, v1
	s_delay_alu instid0(VALU_DEP_1) | instskip(SKIP_1) | instid1(VALU_DEP_2)
	v_dual_fmac_f32 v3, 0x32a5705f, v8 :: v_dual_sub_f32 v4, v1, v18
	v_ashrrev_i32_e32 v1, 31, v0
	v_add_f32_e32 v17, v4, v3
	v_ashrrev_i32_e32 v3, 31, v2
	s_delay_alu instid0(VALU_DEP_3) | instskip(NEXT) | instid1(VALU_DEP_3)
	v_lshlrev_b64 v[4:5], 2, v[0:1]
	v_exp_f32_e32 v19, v17
	s_delay_alu instid0(VALU_DEP_2) | instskip(SKIP_2) | instid1(VALU_DEP_4)
	v_lshlrev_b64 v[0:1], 2, v[2:3]
	v_ashrrev_i32_e32 v17, 31, v16
	v_cvt_i32_f32_e32 v2, v18
	v_add_co_u32 v4, s1, s2, v4
	s_delay_alu instid0(VALU_DEP_1) | instskip(SKIP_4) | instid1(VALU_DEP_3)
	v_add_co_ci_u32_e64 v5, s1, s3, v5, s1
	s_waitcnt_depctr 0xfff
	v_ldexp_f32 v18, v19, v2
	v_lshlrev_b64 v[2:3], 2, v[16:17]
	v_subrev_nc_u32_e32 v19, s5, v15
	v_cndmask_b32_e32 v18, 0, v18, vcc_lo
	s_delay_alu instid0(VALU_DEP_3) | instskip(NEXT) | instid1(VALU_DEP_4)
	v_add_co_u32 v16, vcc_lo, s8, v2
	v_add_co_ci_u32_e32 v17, vcc_lo, s9, v3, vcc_lo
	s_and_b32 vcc_lo, s15, s0
	s_cmp_eq_u32 s4, 1
	v_cndmask_b32_e32 v20, 4, v19, vcc_lo
	v_cmp_nlt_f32_e32 vcc_lo, 0x42b17218, v8
	v_cndmask_b32_e32 v8, 0x7f800000, v18, vcc_lo
	v_add_co_u32 v18, vcc_lo, s10, v0
	v_add_co_ci_u32_e32 v19, vcc_lo, s11, v1, vcc_lo
	global_store_b32 v[16:17], v20, off
	global_store_b32 v[4:5], v8, off
	;; [unrolled: 1-line block ×3, first 2 shown]
	s_cbranch_scc1 .LBB126_8
; %bb.6:
	v_cmp_ne_u32_e32 vcc_lo, 3, v15
	s_add_i32 s17, s17, s16
	s_delay_alu instid0(SALU_CYCLE_1)
	v_add3_u32 v9, s17, v10, v9
	v_cndmask_b32_e32 v11, 0xff800000, v11, vcc_lo
	v_cmp_ne_u32_e32 vcc_lo, 2, v15
	v_cndmask_b32_e32 v12, 0xff800000, v12, vcc_lo
	v_cmp_ne_u32_e32 vcc_lo, 1, v15
	;; [unrolled: 2-line block ×3, first 2 shown]
	v_cndmask_b32_e32 v14, 0xff800000, v14, vcc_lo
	v_add_co_u32 v0, vcc_lo, v0, s10
	v_add_co_ci_u32_e32 v1, vcc_lo, s11, v1, vcc_lo
	v_add_co_u32 v2, vcc_lo, v2, s8
	v_add_co_ci_u32_e32 v3, vcc_lo, s9, v3, vcc_lo
	s_delay_alu instid0(VALU_DEP_4) | instskip(NEXT) | instid1(VALU_DEP_4)
	v_add_co_u32 v0, vcc_lo, v0, 4
	v_add_co_ci_u32_e32 v1, vcc_lo, 0, v1, vcc_lo
	s_delay_alu instid0(VALU_DEP_4) | instskip(NEXT) | instid1(VALU_DEP_4)
	v_add_co_u32 v2, vcc_lo, v2, 4
	v_add_co_ci_u32_e32 v3, vcc_lo, 0, v3, vcc_lo
	v_add_co_u32 v4, vcc_lo, v4, 4
	v_add_co_ci_u32_e32 v5, vcc_lo, 0, v5, vcc_lo
	s_add_i32 s8, s4, -1
.LBB126_7:                              ; =>This Inner Loop Header: Depth=1
	v_cmp_gt_f32_e32 vcc_lo, v13, v14
	s_add_i32 s8, s8, -1
	v_cndmask_b32_e32 v10, v14, v13, vcc_lo
	v_cndmask_b32_e64 v15, 0, 1, vcc_lo
	s_delay_alu instid0(VALU_DEP_2) | instskip(SKIP_1) | instid1(VALU_DEP_3)
	v_cmp_gt_f32_e32 vcc_lo, v12, v10
	v_cndmask_b32_e32 v10, v10, v12, vcc_lo
	v_cndmask_b32_e64 v15, v15, 2, vcc_lo
	s_delay_alu instid0(VALU_DEP_2) | instskip(NEXT) | instid1(VALU_DEP_2)
	v_cmp_gt_f32_e32 vcc_lo, v11, v10
	v_cndmask_b32_e64 v15, v15, 3, vcc_lo
	v_cndmask_b32_e32 v10, v10, v11, vcc_lo
	s_delay_alu instid0(VALU_DEP_2) | instskip(SKIP_3) | instid1(VALU_DEP_3)
	v_cmp_le_i32_e32 vcc_lo, s5, v15
	v_cmp_gt_i32_e64 s0, s6, v15
	v_subrev_nc_u32_e32 v17, s5, v15
	v_cmp_ne_u32_e64 s1, 3, v15
	s_and_b32 s0, vcc_lo, s0
	s_delay_alu instid0(SALU_CYCLE_1) | instskip(NEXT) | instid1(VALU_DEP_1)
	s_and_b32 vcc_lo, s15, s0
	v_cndmask_b32_e64 v11, 0xff800000, v11, s1
	v_cndmask_b32_e32 v17, 4, v17, vcc_lo
	v_cmp_ne_u32_e64 s1, 2, v15
	s_cmp_eq_u32 s8, 0
	global_store_b32 v[2:3], v17, off
	global_store_b32 v[0:1], v9, off
	v_add_nc_u32_e32 v9, s16, v9
	v_add_co_u32 v0, vcc_lo, v0, 4
	v_sub_f32_e32 v10, v10, v7
	v_add_co_ci_u32_e32 v1, vcc_lo, 0, v1, vcc_lo
	v_add_co_u32 v2, vcc_lo, v2, 4
	v_add_co_ci_u32_e32 v3, vcc_lo, 0, v3, vcc_lo
	v_cndmask_b32_e64 v12, 0xff800000, v12, s1
	v_cmp_ne_u32_e64 s1, 1, v15
	v_cmp_ngt_f32_e32 vcc_lo, 0xc2ce8ed0, v10
	v_mul_f32_e32 v16, 0x3fb8aa3b, v10
	s_delay_alu instid0(VALU_DEP_3) | instskip(SKIP_1) | instid1(VALU_DEP_3)
	v_cndmask_b32_e64 v13, 0xff800000, v13, s1
	v_cmp_ne_u32_e64 s1, 0, v15
	v_fma_f32 v15, 0x3fb8aa3b, v10, -v16
	v_rndne_f32_e32 v18, v16
	s_delay_alu instid0(VALU_DEP_3) | instskip(NEXT) | instid1(VALU_DEP_3)
	v_cndmask_b32_e64 v14, 0xff800000, v14, s1
	v_fmac_f32_e32 v15, 0x32a5705f, v10
	s_delay_alu instid0(VALU_DEP_3) | instskip(SKIP_1) | instid1(VALU_DEP_2)
	v_sub_f32_e32 v16, v16, v18
	v_cvt_i32_f32_e32 v18, v18
	v_add_f32_e32 v15, v16, v15
	s_delay_alu instid0(VALU_DEP_1) | instskip(SKIP_2) | instid1(VALU_DEP_1)
	v_exp_f32_e32 v15, v15
	s_waitcnt_depctr 0xfff
	v_ldexp_f32 v15, v15, v18
	v_cndmask_b32_e32 v15, 0, v15, vcc_lo
	v_cmp_nlt_f32_e32 vcc_lo, 0x42b17218, v10
	s_delay_alu instid0(VALU_DEP_2)
	v_cndmask_b32_e32 v10, 0x7f800000, v15, vcc_lo
	global_store_b32 v[4:5], v10, off
	v_add_co_u32 v4, vcc_lo, v4, 4
	v_add_f32_e32 v8, v8, v10
	v_add_co_ci_u32_e32 v5, vcc_lo, 0, v5, vcc_lo
	s_cbranch_scc0 .LBB126_7
.LBB126_8:
	s_delay_alu instid0(VALU_DEP_2)
	v_cmp_neq_f32_e32 vcc_lo, 0, v8
	s_and_b32 exec_lo, exec_lo, vcc_lo
	s_cbranch_execnz .LBB126_10
	s_branch .LBB126_13
.LBB126_9:
	v_mov_b32_e32 v8, 0
	s_delay_alu instid0(VALU_DEP_1)
	v_cmp_neq_f32_e32 vcc_lo, 0, v8
	s_and_b32 exec_lo, exec_lo, vcc_lo
	s_cbranch_execz .LBB126_13
.LBB126_10:
	s_and_not1_b32 vcc_lo, exec_lo, s14
	s_cbranch_vccnz .LBB126_13
; %bb.11:
	v_div_scale_f32 v1, null, v8, v8, 1.0
	v_div_scale_f32 v3, vcc_lo, 1.0, v8, 1.0
	s_delay_alu instid0(VALU_DEP_2) | instskip(SKIP_2) | instid1(VALU_DEP_1)
	v_rcp_f32_e32 v2, v1
	s_waitcnt_depctr 0xfff
	v_fma_f32 v0, -v1, v2, 1.0
	v_fmac_f32_e32 v2, v0, v2
	v_mul_lo_u32 v0, v6, s7
	s_delay_alu instid0(VALU_DEP_2) | instskip(NEXT) | instid1(VALU_DEP_1)
	v_mul_f32_e32 v4, v3, v2
	v_fma_f32 v5, -v1, v4, v3
	s_delay_alu instid0(VALU_DEP_1) | instskip(NEXT) | instid1(VALU_DEP_1)
	v_fmac_f32_e32 v4, v5, v2
	v_fma_f32 v3, -v1, v4, v3
	v_ashrrev_i32_e32 v1, 31, v0
	s_delay_alu instid0(VALU_DEP_2) | instskip(NEXT) | instid1(VALU_DEP_2)
	v_div_fmas_f32 v2, v3, v2, v4
	v_lshlrev_b64 v[0:1], 2, v[0:1]
	s_delay_alu instid0(VALU_DEP_2) | instskip(NEXT) | instid1(VALU_DEP_2)
	v_div_fixup_f32 v2, v2, v8, 1.0
	v_add_co_u32 v0, vcc_lo, s2, v0
	s_delay_alu instid0(VALU_DEP_3)
	v_add_co_ci_u32_e32 v1, vcc_lo, s3, v1, vcc_lo
.LBB126_12:                             ; =>This Inner Loop Header: Depth=1
	global_load_b32 v3, v[0:1], off
	s_add_i32 s4, s4, -1
	s_delay_alu instid0(SALU_CYCLE_1)
	s_cmp_lg_u32 s4, 0
	s_waitcnt vmcnt(0)
	v_mul_f32_e32 v3, v2, v3
	global_store_b32 v[0:1], v3, off
	v_add_co_u32 v0, vcc_lo, v0, 4
	v_add_co_ci_u32_e32 v1, vcc_lo, 0, v1, vcc_lo
	s_cbranch_scc1 .LBB126_12
.LBB126_13:
	s_nop 0
	s_sendmsg sendmsg(MSG_DEALLOC_VGPRS)
	s_endpgm
	.section	.rodata,"a",@progbits
	.p2align	6, 0x0
	.amdhsa_kernel _ZN4vllm3moe17topkGatingSoftmaxIDF16_Li4ELi4ELi8ELi8ELb1ELi0ELNS0_23SharedExpertScoringFuncE0EEEvPKT_PKbPfiPiS9_iiiiii
		.amdhsa_group_segment_fixed_size 0
		.amdhsa_private_segment_fixed_size 0
		.amdhsa_kernarg_size 72
		.amdhsa_user_sgpr_count 15
		.amdhsa_user_sgpr_dispatch_ptr 0
		.amdhsa_user_sgpr_queue_ptr 0
		.amdhsa_user_sgpr_kernarg_segment_ptr 1
		.amdhsa_user_sgpr_dispatch_id 0
		.amdhsa_user_sgpr_private_segment_size 0
		.amdhsa_wavefront_size32 1
		.amdhsa_uses_dynamic_stack 0
		.amdhsa_enable_private_segment 0
		.amdhsa_system_sgpr_workgroup_id_x 1
		.amdhsa_system_sgpr_workgroup_id_y 0
		.amdhsa_system_sgpr_workgroup_id_z 0
		.amdhsa_system_sgpr_workgroup_info 0
		.amdhsa_system_vgpr_workitem_id 1
		.amdhsa_next_free_vgpr 21
		.amdhsa_next_free_sgpr 20
		.amdhsa_reserve_vcc 1
		.amdhsa_float_round_mode_32 0
		.amdhsa_float_round_mode_16_64 0
		.amdhsa_float_denorm_mode_32 3
		.amdhsa_float_denorm_mode_16_64 3
		.amdhsa_dx10_clamp 1
		.amdhsa_ieee_mode 1
		.amdhsa_fp16_overflow 0
		.amdhsa_workgroup_processor_mode 1
		.amdhsa_memory_ordered 1
		.amdhsa_forward_progress 0
		.amdhsa_shared_vgpr_count 0
		.amdhsa_exception_fp_ieee_invalid_op 0
		.amdhsa_exception_fp_denorm_src 0
		.amdhsa_exception_fp_ieee_div_zero 0
		.amdhsa_exception_fp_ieee_overflow 0
		.amdhsa_exception_fp_ieee_underflow 0
		.amdhsa_exception_fp_ieee_inexact 0
		.amdhsa_exception_int_div_zero 0
	.end_amdhsa_kernel
	.section	.text._ZN4vllm3moe17topkGatingSoftmaxIDF16_Li4ELi4ELi8ELi8ELb1ELi0ELNS0_23SharedExpertScoringFuncE0EEEvPKT_PKbPfiPiS9_iiiiii,"axG",@progbits,_ZN4vllm3moe17topkGatingSoftmaxIDF16_Li4ELi4ELi8ELi8ELb1ELi0ELNS0_23SharedExpertScoringFuncE0EEEvPKT_PKbPfiPiS9_iiiiii,comdat
.Lfunc_end126:
	.size	_ZN4vllm3moe17topkGatingSoftmaxIDF16_Li4ELi4ELi8ELi8ELb1ELi0ELNS0_23SharedExpertScoringFuncE0EEEvPKT_PKbPfiPiS9_iiiiii, .Lfunc_end126-_ZN4vllm3moe17topkGatingSoftmaxIDF16_Li4ELi4ELi8ELi8ELb1ELi0ELNS0_23SharedExpertScoringFuncE0EEEvPKT_PKbPfiPiS9_iiiiii
                                        ; -- End function
	.section	.AMDGPU.csdata,"",@progbits
; Kernel info:
; codeLenInByte = 1376
; NumSgprs: 22
; NumVgprs: 21
; ScratchSize: 0
; MemoryBound: 0
; FloatMode: 240
; IeeeMode: 1
; LDSByteSize: 0 bytes/workgroup (compile time only)
; SGPRBlocks: 2
; VGPRBlocks: 2
; NumSGPRsForWavesPerEU: 22
; NumVGPRsForWavesPerEU: 21
; Occupancy: 16
; WaveLimiterHint : 0
; COMPUTE_PGM_RSRC2:SCRATCH_EN: 0
; COMPUTE_PGM_RSRC2:USER_SGPR: 15
; COMPUTE_PGM_RSRC2:TRAP_HANDLER: 0
; COMPUTE_PGM_RSRC2:TGID_X_EN: 1
; COMPUTE_PGM_RSRC2:TGID_Y_EN: 0
; COMPUTE_PGM_RSRC2:TGID_Z_EN: 0
; COMPUTE_PGM_RSRC2:TIDIG_COMP_CNT: 1
	.section	.text._ZN4vllm3moe17topkGatingSoftmaxIDF16_Li4ELi4ELi8ELi8ELb0ELi0ELNS0_23SharedExpertScoringFuncE0EEEvPKT_PKbPfiPiS9_iiiiii,"axG",@progbits,_ZN4vllm3moe17topkGatingSoftmaxIDF16_Li4ELi4ELi8ELi8ELb0ELi0ELNS0_23SharedExpertScoringFuncE0EEEvPKT_PKbPfiPiS9_iiiiii,comdat
	.protected	_ZN4vllm3moe17topkGatingSoftmaxIDF16_Li4ELi4ELi8ELi8ELb0ELi0ELNS0_23SharedExpertScoringFuncE0EEEvPKT_PKbPfiPiS9_iiiiii ; -- Begin function _ZN4vllm3moe17topkGatingSoftmaxIDF16_Li4ELi4ELi8ELi8ELb0ELi0ELNS0_23SharedExpertScoringFuncE0EEEvPKT_PKbPfiPiS9_iiiiii
	.globl	_ZN4vllm3moe17topkGatingSoftmaxIDF16_Li4ELi4ELi8ELi8ELb0ELi0ELNS0_23SharedExpertScoringFuncE0EEEvPKT_PKbPfiPiS9_iiiiii
	.p2align	8
	.type	_ZN4vllm3moe17topkGatingSoftmaxIDF16_Li4ELi4ELi8ELi8ELb0ELi0ELNS0_23SharedExpertScoringFuncE0EEEvPKT_PKbPfiPiS9_iiiiii,@function
_ZN4vllm3moe17topkGatingSoftmaxIDF16_Li4ELi4ELi8ELi8ELb0ELi0ELNS0_23SharedExpertScoringFuncE0EEEvPKT_PKbPfiPiS9_iiiiii: ; @_ZN4vllm3moe17topkGatingSoftmaxIDF16_Li4ELi4ELi8ELi8ELb0ELi0ELNS0_23SharedExpertScoringFuncE0EEEvPKT_PKbPfiPiS9_iiiiii
; %bb.0:
	s_load_b32 s16, s[0:1], 0x18
	v_bfe_u32 v1, v0, 10, 10
	v_and_b32_e32 v14, 0x3ff, v0
	s_lshl_b32 s17, s15, 8
	s_mov_b32 s2, exec_lo
	s_delay_alu instid0(VALU_DEP_2) | instskip(NEXT) | instid1(VALU_DEP_1)
	v_lshlrev_b32_e32 v13, 5, v1
	v_add3_u32 v6, v13, v14, s17
	s_waitcnt lgkmcnt(0)
	s_delay_alu instid0(VALU_DEP_1)
	v_cmpx_gt_i32_e64 s16, v6
	s_cbranch_execz .LBB127_13
; %bb.1:
	s_clause 0x1
	s_load_b128 s[4:7], s[0:1], 0x0
	s_load_b64 s[12:13], s[0:1], 0x10
	s_waitcnt lgkmcnt(0)
	s_cmp_eq_u64 s[6:7], 0
	s_cbranch_scc1 .LBB127_3
; %bb.2:
	v_ashrrev_i32_e32 v1, 31, v6
	v_add_co_u32 v0, vcc_lo, s6, v6
	s_delay_alu instid0(VALU_DEP_2) | instskip(SKIP_3) | instid1(VALU_DEP_1)
	v_add_co_ci_u32_e32 v1, vcc_lo, s7, v1, vcc_lo
	global_load_u8 v0, v[0:1], off
	s_waitcnt vmcnt(0)
	v_and_b32_e32 v0, 1, v0
	v_cmp_eq_u32_e32 vcc_lo, 1, v0
	s_xor_b32 s2, vcc_lo, -1
	s_delay_alu instid0(SALU_CYCLE_1)
	s_or_not1_b32 s15, s2, exec_lo
	s_branch .LBB127_4
.LBB127_3:
	s_mov_b32 s15, -1
.LBB127_4:
	s_load_b64 s[8:9], s[0:1], 0x40
	s_waitcnt lgkmcnt(0)
	v_mul_lo_u32 v0, v6, s9
	s_delay_alu instid0(VALU_DEP_1) | instskip(NEXT) | instid1(VALU_DEP_1)
	v_ashrrev_i32_e32 v1, 31, v0
	v_lshlrev_b64 v[0:1], 1, v[0:1]
	s_delay_alu instid0(VALU_DEP_1) | instskip(NEXT) | instid1(VALU_DEP_2)
	v_add_co_u32 v0, vcc_lo, s4, v0
	v_add_co_ci_u32_e32 v1, vcc_lo, s5, v1, vcc_lo
	s_load_b128 s[4:7], s[0:1], 0x30
	global_load_b64 v[0:1], v[0:1], off
	s_waitcnt lgkmcnt(0)
	s_cmp_gt_i32 s4, 0
	s_cselect_b32 s14, -1, 0
	s_cmp_lt_i32 s4, 1
	s_waitcnt vmcnt(0)
	v_lshrrev_b32_e32 v2, 16, v0
	v_cvt_f32_f16_e32 v11, v0
	v_cvt_f32_f16_e32 v9, v1
	v_lshrrev_b32_e32 v1, 16, v1
	s_delay_alu instid0(VALU_DEP_4) | instskip(SKIP_1) | instid1(VALU_DEP_3)
	v_cvt_f32_f16_e32 v10, v2
	v_cmp_lt_f16_e64 s3, v0, v2
	v_cvt_f32_f16_e32 v7, v1
	s_delay_alu instid0(VALU_DEP_2) | instskip(NEXT) | instid1(VALU_DEP_1)
	v_cndmask_b32_e64 v0, v11, v10, s3
	v_cmp_lt_f32_e64 s2, v0, v9
	s_delay_alu instid0(VALU_DEP_1) | instskip(NEXT) | instid1(VALU_DEP_1)
	v_cndmask_b32_e64 v0, v0, v9, s2
	v_cmp_lt_f32_e32 vcc_lo, v0, v7
	v_cndmask_b32_e32 v8, v0, v7, vcc_lo
	s_cbranch_scc1 .LBB127_8
; %bb.5:
	s_delay_alu instid0(VALU_DEP_1)
	v_sub_f32_e32 v12, v8, v8
	v_cndmask_b32_e64 v3, 0, 1, s3
	v_mul_lo_u32 v2, v6, s8
	s_load_b128 s[8:11], s[0:1], 0x20
	v_mul_lo_u32 v0, v6, s7
	v_mul_f32_e32 v1, 0x3fb8aa3b, v12
	v_cndmask_b32_e64 v18, v3, 2, s2
	v_mul_lo_u32 v4, v6, s4
	v_ashrrev_i32_e32 v3, 31, v2
	s_delay_alu instid0(VALU_DEP_4) | instskip(SKIP_3) | instid1(VALU_DEP_3)
	v_rndne_f32_e32 v17, v1
	v_fma_f32 v15, 0x3fb8aa3b, v12, -v1
	v_cndmask_b32_e64 v20, v18, 3, vcc_lo
	v_ashrrev_i32_e32 v5, 31, v4
	v_dual_sub_f32 v16, v1, v17 :: v_dual_fmac_f32 v15, 0x32a5705f, v12
	v_ashrrev_i32_e32 v1, 31, v0
	s_delay_alu instid0(VALU_DEP_4)
	v_cmp_le_i32_e32 vcc_lo, s5, v20
	v_cmp_gt_i32_e64 s0, s6, v20
	v_cvt_i32_f32_e32 v17, v17
	v_add_f32_e32 v19, v16, v15
	v_lshlrev_b64 v[15:16], 2, v[0:1]
	v_lshlrev_b64 v[0:1], 2, v[2:3]
	;; [unrolled: 1-line block ×3, first 2 shown]
	s_and_b32 s0, vcc_lo, s0
	v_exp_f32_e32 v18, v19
	v_subrev_nc_u32_e32 v19, s5, v20
	v_add_co_u32 v4, s1, s12, v15
	s_waitcnt lgkmcnt(0)
	v_add_co_u32 v15, vcc_lo, s8, v0
	v_add_co_ci_u32_e64 v5, s1, s13, v16, s1
	v_add_co_ci_u32_e32 v16, vcc_lo, s9, v1, vcc_lo
	s_waitcnt_depctr 0xfff
	v_ldexp_f32 v17, v18, v17
	v_cmp_ngt_f32_e32 vcc_lo, 0xc2ce8ed0, v12
	s_delay_alu instid0(VALU_DEP_2)
	v_cndmask_b32_e32 v21, 0, v17, vcc_lo
	v_add_co_u32 v17, vcc_lo, s10, v2
	v_add_co_ci_u32_e32 v18, vcc_lo, s11, v3, vcc_lo
	s_and_b32 vcc_lo, s15, s0
	s_cmp_eq_u32 s4, 1
	v_cndmask_b32_e32 v19, 4, v19, vcc_lo
	v_cmp_nlt_f32_e32 vcc_lo, 0x42b17218, v12
	v_cndmask_b32_e32 v12, 0x7f800000, v21, vcc_lo
	v_cmp_ne_u32_e32 vcc_lo, 3, v20
	global_store_b32 v[4:5], v12, off
	v_cndmask_b32_e32 v7, 0xff800000, v7, vcc_lo
	v_cmp_ne_u32_e32 vcc_lo, 2, v20
	global_store_b32 v[15:16], v19, off
	global_store_b32 v[17:18], v6, off
	v_cndmask_b32_e32 v9, 0xff800000, v9, vcc_lo
	v_cmp_ne_u32_e32 vcc_lo, 1, v20
	v_cndmask_b32_e32 v10, 0xff800000, v10, vcc_lo
	v_cmp_ne_u32_e32 vcc_lo, 0, v20
	v_cndmask_b32_e32 v11, 0xff800000, v11, vcc_lo
	s_cbranch_scc1 .LBB127_9
; %bb.6:
	v_add_co_u32 v2, vcc_lo, v2, s10
	v_add_co_ci_u32_e32 v3, vcc_lo, s11, v3, vcc_lo
	v_add_co_u32 v15, vcc_lo, v0, s8
	v_add_co_ci_u32_e32 v16, vcc_lo, s9, v1, vcc_lo
	s_delay_alu instid0(VALU_DEP_4) | instskip(NEXT) | instid1(VALU_DEP_4)
	v_add_co_u32 v0, vcc_lo, v2, 4
	v_add_co_ci_u32_e32 v1, vcc_lo, 0, v3, vcc_lo
	s_delay_alu instid0(VALU_DEP_4) | instskip(NEXT) | instid1(VALU_DEP_4)
	v_add_co_u32 v2, vcc_lo, v15, 4
	v_add_co_ci_u32_e32 v3, vcc_lo, 0, v16, vcc_lo
	s_add_i32 s17, s17, s16
	v_add_co_u32 v4, vcc_lo, v4, 4
	v_add_co_ci_u32_e32 v5, vcc_lo, 0, v5, vcc_lo
	v_add3_u32 v13, s17, v14, v13
	s_add_i32 s2, s4, -1
.LBB127_7:                              ; =>This Inner Loop Header: Depth=1
	v_cmp_gt_f32_e32 vcc_lo, v10, v11
	s_add_i32 s2, s2, -1
	v_cndmask_b32_e32 v14, v11, v10, vcc_lo
	v_cndmask_b32_e64 v15, 0, 1, vcc_lo
	s_delay_alu instid0(VALU_DEP_2) | instskip(SKIP_1) | instid1(VALU_DEP_3)
	v_cmp_gt_f32_e32 vcc_lo, v9, v14
	v_cndmask_b32_e32 v14, v14, v9, vcc_lo
	v_cndmask_b32_e64 v15, v15, 2, vcc_lo
	s_delay_alu instid0(VALU_DEP_2) | instskip(NEXT) | instid1(VALU_DEP_2)
	v_cmp_gt_f32_e32 vcc_lo, v7, v14
	v_cndmask_b32_e64 v15, v15, 3, vcc_lo
	v_cndmask_b32_e32 v14, v14, v7, vcc_lo
	s_delay_alu instid0(VALU_DEP_2) | instskip(SKIP_3) | instid1(VALU_DEP_3)
	v_cmp_le_i32_e32 vcc_lo, s5, v15
	v_cmp_gt_i32_e64 s0, s6, v15
	v_subrev_nc_u32_e32 v17, s5, v15
	v_cmp_ne_u32_e64 s1, 3, v15
	s_and_b32 s0, vcc_lo, s0
	s_delay_alu instid0(SALU_CYCLE_1) | instskip(NEXT) | instid1(VALU_DEP_1)
	s_and_b32 vcc_lo, s15, s0
	v_cndmask_b32_e64 v7, 0xff800000, v7, s1
	v_cndmask_b32_e32 v17, 4, v17, vcc_lo
	v_cmp_ne_u32_e64 s1, 2, v15
	s_cmp_eq_u32 s2, 0
	global_store_b32 v[2:3], v17, off
	global_store_b32 v[0:1], v13, off
	v_dual_sub_f32 v14, v14, v8 :: v_dual_add_nc_u32 v13, s16, v13
	v_cndmask_b32_e64 v9, 0xff800000, v9, s1
	v_cmp_ne_u32_e64 s1, 1, v15
	v_add_co_u32 v0, vcc_lo, v0, 4
	s_delay_alu instid0(VALU_DEP_4) | instskip(SKIP_1) | instid1(VALU_DEP_4)
	v_mul_f32_e32 v16, 0x3fb8aa3b, v14
	v_add_co_ci_u32_e32 v1, vcc_lo, 0, v1, vcc_lo
	v_cndmask_b32_e64 v10, 0xff800000, v10, s1
	v_cmp_ne_u32_e64 s1, 0, v15
	s_delay_alu instid0(VALU_DEP_4) | instskip(SKIP_3) | instid1(VALU_DEP_4)
	v_fma_f32 v15, 0x3fb8aa3b, v14, -v16
	v_rndne_f32_e32 v18, v16
	v_add_co_u32 v2, vcc_lo, v2, 4
	v_add_co_ci_u32_e32 v3, vcc_lo, 0, v3, vcc_lo
	v_fmac_f32_e32 v15, 0x32a5705f, v14
	s_delay_alu instid0(VALU_DEP_4) | instskip(SKIP_3) | instid1(VALU_DEP_4)
	v_sub_f32_e32 v16, v16, v18
	v_cvt_i32_f32_e32 v18, v18
	v_cmp_ngt_f32_e32 vcc_lo, 0xc2ce8ed0, v14
	v_cndmask_b32_e64 v11, 0xff800000, v11, s1
	v_add_f32_e32 v15, v16, v15
	s_delay_alu instid0(VALU_DEP_1) | instskip(SKIP_2) | instid1(VALU_DEP_1)
	v_exp_f32_e32 v15, v15
	s_waitcnt_depctr 0xfff
	v_ldexp_f32 v15, v15, v18
	v_cndmask_b32_e32 v15, 0, v15, vcc_lo
	v_cmp_nlt_f32_e32 vcc_lo, 0x42b17218, v14
	s_delay_alu instid0(VALU_DEP_2)
	v_cndmask_b32_e32 v14, 0x7f800000, v15, vcc_lo
	global_store_b32 v[4:5], v14, off
	v_add_co_u32 v4, vcc_lo, v4, 4
	v_add_f32_e32 v12, v12, v14
	v_add_co_ci_u32_e32 v5, vcc_lo, 0, v5, vcc_lo
	s_cbranch_scc0 .LBB127_7
	s_branch .LBB127_9
.LBB127_8:
	v_mov_b32_e32 v12, 0
.LBB127_9:
	s_delay_alu instid0(VALU_DEP_2) | instskip(SKIP_1) | instid1(VALU_DEP_3)
	v_sub_f32_e32 v3, v7, v8
	v_sub_f32_e32 v1, v10, v8
	;; [unrolled: 1-line block ×4, first 2 shown]
	s_delay_alu instid0(VALU_DEP_3) | instskip(NEXT) | instid1(VALU_DEP_3)
	v_dual_mul_f32 v8, 0x3fb8aa3b, v3 :: v_dual_mul_f32 v5, 0x3fb8aa3b, v1
	v_cmp_ngt_f32_e32 vcc_lo, 0xc2ce8ed0, v0
	s_delay_alu instid0(VALU_DEP_2) | instskip(NEXT) | instid1(VALU_DEP_3)
	v_rndne_f32_e32 v17, v8
	v_fma_f32 v11, 0x3fb8aa3b, v1, -v5
	v_rndne_f32_e32 v13, v5
	s_delay_alu instid0(VALU_DEP_2) | instskip(SKIP_1) | instid1(VALU_DEP_1)
	v_fmac_f32_e32 v11, 0x32a5705f, v1
	v_dual_mul_f32 v4, 0x3fb8aa3b, v0 :: v_dual_mul_f32 v7, 0x3fb8aa3b, v2
	v_fma_f32 v9, 0x3fb8aa3b, v0, -v4
	v_rndne_f32_e32 v10, v4
	s_delay_alu instid0(VALU_DEP_3) | instskip(SKIP_1) | instid1(VALU_DEP_3)
	v_fma_f32 v14, 0x3fb8aa3b, v2, -v7
	v_rndne_f32_e32 v15, v7
	v_dual_fmac_f32 v9, 0x32a5705f, v0 :: v_dual_sub_f32 v4, v4, v10
	s_delay_alu instid0(VALU_DEP_3) | instskip(SKIP_3) | instid1(VALU_DEP_3)
	v_fmac_f32_e32 v14, 0x32a5705f, v2
	v_fma_f32 v16, 0x3fb8aa3b, v3, -v8
	v_sub_f32_e32 v5, v5, v13
	v_dual_sub_f32 v7, v7, v15 :: v_dual_sub_f32 v8, v8, v17
	v_fmac_f32_e32 v16, 0x32a5705f, v3
	s_delay_alu instid0(VALU_DEP_3) | instskip(SKIP_2) | instid1(VALU_DEP_4)
	v_dual_add_f32 v4, v4, v9 :: v_dual_add_f32 v5, v5, v11
	v_cvt_i32_f32_e32 v9, v10
	v_cvt_i32_f32_e32 v10, v13
	v_dual_add_f32 v7, v7, v14 :: v_dual_add_f32 v8, v8, v16
	s_delay_alu instid0(VALU_DEP_4) | instskip(SKIP_2) | instid1(VALU_DEP_2)
	v_exp_f32_e32 v4, v4
	v_exp_f32_e32 v5, v5
	v_cvt_i32_f32_e32 v11, v15
	v_exp_f32_e32 v7, v7
	v_exp_f32_e32 v8, v8
	v_ldexp_f32 v4, v4, v9
	s_delay_alu instid0(TRANS32_DEP_3)
	v_ldexp_f32 v5, v5, v10
	v_cvt_i32_f32_e32 v9, v17
	s_waitcnt_depctr 0xfff
	v_ldexp_f32 v7, v7, v11
	v_cndmask_b32_e32 v4, 0, v4, vcc_lo
	v_cmp_ngt_f32_e32 vcc_lo, 0xc2ce8ed0, v1
	v_cndmask_b32_e32 v5, 0, v5, vcc_lo
	v_cmp_nlt_f32_e32 vcc_lo, 0x42b17218, v0
	s_delay_alu instid0(VALU_DEP_4) | instskip(SKIP_1) | instid1(VALU_DEP_4)
	v_cndmask_b32_e32 v0, 0x7f800000, v4, vcc_lo
	v_cmp_nlt_f32_e32 vcc_lo, 0x42b17218, v1
	v_cndmask_b32_e32 v1, 0x7f800000, v5, vcc_lo
	v_cmp_ngt_f32_e32 vcc_lo, 0xc2ce8ed0, v2
	v_ldexp_f32 v5, v8, v9
	v_cndmask_b32_e32 v4, 0, v7, vcc_lo
	v_cmp_nlt_f32_e32 vcc_lo, 0x42b17218, v2
	s_delay_alu instid0(VALU_DEP_2) | instskip(SKIP_3) | instid1(VALU_DEP_2)
	v_dual_add_f32 v0, v0, v1 :: v_dual_cndmask_b32 v1, 0x7f800000, v4
	v_cmp_ngt_f32_e32 vcc_lo, 0xc2ce8ed0, v3
	v_cndmask_b32_e32 v2, 0, v5, vcc_lo
	v_cmp_nlt_f32_e32 vcc_lo, 0x42b17218, v3
	v_dual_add_f32 v0, v0, v1 :: v_dual_cndmask_b32 v1, 0x7f800000, v2
	s_delay_alu instid0(VALU_DEP_1) | instskip(NEXT) | instid1(VALU_DEP_1)
	v_add_f32_e32 v0, v0, v1
	v_add_f32_e32 v0, v12, v0
	s_delay_alu instid0(VALU_DEP_1)
	v_cmp_neq_f32_e32 vcc_lo, 0, v0
	s_and_b32 exec_lo, exec_lo, vcc_lo
	s_cbranch_execz .LBB127_13
; %bb.10:
	s_and_not1_b32 vcc_lo, exec_lo, s14
	s_cbranch_vccnz .LBB127_13
; %bb.11:
	v_div_scale_f32 v2, null, v0, v0, 1.0
	v_div_scale_f32 v4, vcc_lo, 1.0, v0, 1.0
	s_delay_alu instid0(VALU_DEP_2) | instskip(SKIP_2) | instid1(VALU_DEP_1)
	v_rcp_f32_e32 v3, v2
	s_waitcnt_depctr 0xfff
	v_fma_f32 v1, -v2, v3, 1.0
	v_fmac_f32_e32 v3, v1, v3
	v_mul_lo_u32 v1, v6, s7
	s_delay_alu instid0(VALU_DEP_2) | instskip(NEXT) | instid1(VALU_DEP_1)
	v_mul_f32_e32 v5, v4, v3
	v_fma_f32 v7, -v2, v5, v4
	s_delay_alu instid0(VALU_DEP_1) | instskip(NEXT) | instid1(VALU_DEP_1)
	v_fmac_f32_e32 v5, v7, v3
	v_fma_f32 v4, -v2, v5, v4
	v_ashrrev_i32_e32 v2, 31, v1
	s_delay_alu instid0(VALU_DEP_2) | instskip(NEXT) | instid1(VALU_DEP_2)
	v_div_fmas_f32 v5, v4, v3, v5
	v_lshlrev_b64 v[3:4], 2, v[1:2]
	s_delay_alu instid0(VALU_DEP_2) | instskip(NEXT) | instid1(VALU_DEP_2)
	v_div_fixup_f32 v2, v5, v0, 1.0
	v_add_co_u32 v0, vcc_lo, s12, v3
	s_delay_alu instid0(VALU_DEP_3)
	v_add_co_ci_u32_e32 v1, vcc_lo, s13, v4, vcc_lo
.LBB127_12:                             ; =>This Inner Loop Header: Depth=1
	global_load_b32 v3, v[0:1], off
	s_add_i32 s4, s4, -1
	s_delay_alu instid0(SALU_CYCLE_1)
	s_cmp_lg_u32 s4, 0
	s_waitcnt vmcnt(0)
	v_mul_f32_e32 v3, v2, v3
	global_store_b32 v[0:1], v3, off
	v_add_co_u32 v0, vcc_lo, v0, 4
	v_add_co_ci_u32_e32 v1, vcc_lo, 0, v1, vcc_lo
	s_cbranch_scc1 .LBB127_12
.LBB127_13:
	s_nop 0
	s_sendmsg sendmsg(MSG_DEALLOC_VGPRS)
	s_endpgm
	.section	.rodata,"a",@progbits
	.p2align	6, 0x0
	.amdhsa_kernel _ZN4vllm3moe17topkGatingSoftmaxIDF16_Li4ELi4ELi8ELi8ELb0ELi0ELNS0_23SharedExpertScoringFuncE0EEEvPKT_PKbPfiPiS9_iiiiii
		.amdhsa_group_segment_fixed_size 0
		.amdhsa_private_segment_fixed_size 0
		.amdhsa_kernarg_size 72
		.amdhsa_user_sgpr_count 15
		.amdhsa_user_sgpr_dispatch_ptr 0
		.amdhsa_user_sgpr_queue_ptr 0
		.amdhsa_user_sgpr_kernarg_segment_ptr 1
		.amdhsa_user_sgpr_dispatch_id 0
		.amdhsa_user_sgpr_private_segment_size 0
		.amdhsa_wavefront_size32 1
		.amdhsa_uses_dynamic_stack 0
		.amdhsa_enable_private_segment 0
		.amdhsa_system_sgpr_workgroup_id_x 1
		.amdhsa_system_sgpr_workgroup_id_y 0
		.amdhsa_system_sgpr_workgroup_id_z 0
		.amdhsa_system_sgpr_workgroup_info 0
		.amdhsa_system_vgpr_workitem_id 1
		.amdhsa_next_free_vgpr 22
		.amdhsa_next_free_sgpr 18
		.amdhsa_reserve_vcc 1
		.amdhsa_float_round_mode_32 0
		.amdhsa_float_round_mode_16_64 0
		.amdhsa_float_denorm_mode_32 3
		.amdhsa_float_denorm_mode_16_64 3
		.amdhsa_dx10_clamp 1
		.amdhsa_ieee_mode 1
		.amdhsa_fp16_overflow 0
		.amdhsa_workgroup_processor_mode 1
		.amdhsa_memory_ordered 1
		.amdhsa_forward_progress 0
		.amdhsa_shared_vgpr_count 0
		.amdhsa_exception_fp_ieee_invalid_op 0
		.amdhsa_exception_fp_denorm_src 0
		.amdhsa_exception_fp_ieee_div_zero 0
		.amdhsa_exception_fp_ieee_overflow 0
		.amdhsa_exception_fp_ieee_underflow 0
		.amdhsa_exception_fp_ieee_inexact 0
		.amdhsa_exception_int_div_zero 0
	.end_amdhsa_kernel
	.section	.text._ZN4vllm3moe17topkGatingSoftmaxIDF16_Li4ELi4ELi8ELi8ELb0ELi0ELNS0_23SharedExpertScoringFuncE0EEEvPKT_PKbPfiPiS9_iiiiii,"axG",@progbits,_ZN4vllm3moe17topkGatingSoftmaxIDF16_Li4ELi4ELi8ELi8ELb0ELi0ELNS0_23SharedExpertScoringFuncE0EEEvPKT_PKbPfiPiS9_iiiiii,comdat
.Lfunc_end127:
	.size	_ZN4vllm3moe17topkGatingSoftmaxIDF16_Li4ELi4ELi8ELi8ELb0ELi0ELNS0_23SharedExpertScoringFuncE0EEEvPKT_PKbPfiPiS9_iiiiii, .Lfunc_end127-_ZN4vllm3moe17topkGatingSoftmaxIDF16_Li4ELi4ELi8ELi8ELb0ELi0ELNS0_23SharedExpertScoringFuncE0EEEvPKT_PKbPfiPiS9_iiiiii
                                        ; -- End function
	.section	.AMDGPU.csdata,"",@progbits
; Kernel info:
; codeLenInByte = 1768
; NumSgprs: 20
; NumVgprs: 22
; ScratchSize: 0
; MemoryBound: 0
; FloatMode: 240
; IeeeMode: 1
; LDSByteSize: 0 bytes/workgroup (compile time only)
; SGPRBlocks: 2
; VGPRBlocks: 2
; NumSGPRsForWavesPerEU: 20
; NumVGPRsForWavesPerEU: 22
; Occupancy: 16
; WaveLimiterHint : 0
; COMPUTE_PGM_RSRC2:SCRATCH_EN: 0
; COMPUTE_PGM_RSRC2:USER_SGPR: 15
; COMPUTE_PGM_RSRC2:TRAP_HANDLER: 0
; COMPUTE_PGM_RSRC2:TGID_X_EN: 1
; COMPUTE_PGM_RSRC2:TGID_Y_EN: 0
; COMPUTE_PGM_RSRC2:TGID_Z_EN: 0
; COMPUTE_PGM_RSRC2:TIDIG_COMP_CNT: 1
	.section	.text._ZN4vllm3moe17topkGatingSoftmaxIDF16_Li4ELi4ELi8ELi8ELb1ELi1ELNS0_23SharedExpertScoringFuncE1EEEvPKT_PKbPfiPiS9_iiiiii,"axG",@progbits,_ZN4vllm3moe17topkGatingSoftmaxIDF16_Li4ELi4ELi8ELi8ELb1ELi1ELNS0_23SharedExpertScoringFuncE1EEEvPKT_PKbPfiPiS9_iiiiii,comdat
	.protected	_ZN4vllm3moe17topkGatingSoftmaxIDF16_Li4ELi4ELi8ELi8ELb1ELi1ELNS0_23SharedExpertScoringFuncE1EEEvPKT_PKbPfiPiS9_iiiiii ; -- Begin function _ZN4vllm3moe17topkGatingSoftmaxIDF16_Li4ELi4ELi8ELi8ELb1ELi1ELNS0_23SharedExpertScoringFuncE1EEEvPKT_PKbPfiPiS9_iiiiii
	.globl	_ZN4vllm3moe17topkGatingSoftmaxIDF16_Li4ELi4ELi8ELi8ELb1ELi1ELNS0_23SharedExpertScoringFuncE1EEEvPKT_PKbPfiPiS9_iiiiii
	.p2align	8
	.type	_ZN4vllm3moe17topkGatingSoftmaxIDF16_Li4ELi4ELi8ELi8ELb1ELi1ELNS0_23SharedExpertScoringFuncE1EEEvPKT_PKbPfiPiS9_iiiiii,@function
_ZN4vllm3moe17topkGatingSoftmaxIDF16_Li4ELi4ELi8ELi8ELb1ELi1ELNS0_23SharedExpertScoringFuncE1EEEvPKT_PKbPfiPiS9_iiiiii: ; @_ZN4vllm3moe17topkGatingSoftmaxIDF16_Li4ELi4ELi8ELi8ELb1ELi1ELNS0_23SharedExpertScoringFuncE1EEEvPKT_PKbPfiPiS9_iiiiii
; %bb.0:
	s_load_b32 s12, s[0:1], 0x18
	v_bfe_u32 v1, v0, 10, 10
	v_and_b32_e32 v8, 0x3ff, v0
	s_lshl_b32 s14, s15, 8
	s_mov_b32 s2, exec_lo
	s_delay_alu instid0(VALU_DEP_2) | instskip(NEXT) | instid1(VALU_DEP_1)
	v_lshlrev_b32_e32 v7, 5, v1
	v_add3_u32 v11, v7, v8, s14
	s_waitcnt lgkmcnt(0)
	s_delay_alu instid0(VALU_DEP_1)
	v_cmpx_gt_i32_e64 s12, v11
	s_cbranch_execz .LBB128_12
; %bb.1:
	s_clause 0x1
	s_load_b128 s[4:7], s[0:1], 0x0
	s_load_b64 s[2:3], s[0:1], 0x10
	s_waitcnt lgkmcnt(0)
	s_cmp_eq_u64 s[6:7], 0
	s_cbranch_scc1 .LBB128_3
; %bb.2:
	v_ashrrev_i32_e32 v1, 31, v11
	v_add_co_u32 v0, vcc_lo, s6, v11
	s_delay_alu instid0(VALU_DEP_2) | instskip(SKIP_3) | instid1(VALU_DEP_1)
	v_add_co_ci_u32_e32 v1, vcc_lo, s7, v1, vcc_lo
	global_load_u8 v0, v[0:1], off
	s_waitcnt vmcnt(0)
	v_and_b32_e32 v0, 1, v0
	v_cmp_eq_u32_e32 vcc_lo, 1, v0
	s_xor_b32 s6, vcc_lo, -1
	s_delay_alu instid0(SALU_CYCLE_1)
	s_or_not1_b32 s13, s6, exec_lo
	s_branch .LBB128_4
.LBB128_3:
	s_mov_b32 s13, -1
.LBB128_4:
	s_load_b64 s[8:9], s[0:1], 0x40
	s_waitcnt lgkmcnt(0)
	v_mul_lo_u32 v0, v11, s9
	s_delay_alu instid0(VALU_DEP_1) | instskip(NEXT) | instid1(VALU_DEP_1)
	v_ashrrev_i32_e32 v1, 31, v0
	v_lshlrev_b64 v[0:1], 1, v[0:1]
	s_delay_alu instid0(VALU_DEP_1) | instskip(NEXT) | instid1(VALU_DEP_2)
	v_add_co_u32 v0, vcc_lo, s4, v0
	v_add_co_ci_u32_e32 v1, vcc_lo, s5, v1, vcc_lo
	s_mov_b32 s4, 0x3fb8aa3b
	s_clause 0x1
	global_load_u16 v3, v[0:1], off offset:8
	global_load_b64 v[1:2], v[0:1], off
	s_waitcnt vmcnt(1)
	v_cvt_f32_f16_e64 v0, -v3
	s_delay_alu instid0(VALU_DEP_1) | instskip(SKIP_1) | instid1(VALU_DEP_1)
	v_cmp_ngt_f32_e32 vcc_lo, 0xc2ce8ed0, v0
	v_mul_f32_e32 v4, 0x3fb8aa3b, v0
	v_fma_mix_f32 v5, -v3, s4, -v4 op_sel_hi:[1,0,0]
	v_rndne_f32_e32 v6, v4
	s_mov_b32 s4, 0x32a5705f
	s_delay_alu instid0(VALU_DEP_2) | instid1(SALU_CYCLE_1)
	v_fma_mix_f32 v3, -v3, s4, v5 op_sel_hi:[1,0,0]
	s_delay_alu instid0(VALU_DEP_2) | instskip(SKIP_1) | instid1(VALU_DEP_1)
	v_sub_f32_e32 v4, v4, v6
	s_load_b128 s[4:7], s[0:1], 0x30
	v_add_f32_e32 v3, v4, v3
	v_cvt_i32_f32_e32 v4, v6
	s_delay_alu instid0(VALU_DEP_2) | instskip(SKIP_4) | instid1(VALU_DEP_1)
	v_exp_f32_e32 v3, v3
	s_waitcnt_depctr 0xfff
	v_ldexp_f32 v3, v3, v4
	s_waitcnt lgkmcnt(0)
	s_cmp_gt_i32 s4, 0
	v_cndmask_b32_e32 v3, 0, v3, vcc_lo
	v_cmp_nlt_f32_e32 vcc_lo, 0x42b17218, v0
	s_delay_alu instid0(VALU_DEP_2) | instskip(NEXT) | instid1(VALU_DEP_1)
	v_cndmask_b32_e32 v0, 0x7f800000, v3, vcc_lo
	v_add_f32_e32 v5, 1.0, v0
	s_delay_alu instid0(VALU_DEP_1) | instskip(SKIP_1) | instid1(VALU_DEP_2)
	v_div_scale_f32 v6, null, v5, v5, 1.0
	v_div_scale_f32 v10, vcc_lo, 1.0, v5, 1.0
	v_rcp_f32_e32 v9, v6
	s_waitcnt_depctr 0xfff
	v_fma_f32 v0, -v6, v9, 1.0
	s_delay_alu instid0(VALU_DEP_1) | instskip(SKIP_3) | instid1(VALU_DEP_2)
	v_fmac_f32_e32 v9, v0, v9
	v_mul_lo_u32 v0, v11, s7
	s_cselect_b32 s7, -1, 0
	s_cmp_lt_i32 s4, 1
	v_mul_f32_e32 v12, v10, v9
	s_delay_alu instid0(VALU_DEP_1) | instskip(NEXT) | instid1(VALU_DEP_1)
	v_fma_f32 v4, -v6, v12, v10
	v_dual_fmac_f32 v12, v4, v9 :: v_dual_add_nc_u32 v3, s4, v0
	s_delay_alu instid0(VALU_DEP_1) | instskip(NEXT) | instid1(VALU_DEP_2)
	v_ashrrev_i32_e32 v4, 31, v3
	v_fma_f32 v6, -v6, v12, v10
	s_delay_alu instid0(VALU_DEP_2) | instskip(SKIP_1) | instid1(VALU_DEP_3)
	v_lshlrev_b64 v[3:4], 2, v[3:4]
	v_mov_b32_e32 v10, 0
	v_div_fmas_f32 v6, v6, v9, v12
	s_delay_alu instid0(VALU_DEP_3) | instskip(NEXT) | instid1(VALU_DEP_4)
	v_add_co_u32 v3, vcc_lo, s2, v3
	v_add_co_ci_u32_e32 v4, vcc_lo, s3, v4, vcc_lo
	s_delay_alu instid0(VALU_DEP_3)
	v_div_fixup_f32 v5, v6, v5, 1.0
	global_store_b32 v[3:4], v5, off
	s_cbranch_scc1 .LBB128_8
; %bb.5:
	s_waitcnt vmcnt(0)
	v_bfi_b32 v1, 0xffff, v1, v1
	v_bfi_b32 v2, 0xffff, v2, v2
	v_mul_lo_u32 v17, v11, s4
	s_delay_alu instid0(VALU_DEP_3) | instskip(SKIP_1) | instid1(VALU_DEP_4)
	v_lshrrev_b32_e32 v3, 16, v1
	v_cvt_f32_f16_e32 v14, v1
	v_cvt_f32_f16_e32 v12, v2
	v_lshrrev_b32_e32 v2, 16, v2
	s_delay_alu instid0(VALU_DEP_4) | instskip(SKIP_1) | instid1(VALU_DEP_3)
	v_cvt_f32_f16_e32 v13, v3
	v_cmp_lt_f16_e32 vcc_lo, v1, v3
	v_cvt_f32_f16_e32 v16, v2
	s_delay_alu instid0(VALU_DEP_3) | instskip(SKIP_1) | instid1(VALU_DEP_2)
	v_cndmask_b32_e32 v3, v14, v13, vcc_lo
	v_cndmask_b32_e64 v1, 0, 1, vcc_lo
	v_cmp_lt_f32_e32 vcc_lo, v3, v12
	v_cndmask_b32_e32 v2, v3, v12, vcc_lo
	s_delay_alu instid0(VALU_DEP_3) | instskip(NEXT) | instid1(VALU_DEP_2)
	v_cndmask_b32_e64 v1, v1, 2, vcc_lo
	v_cmp_lt_f32_e32 vcc_lo, v2, v16
	v_cndmask_b32_e32 v9, v2, v16, vcc_lo
	s_delay_alu instid0(VALU_DEP_3) | instskip(SKIP_2) | instid1(VALU_DEP_3)
	v_cndmask_b32_e64 v15, v1, 3, vcc_lo
	v_mul_lo_u32 v2, v11, s8
	s_load_b128 s[8:11], s[0:1], 0x20
	v_sub_f32_e32 v10, v9, v9
	s_delay_alu instid0(VALU_DEP_3) | instskip(SKIP_1) | instid1(VALU_DEP_3)
	v_cmp_gt_i32_e64 s0, s6, v15
	v_subrev_nc_u32_e32 v20, s5, v15
	v_mul_f32_e32 v1, 0x3fb8aa3b, v10
	s_delay_alu instid0(VALU_DEP_1) | instskip(SKIP_1) | instid1(VALU_DEP_2)
	v_fma_f32 v3, 0x3fb8aa3b, v10, -v1
	v_rndne_f32_e32 v4, v1
	v_fmac_f32_e32 v3, 0x32a5705f, v10
	s_delay_alu instid0(VALU_DEP_2) | instskip(SKIP_2) | instid1(VALU_DEP_3)
	v_sub_f32_e32 v5, v1, v4
	v_ashrrev_i32_e32 v1, 31, v0
	v_cvt_i32_f32_e32 v4, v4
	v_add_f32_e32 v18, v5, v3
	s_delay_alu instid0(VALU_DEP_3) | instskip(SKIP_1) | instid1(VALU_DEP_3)
	v_lshlrev_b64 v[5:6], 2, v[0:1]
	v_ashrrev_i32_e32 v3, 31, v2
	v_exp_f32_e32 v19, v18
	v_ashrrev_i32_e32 v18, 31, v17
	s_delay_alu instid0(VALU_DEP_3) | instskip(NEXT) | instid1(VALU_DEP_4)
	v_add_co_u32 v5, vcc_lo, s2, v5
	v_add_co_ci_u32_e32 v6, vcc_lo, s3, v6, vcc_lo
	v_cmp_le_i32_e32 vcc_lo, s5, v15
	v_lshlrev_b64 v[1:2], 2, v[2:3]
	s_waitcnt_depctr 0xfff
	v_ldexp_f32 v19, v19, v4
	s_and_b32 s0, vcc_lo, s0
	v_cmp_ngt_f32_e32 vcc_lo, 0xc2ce8ed0, v10
	v_lshlrev_b64 v[3:4], 2, v[17:18]
	s_delay_alu instid0(VALU_DEP_3)
	v_cndmask_b32_e32 v19, 0, v19, vcc_lo
	s_waitcnt lgkmcnt(0)
	v_add_co_u32 v17, vcc_lo, s8, v1
	v_add_co_ci_u32_e32 v18, vcc_lo, s9, v2, vcc_lo
	s_and_b32 vcc_lo, s13, s0
	s_cmp_eq_u32 s4, 1
	v_cndmask_b32_e32 v21, 4, v20, vcc_lo
	v_cmp_nlt_f32_e32 vcc_lo, 0x42b17218, v10
	v_cndmask_b32_e32 v10, 0x7f800000, v19, vcc_lo
	v_add_co_u32 v19, vcc_lo, s10, v3
	v_add_co_ci_u32_e32 v20, vcc_lo, s11, v4, vcc_lo
	global_store_b32 v[17:18], v21, off
	global_store_b32 v[5:6], v10, off
	;; [unrolled: 1-line block ×3, first 2 shown]
	s_cbranch_scc1 .LBB128_8
; %bb.6:
	v_cmp_ne_u32_e32 vcc_lo, 3, v15
	s_add_i32 s14, s14, s12
	s_delay_alu instid0(SALU_CYCLE_1)
	v_add3_u32 v7, s14, v8, v7
	v_cndmask_b32_e32 v11, 0xff800000, v16, vcc_lo
	v_cmp_ne_u32_e32 vcc_lo, 2, v15
	v_cndmask_b32_e32 v12, 0xff800000, v12, vcc_lo
	v_cmp_ne_u32_e32 vcc_lo, 1, v15
	;; [unrolled: 2-line block ×3, first 2 shown]
	v_cndmask_b32_e32 v14, 0xff800000, v14, vcc_lo
	v_add_co_u32 v3, vcc_lo, v3, s10
	v_add_co_ci_u32_e32 v4, vcc_lo, s11, v4, vcc_lo
	v_add_co_u32 v15, vcc_lo, v1, s8
	v_add_co_ci_u32_e32 v16, vcc_lo, s9, v2, vcc_lo
	s_delay_alu instid0(VALU_DEP_4) | instskip(NEXT) | instid1(VALU_DEP_4)
	v_add_co_u32 v1, vcc_lo, v3, 4
	v_add_co_ci_u32_e32 v2, vcc_lo, 0, v4, vcc_lo
	s_delay_alu instid0(VALU_DEP_4) | instskip(NEXT) | instid1(VALU_DEP_4)
	v_add_co_u32 v3, vcc_lo, v15, 4
	v_add_co_ci_u32_e32 v4, vcc_lo, 0, v16, vcc_lo
	v_add_co_u32 v5, vcc_lo, v5, 4
	v_add_co_ci_u32_e32 v6, vcc_lo, 0, v6, vcc_lo
	s_add_i32 s8, s4, -1
.LBB128_7:                              ; =>This Inner Loop Header: Depth=1
	v_cmp_gt_f32_e32 vcc_lo, v13, v14
	s_add_i32 s8, s8, -1
	v_cndmask_b32_e32 v8, v14, v13, vcc_lo
	v_cndmask_b32_e64 v15, 0, 1, vcc_lo
	s_delay_alu instid0(VALU_DEP_2) | instskip(SKIP_1) | instid1(VALU_DEP_3)
	v_cmp_gt_f32_e32 vcc_lo, v12, v8
	v_cndmask_b32_e32 v8, v8, v12, vcc_lo
	v_cndmask_b32_e64 v15, v15, 2, vcc_lo
	s_delay_alu instid0(VALU_DEP_2) | instskip(NEXT) | instid1(VALU_DEP_2)
	v_cmp_gt_f32_e32 vcc_lo, v11, v8
	v_cndmask_b32_e64 v15, v15, 3, vcc_lo
	v_cndmask_b32_e32 v8, v8, v11, vcc_lo
	s_delay_alu instid0(VALU_DEP_2) | instskip(SKIP_4) | instid1(VALU_DEP_4)
	v_cmp_le_i32_e32 vcc_lo, s5, v15
	v_cmp_gt_i32_e64 s0, s6, v15
	v_subrev_nc_u32_e32 v17, s5, v15
	v_cmp_ne_u32_e64 s1, 3, v15
	v_sub_f32_e32 v8, v8, v9
	s_and_b32 s0, vcc_lo, s0
	s_delay_alu instid0(SALU_CYCLE_1) | instskip(NEXT) | instid1(VALU_DEP_2)
	s_and_b32 vcc_lo, s13, s0
	v_cndmask_b32_e64 v11, 0xff800000, v11, s1
	v_cndmask_b32_e32 v17, 4, v17, vcc_lo
	v_cmp_ne_u32_e64 s1, 2, v15
	s_cmp_eq_u32 s8, 0
	global_store_b32 v[3:4], v17, off
	global_store_b32 v[1:2], v7, off
	v_add_nc_u32_e32 v7, s12, v7
	v_add_co_u32 v1, vcc_lo, v1, 4
	v_add_co_ci_u32_e32 v2, vcc_lo, 0, v2, vcc_lo
	v_add_co_u32 v3, vcc_lo, v3, 4
	v_add_co_ci_u32_e32 v4, vcc_lo, 0, v4, vcc_lo
	v_cndmask_b32_e64 v12, 0xff800000, v12, s1
	v_cmp_ne_u32_e64 s1, 1, v15
	v_cmp_ngt_f32_e32 vcc_lo, 0xc2ce8ed0, v8
	v_mul_f32_e32 v16, 0x3fb8aa3b, v8
	s_delay_alu instid0(VALU_DEP_3) | instskip(SKIP_1) | instid1(VALU_DEP_3)
	v_cndmask_b32_e64 v13, 0xff800000, v13, s1
	v_cmp_ne_u32_e64 s1, 0, v15
	v_fma_f32 v15, 0x3fb8aa3b, v8, -v16
	v_rndne_f32_e32 v18, v16
	s_delay_alu instid0(VALU_DEP_3) | instskip(NEXT) | instid1(VALU_DEP_2)
	v_cndmask_b32_e64 v14, 0xff800000, v14, s1
	v_dual_fmac_f32 v15, 0x32a5705f, v8 :: v_dual_sub_f32 v16, v16, v18
	v_cvt_i32_f32_e32 v18, v18
	s_delay_alu instid0(VALU_DEP_2) | instskip(NEXT) | instid1(VALU_DEP_1)
	v_add_f32_e32 v15, v16, v15
	v_exp_f32_e32 v15, v15
	s_waitcnt_depctr 0xfff
	v_ldexp_f32 v15, v15, v18
	s_delay_alu instid0(VALU_DEP_1) | instskip(SKIP_1) | instid1(VALU_DEP_2)
	v_cndmask_b32_e32 v15, 0, v15, vcc_lo
	v_cmp_nlt_f32_e32 vcc_lo, 0x42b17218, v8
	v_cndmask_b32_e32 v8, 0x7f800000, v15, vcc_lo
	global_store_b32 v[5:6], v8, off
	v_add_co_u32 v5, vcc_lo, v5, 4
	v_add_f32_e32 v10, v10, v8
	v_add_co_ci_u32_e32 v6, vcc_lo, 0, v6, vcc_lo
	s_cbranch_scc0 .LBB128_7
.LBB128_8:
	s_delay_alu instid0(VALU_DEP_2)
	v_cmp_neq_f32_e32 vcc_lo, 0, v10
	s_and_b32 exec_lo, exec_lo, vcc_lo
	s_cbranch_execz .LBB128_12
; %bb.9:
	s_and_not1_b32 vcc_lo, exec_lo, s7
	s_cbranch_vccnz .LBB128_12
; %bb.10:
	s_waitcnt vmcnt(0)
	v_div_scale_f32 v1, null, v10, v10, 1.0
	v_div_scale_f32 v4, vcc_lo, 1.0, v10, 1.0
	s_delay_alu instid0(VALU_DEP_2) | instskip(SKIP_2) | instid1(VALU_DEP_1)
	v_rcp_f32_e32 v2, v1
	s_waitcnt_depctr 0xfff
	v_fma_f32 v3, -v1, v2, 1.0
	v_fmac_f32_e32 v2, v3, v2
	s_delay_alu instid0(VALU_DEP_1) | instskip(NEXT) | instid1(VALU_DEP_1)
	v_mul_f32_e32 v3, v4, v2
	v_fma_f32 v5, -v1, v3, v4
	s_delay_alu instid0(VALU_DEP_1) | instskip(NEXT) | instid1(VALU_DEP_1)
	v_fmac_f32_e32 v3, v5, v2
	v_fma_f32 v4, -v1, v3, v4
	v_ashrrev_i32_e32 v1, 31, v0
	s_delay_alu instid0(VALU_DEP_2) | instskip(NEXT) | instid1(VALU_DEP_2)
	v_div_fmas_f32 v2, v4, v2, v3
	v_lshlrev_b64 v[0:1], 2, v[0:1]
	s_delay_alu instid0(VALU_DEP_2) | instskip(NEXT) | instid1(VALU_DEP_2)
	v_div_fixup_f32 v2, v2, v10, 1.0
	v_add_co_u32 v0, vcc_lo, s2, v0
	s_delay_alu instid0(VALU_DEP_3)
	v_add_co_ci_u32_e32 v1, vcc_lo, s3, v1, vcc_lo
.LBB128_11:                             ; =>This Inner Loop Header: Depth=1
	global_load_b32 v3, v[0:1], off
	s_add_i32 s4, s4, -1
	s_delay_alu instid0(SALU_CYCLE_1)
	s_cmp_lg_u32 s4, 0
	s_waitcnt vmcnt(0)
	v_mul_f32_e32 v3, v2, v3
	global_store_b32 v[0:1], v3, off
	v_add_co_u32 v0, vcc_lo, v0, 4
	v_add_co_ci_u32_e32 v1, vcc_lo, 0, v1, vcc_lo
	s_cbranch_scc1 .LBB128_11
.LBB128_12:
	s_nop 0
	s_sendmsg sendmsg(MSG_DEALLOC_VGPRS)
	s_endpgm
	.section	.rodata,"a",@progbits
	.p2align	6, 0x0
	.amdhsa_kernel _ZN4vllm3moe17topkGatingSoftmaxIDF16_Li4ELi4ELi8ELi8ELb1ELi1ELNS0_23SharedExpertScoringFuncE1EEEvPKT_PKbPfiPiS9_iiiiii
		.amdhsa_group_segment_fixed_size 0
		.amdhsa_private_segment_fixed_size 0
		.amdhsa_kernarg_size 72
		.amdhsa_user_sgpr_count 15
		.amdhsa_user_sgpr_dispatch_ptr 0
		.amdhsa_user_sgpr_queue_ptr 0
		.amdhsa_user_sgpr_kernarg_segment_ptr 1
		.amdhsa_user_sgpr_dispatch_id 0
		.amdhsa_user_sgpr_private_segment_size 0
		.amdhsa_wavefront_size32 1
		.amdhsa_uses_dynamic_stack 0
		.amdhsa_enable_private_segment 0
		.amdhsa_system_sgpr_workgroup_id_x 1
		.amdhsa_system_sgpr_workgroup_id_y 0
		.amdhsa_system_sgpr_workgroup_id_z 0
		.amdhsa_system_sgpr_workgroup_info 0
		.amdhsa_system_vgpr_workitem_id 1
		.amdhsa_next_free_vgpr 22
		.amdhsa_next_free_sgpr 16
		.amdhsa_reserve_vcc 1
		.amdhsa_float_round_mode_32 0
		.amdhsa_float_round_mode_16_64 0
		.amdhsa_float_denorm_mode_32 3
		.amdhsa_float_denorm_mode_16_64 3
		.amdhsa_dx10_clamp 1
		.amdhsa_ieee_mode 1
		.amdhsa_fp16_overflow 0
		.amdhsa_workgroup_processor_mode 1
		.amdhsa_memory_ordered 1
		.amdhsa_forward_progress 0
		.amdhsa_shared_vgpr_count 0
		.amdhsa_exception_fp_ieee_invalid_op 0
		.amdhsa_exception_fp_denorm_src 0
		.amdhsa_exception_fp_ieee_div_zero 0
		.amdhsa_exception_fp_ieee_overflow 0
		.amdhsa_exception_fp_ieee_underflow 0
		.amdhsa_exception_fp_ieee_inexact 0
		.amdhsa_exception_int_div_zero 0
	.end_amdhsa_kernel
	.section	.text._ZN4vllm3moe17topkGatingSoftmaxIDF16_Li4ELi4ELi8ELi8ELb1ELi1ELNS0_23SharedExpertScoringFuncE1EEEvPKT_PKbPfiPiS9_iiiiii,"axG",@progbits,_ZN4vllm3moe17topkGatingSoftmaxIDF16_Li4ELi4ELi8ELi8ELb1ELi1ELNS0_23SharedExpertScoringFuncE1EEEvPKT_PKbPfiPiS9_iiiiii,comdat
.Lfunc_end128:
	.size	_ZN4vllm3moe17topkGatingSoftmaxIDF16_Li4ELi4ELi8ELi8ELb1ELi1ELNS0_23SharedExpertScoringFuncE1EEEvPKT_PKbPfiPiS9_iiiiii, .Lfunc_end128-_ZN4vllm3moe17topkGatingSoftmaxIDF16_Li4ELi4ELi8ELi8ELb1ELi1ELNS0_23SharedExpertScoringFuncE1EEEvPKT_PKbPfiPiS9_iiiiii
                                        ; -- End function
	.section	.AMDGPU.csdata,"",@progbits
; Kernel info:
; codeLenInByte = 1656
; NumSgprs: 18
; NumVgprs: 22
; ScratchSize: 0
; MemoryBound: 0
; FloatMode: 240
; IeeeMode: 1
; LDSByteSize: 0 bytes/workgroup (compile time only)
; SGPRBlocks: 2
; VGPRBlocks: 2
; NumSGPRsForWavesPerEU: 18
; NumVGPRsForWavesPerEU: 22
; Occupancy: 16
; WaveLimiterHint : 0
; COMPUTE_PGM_RSRC2:SCRATCH_EN: 0
; COMPUTE_PGM_RSRC2:USER_SGPR: 15
; COMPUTE_PGM_RSRC2:TRAP_HANDLER: 0
; COMPUTE_PGM_RSRC2:TGID_X_EN: 1
; COMPUTE_PGM_RSRC2:TGID_Y_EN: 0
; COMPUTE_PGM_RSRC2:TGID_Z_EN: 0
; COMPUTE_PGM_RSRC2:TIDIG_COMP_CNT: 1
	.section	.text._ZN4vllm3moe17topkGatingSoftmaxIDF16_Li4ELi4ELi8ELi8ELb0ELi1ELNS0_23SharedExpertScoringFuncE1EEEvPKT_PKbPfiPiS9_iiiiii,"axG",@progbits,_ZN4vllm3moe17topkGatingSoftmaxIDF16_Li4ELi4ELi8ELi8ELb0ELi1ELNS0_23SharedExpertScoringFuncE1EEEvPKT_PKbPfiPiS9_iiiiii,comdat
	.protected	_ZN4vllm3moe17topkGatingSoftmaxIDF16_Li4ELi4ELi8ELi8ELb0ELi1ELNS0_23SharedExpertScoringFuncE1EEEvPKT_PKbPfiPiS9_iiiiii ; -- Begin function _ZN4vllm3moe17topkGatingSoftmaxIDF16_Li4ELi4ELi8ELi8ELb0ELi1ELNS0_23SharedExpertScoringFuncE1EEEvPKT_PKbPfiPiS9_iiiiii
	.globl	_ZN4vllm3moe17topkGatingSoftmaxIDF16_Li4ELi4ELi8ELi8ELb0ELi1ELNS0_23SharedExpertScoringFuncE1EEEvPKT_PKbPfiPiS9_iiiiii
	.p2align	8
	.type	_ZN4vllm3moe17topkGatingSoftmaxIDF16_Li4ELi4ELi8ELi8ELb0ELi1ELNS0_23SharedExpertScoringFuncE1EEEvPKT_PKbPfiPiS9_iiiiii,@function
_ZN4vllm3moe17topkGatingSoftmaxIDF16_Li4ELi4ELi8ELi8ELb0ELi1ELNS0_23SharedExpertScoringFuncE1EEEvPKT_PKbPfiPiS9_iiiiii: ; @_ZN4vllm3moe17topkGatingSoftmaxIDF16_Li4ELi4ELi8ELi8ELb0ELi1ELNS0_23SharedExpertScoringFuncE1EEEvPKT_PKbPfiPiS9_iiiiii
; %bb.0:
	s_load_b32 s14, s[0:1], 0x18
	v_bfe_u32 v1, v0, 10, 10
	v_and_b32_e32 v14, 0x3ff, v0
	s_lshl_b32 s16, s15, 8
	s_mov_b32 s2, exec_lo
	s_delay_alu instid0(VALU_DEP_2) | instskip(NEXT) | instid1(VALU_DEP_1)
	v_lshlrev_b32_e32 v13, 5, v1
	v_add3_u32 v15, v13, v14, s16
	s_waitcnt lgkmcnt(0)
	s_delay_alu instid0(VALU_DEP_1)
	v_cmpx_gt_i32_e64 s14, v15
	s_cbranch_execz .LBB129_12
; %bb.1:
	s_clause 0x1
	s_load_b128 s[4:7], s[0:1], 0x0
	s_load_b64 s[12:13], s[0:1], 0x10
	s_waitcnt lgkmcnt(0)
	s_cmp_eq_u64 s[6:7], 0
	s_cbranch_scc1 .LBB129_3
; %bb.2:
	v_ashrrev_i32_e32 v1, 31, v15
	v_add_co_u32 v0, vcc_lo, s6, v15
	s_delay_alu instid0(VALU_DEP_2) | instskip(SKIP_3) | instid1(VALU_DEP_1)
	v_add_co_ci_u32_e32 v1, vcc_lo, s7, v1, vcc_lo
	global_load_u8 v0, v[0:1], off
	s_waitcnt vmcnt(0)
	v_and_b32_e32 v0, 1, v0
	v_cmp_eq_u32_e32 vcc_lo, 1, v0
	s_xor_b32 s2, vcc_lo, -1
	s_delay_alu instid0(SALU_CYCLE_1)
	s_or_not1_b32 s15, s2, exec_lo
	s_branch .LBB129_4
.LBB129_3:
	s_mov_b32 s15, -1
.LBB129_4:
	s_load_b64 s[8:9], s[0:1], 0x40
	s_mov_b32 s2, 0x3fb8aa3b
	s_waitcnt lgkmcnt(0)
	v_mul_lo_u32 v0, v15, s9
	s_delay_alu instid0(VALU_DEP_1) | instskip(NEXT) | instid1(VALU_DEP_1)
	v_ashrrev_i32_e32 v1, 31, v0
	v_lshlrev_b64 v[0:1], 1, v[0:1]
	s_delay_alu instid0(VALU_DEP_1) | instskip(NEXT) | instid1(VALU_DEP_2)
	v_add_co_u32 v0, vcc_lo, s4, v0
	v_add_co_ci_u32_e32 v1, vcc_lo, s5, v1, vcc_lo
	s_load_b128 s[4:7], s[0:1], 0x30
	s_clause 0x1
	global_load_u16 v3, v[0:1], off offset:8
	global_load_b64 v[1:2], v[0:1], off
	s_waitcnt lgkmcnt(0)
	s_cmp_gt_i32 s4, 0
	s_waitcnt vmcnt(1)
	v_cvt_f32_f16_e64 v0, -v3
	s_waitcnt vmcnt(0)
	v_lshrrev_b32_e32 v7, 16, v1
	v_cvt_f32_f16_e32 v11, v1
	v_cvt_f32_f16_e32 v8, v2
	v_lshrrev_b32_e32 v18, 16, v2
	v_cmp_ngt_f32_e32 vcc_lo, 0xc2ce8ed0, v0
	v_mul_f32_e32 v4, 0x3fb8aa3b, v0
	v_cvt_f32_f16_e32 v10, v7
	v_cmp_lt_f16_e64 s3, v1, v7
	v_cvt_f32_f16_e32 v7, v18
	s_delay_alu instid0(VALU_DEP_4)
	v_fma_mix_f32 v5, -v3, s2, -v4 op_sel_hi:[1,0,0]
	v_rndne_f32_e32 v6, v4
	s_mov_b32 s2, 0x32a5705f
	s_delay_alu instid0(VALU_DEP_2) | instid1(SALU_CYCLE_1)
	v_fma_mix_f32 v3, -v3, s2, v5 op_sel_hi:[1,0,0]
	s_delay_alu instid0(VALU_DEP_2) | instskip(NEXT) | instid1(VALU_DEP_1)
	v_sub_f32_e32 v4, v4, v6
	v_add_f32_e32 v3, v4, v3
	v_cvt_i32_f32_e32 v4, v6
	s_delay_alu instid0(VALU_DEP_2) | instskip(SKIP_2) | instid1(VALU_DEP_1)
	v_exp_f32_e32 v3, v3
	s_waitcnt_depctr 0xfff
	v_ldexp_f32 v3, v3, v4
	v_cndmask_b32_e32 v3, 0, v3, vcc_lo
	v_cmp_nlt_f32_e32 vcc_lo, 0x42b17218, v0
	s_delay_alu instid0(VALU_DEP_2) | instskip(NEXT) | instid1(VALU_DEP_1)
	v_cndmask_b32_e32 v0, 0x7f800000, v3, vcc_lo
	v_add_f32_e32 v5, 1.0, v0
	v_mul_lo_u32 v0, v15, s7
	s_cselect_b32 s7, -1, 0
	s_cmp_lt_i32 s4, 1
	s_delay_alu instid0(VALU_DEP_2) | instskip(SKIP_1) | instid1(VALU_DEP_2)
	v_div_scale_f32 v6, null, v5, v5, 1.0
	v_div_scale_f32 v12, vcc_lo, 1.0, v5, 1.0
	v_rcp_f32_e32 v9, v6
	s_waitcnt_depctr 0xfff
	v_fma_f32 v3, -v6, v9, 1.0
	s_delay_alu instid0(VALU_DEP_1) | instskip(NEXT) | instid1(VALU_DEP_1)
	v_fmac_f32_e32 v9, v3, v9
	v_dual_mul_f32 v16, v12, v9 :: v_dual_add_nc_u32 v3, s4, v0
	s_delay_alu instid0(VALU_DEP_1) | instskip(NEXT) | instid1(VALU_DEP_2)
	v_ashrrev_i32_e32 v4, 31, v3
	v_fma_f32 v17, -v6, v16, v12
	s_delay_alu instid0(VALU_DEP_2) | instskip(NEXT) | instid1(VALU_DEP_2)
	v_lshlrev_b64 v[1:2], 2, v[3:4]
	v_fmac_f32_e32 v16, v17, v9
	v_cndmask_b32_e64 v17, v11, v10, s3
	s_delay_alu instid0(VALU_DEP_2) | instskip(NEXT) | instid1(VALU_DEP_2)
	v_fma_f32 v3, -v6, v16, v12
	v_cmp_lt_f32_e64 s2, v17, v8
	v_mov_b32_e32 v12, 0
	s_delay_alu instid0(VALU_DEP_3) | instskip(NEXT) | instid1(VALU_DEP_3)
	v_div_fmas_f32 v3, v3, v9, v16
	v_cndmask_b32_e64 v4, v17, v8, s2
	v_add_co_u32 v1, vcc_lo, s12, v1
	v_add_co_ci_u32_e32 v2, vcc_lo, s13, v2, vcc_lo
	s_delay_alu instid0(VALU_DEP_3)
	v_cmp_lt_f32_e32 vcc_lo, v4, v7
	v_div_fixup_f32 v3, v3, v5, 1.0
	v_cndmask_b32_e32 v9, v4, v7, vcc_lo
	global_store_b32 v[1:2], v3, off
	s_cbranch_scc1 .LBB129_8
; %bb.5:
	v_sub_f32_e32 v12, v9, v9
	v_cndmask_b32_e64 v4, 0, 1, s3
	v_mul_lo_u32 v2, v15, s8
	v_ashrrev_i32_e32 v1, 31, v0
	s_load_b128 s[8:11], s[0:1], 0x20
	v_mul_f32_e32 v3, 0x3fb8aa3b, v12
	v_mul_lo_u32 v16, v15, s4
	v_cndmask_b32_e64 v4, v4, 2, s2
	v_lshlrev_b64 v[5:6], 2, v[0:1]
	s_delay_alu instid0(VALU_DEP_4) | instskip(SKIP_1) | instid1(VALU_DEP_4)
	v_rndne_f32_e32 v18, v3
	v_fma_f32 v19, 0x3fb8aa3b, v12, -v3
	v_cndmask_b32_e64 v21, v4, 3, vcc_lo
	v_ashrrev_i32_e32 v17, 31, v16
	s_delay_alu instid0(VALU_DEP_3) | instskip(SKIP_3) | instid1(VALU_DEP_4)
	v_dual_sub_f32 v20, v3, v18 :: v_dual_fmac_f32 v19, 0x32a5705f, v12
	v_ashrrev_i32_e32 v3, 31, v2
	v_add_co_u32 v5, vcc_lo, s12, v5
	v_add_co_ci_u32_e32 v6, vcc_lo, s13, v6, vcc_lo
	v_add_f32_e32 v1, v20, v19
	v_cmp_le_i32_e32 vcc_lo, s5, v21
	v_cmp_gt_i32_e64 s0, s6, v21
	v_subrev_nc_u32_e32 v20, s5, v21
	v_cmp_ne_u32_e64 s1, 3, v21
	v_exp_f32_e32 v19, v1
	v_lshlrev_b64 v[1:2], 2, v[2:3]
	v_lshlrev_b64 v[3:4], 2, v[16:17]
	v_cvt_i32_f32_e32 v16, v18
	s_and_b32 s0, vcc_lo, s0
	v_cndmask_b32_e64 v7, 0xff800000, v7, s1
	s_waitcnt_depctr 0xfff
	v_ldexp_f32 v18, v19, v16
	s_waitcnt lgkmcnt(0)
	v_add_co_u32 v16, vcc_lo, s8, v1
	v_add_co_ci_u32_e32 v17, vcc_lo, s9, v2, vcc_lo
	v_cmp_ngt_f32_e32 vcc_lo, 0xc2ce8ed0, v12
	v_cndmask_b32_e32 v22, 0, v18, vcc_lo
	v_add_co_u32 v18, vcc_lo, s10, v3
	v_add_co_ci_u32_e32 v19, vcc_lo, s11, v4, vcc_lo
	s_and_b32 vcc_lo, s15, s0
	s_cmp_eq_u32 s4, 1
	v_cndmask_b32_e32 v20, 4, v20, vcc_lo
	v_cmp_nlt_f32_e32 vcc_lo, 0x42b17218, v12
	v_cndmask_b32_e32 v12, 0x7f800000, v22, vcc_lo
	v_cmp_ne_u32_e32 vcc_lo, 2, v21
	global_store_b32 v[5:6], v12, off
	v_cndmask_b32_e32 v8, 0xff800000, v8, vcc_lo
	v_cmp_ne_u32_e32 vcc_lo, 1, v21
	global_store_b32 v[16:17], v20, off
	global_store_b32 v[18:19], v15, off
	v_cndmask_b32_e32 v10, 0xff800000, v10, vcc_lo
	v_cmp_ne_u32_e32 vcc_lo, 0, v21
	v_cndmask_b32_e32 v11, 0xff800000, v11, vcc_lo
	s_cbranch_scc1 .LBB129_8
; %bb.6:
	v_add_co_u32 v3, vcc_lo, v3, s10
	v_add_co_ci_u32_e32 v4, vcc_lo, s11, v4, vcc_lo
	v_add_co_u32 v15, vcc_lo, v1, s8
	v_add_co_ci_u32_e32 v16, vcc_lo, s9, v2, vcc_lo
	s_delay_alu instid0(VALU_DEP_4) | instskip(NEXT) | instid1(VALU_DEP_4)
	v_add_co_u32 v1, vcc_lo, v3, 4
	v_add_co_ci_u32_e32 v2, vcc_lo, 0, v4, vcc_lo
	s_delay_alu instid0(VALU_DEP_4) | instskip(NEXT) | instid1(VALU_DEP_4)
	v_add_co_u32 v3, vcc_lo, v15, 4
	v_add_co_ci_u32_e32 v4, vcc_lo, 0, v16, vcc_lo
	s_add_i32 s16, s16, s14
	v_add_co_u32 v5, vcc_lo, v5, 4
	v_add_co_ci_u32_e32 v6, vcc_lo, 0, v6, vcc_lo
	v_add3_u32 v13, s16, v14, v13
	s_add_i32 s2, s4, -1
.LBB129_7:                              ; =>This Inner Loop Header: Depth=1
	v_cmp_gt_f32_e32 vcc_lo, v10, v11
	s_add_i32 s2, s2, -1
	v_cndmask_b32_e32 v14, v11, v10, vcc_lo
	v_cndmask_b32_e64 v15, 0, 1, vcc_lo
	s_delay_alu instid0(VALU_DEP_2) | instskip(SKIP_1) | instid1(VALU_DEP_3)
	v_cmp_gt_f32_e32 vcc_lo, v8, v14
	v_cndmask_b32_e32 v14, v14, v8, vcc_lo
	v_cndmask_b32_e64 v15, v15, 2, vcc_lo
	s_delay_alu instid0(VALU_DEP_2) | instskip(NEXT) | instid1(VALU_DEP_2)
	v_cmp_gt_f32_e32 vcc_lo, v7, v14
	v_cndmask_b32_e64 v15, v15, 3, vcc_lo
	v_cndmask_b32_e32 v14, v14, v7, vcc_lo
	s_delay_alu instid0(VALU_DEP_2) | instskip(SKIP_3) | instid1(VALU_DEP_3)
	v_cmp_le_i32_e32 vcc_lo, s5, v15
	v_cmp_gt_i32_e64 s0, s6, v15
	v_subrev_nc_u32_e32 v17, s5, v15
	v_cmp_ne_u32_e64 s1, 3, v15
	s_and_b32 s0, vcc_lo, s0
	s_delay_alu instid0(SALU_CYCLE_1) | instskip(NEXT) | instid1(VALU_DEP_1)
	s_and_b32 vcc_lo, s15, s0
	v_cndmask_b32_e64 v7, 0xff800000, v7, s1
	v_cndmask_b32_e32 v17, 4, v17, vcc_lo
	v_cmp_ne_u32_e64 s1, 2, v15
	s_cmp_eq_u32 s2, 0
	global_store_b32 v[3:4], v17, off
	global_store_b32 v[1:2], v13, off
	v_add_nc_u32_e32 v13, s14, v13
	v_sub_f32_e32 v14, v14, v9
	v_cndmask_b32_e64 v8, 0xff800000, v8, s1
	v_cmp_ne_u32_e64 s1, 1, v15
	v_add_co_u32 v1, vcc_lo, v1, 4
	s_delay_alu instid0(VALU_DEP_4) | instskip(SKIP_1) | instid1(VALU_DEP_4)
	v_mul_f32_e32 v16, 0x3fb8aa3b, v14
	v_add_co_ci_u32_e32 v2, vcc_lo, 0, v2, vcc_lo
	v_cndmask_b32_e64 v10, 0xff800000, v10, s1
	v_cmp_ne_u32_e64 s1, 0, v15
	s_delay_alu instid0(VALU_DEP_4) | instskip(SKIP_3) | instid1(VALU_DEP_4)
	v_fma_f32 v15, 0x3fb8aa3b, v14, -v16
	v_rndne_f32_e32 v18, v16
	v_add_co_u32 v3, vcc_lo, v3, 4
	v_add_co_ci_u32_e32 v4, vcc_lo, 0, v4, vcc_lo
	v_fmac_f32_e32 v15, 0x32a5705f, v14
	s_delay_alu instid0(VALU_DEP_4) | instskip(SKIP_3) | instid1(VALU_DEP_4)
	v_sub_f32_e32 v16, v16, v18
	v_cvt_i32_f32_e32 v18, v18
	v_cmp_ngt_f32_e32 vcc_lo, 0xc2ce8ed0, v14
	v_cndmask_b32_e64 v11, 0xff800000, v11, s1
	v_add_f32_e32 v15, v16, v15
	s_delay_alu instid0(VALU_DEP_1) | instskip(SKIP_2) | instid1(VALU_DEP_1)
	v_exp_f32_e32 v15, v15
	s_waitcnt_depctr 0xfff
	v_ldexp_f32 v15, v15, v18
	v_cndmask_b32_e32 v15, 0, v15, vcc_lo
	v_cmp_nlt_f32_e32 vcc_lo, 0x42b17218, v14
	s_delay_alu instid0(VALU_DEP_2)
	v_cndmask_b32_e32 v14, 0x7f800000, v15, vcc_lo
	global_store_b32 v[5:6], v14, off
	v_add_co_u32 v5, vcc_lo, v5, 4
	v_add_f32_e32 v12, v12, v14
	v_add_co_ci_u32_e32 v6, vcc_lo, 0, v6, vcc_lo
	s_cbranch_scc0 .LBB129_7
.LBB129_8:
	v_sub_f32_e32 v4, v7, v9
	s_delay_alu instid0(VALU_DEP_1) | instskip(NEXT) | instid1(VALU_DEP_1)
	v_dual_sub_f32 v3, v8, v9 :: v_dual_mul_f32 v8, 0x3fb8aa3b, v4
	v_dual_sub_f32 v2, v10, v9 :: v_dual_mul_f32 v7, 0x3fb8aa3b, v3
	v_sub_f32_e32 v1, v11, v9
	s_delay_alu instid0(VALU_DEP_3) | instskip(NEXT) | instid1(VALU_DEP_3)
	v_rndne_f32_e32 v17, v8
	v_mul_f32_e32 v6, 0x3fb8aa3b, v2
	s_delay_alu instid0(VALU_DEP_4) | instskip(SKIP_2) | instid1(VALU_DEP_4)
	v_fma_f32 v14, 0x3fb8aa3b, v3, -v7
	v_rndne_f32_e32 v15, v7
	v_cmp_ngt_f32_e32 vcc_lo, 0xc2ce8ed0, v1
	v_fma_f32 v11, 0x3fb8aa3b, v2, -v6
	v_rndne_f32_e32 v13, v6
	s_delay_alu instid0(VALU_DEP_4) | instskip(NEXT) | instid1(VALU_DEP_3)
	v_sub_f32_e32 v7, v7, v15
	v_dual_fmac_f32 v14, 0x32a5705f, v3 :: v_dual_fmac_f32 v11, 0x32a5705f, v2
	s_delay_alu instid0(VALU_DEP_3) | instskip(NEXT) | instid1(VALU_DEP_1)
	v_sub_f32_e32 v6, v6, v13
	v_dual_mul_f32 v5, 0x3fb8aa3b, v1 :: v_dual_add_f32 v6, v6, v11
	s_delay_alu instid0(VALU_DEP_1) | instskip(SKIP_2) | instid1(VALU_DEP_4)
	v_fma_f32 v9, 0x3fb8aa3b, v1, -v5
	v_rndne_f32_e32 v10, v5
	v_cvt_i32_f32_e32 v11, v15
	v_exp_f32_e32 v6, v6
	s_delay_alu instid0(VALU_DEP_3) | instskip(NEXT) | instid1(VALU_DEP_3)
	v_fmac_f32_e32 v9, 0x32a5705f, v1
	v_sub_f32_e32 v5, v5, v10
	v_fma_f32 v16, 0x3fb8aa3b, v4, -v8
	v_sub_f32_e32 v8, v8, v17
	s_delay_alu instid0(VALU_DEP_2) | instskip(SKIP_3) | instid1(VALU_DEP_4)
	v_dual_add_f32 v5, v5, v9 :: v_dual_fmac_f32 v16, 0x32a5705f, v4
	v_cvt_i32_f32_e32 v9, v10
	v_cvt_i32_f32_e32 v10, v13
	v_add_f32_e32 v7, v7, v14
	v_exp_f32_e32 v5, v5
	v_add_f32_e32 v8, v8, v16
	s_delay_alu instid0(VALU_DEP_3) | instskip(NEXT) | instid1(VALU_DEP_3)
	v_ldexp_f32 v6, v6, v10
	v_exp_f32_e32 v7, v7
	s_delay_alu instid0(VALU_DEP_2) | instskip(NEXT) | instid1(TRANS32_DEP_3)
	v_exp_f32_e32 v8, v8
	v_ldexp_f32 v5, v5, v9
	v_cvt_i32_f32_e32 v9, v17
	s_waitcnt_depctr 0xfff
	v_ldexp_f32 v7, v7, v11
	v_cndmask_b32_e32 v5, 0, v5, vcc_lo
	v_cmp_ngt_f32_e32 vcc_lo, 0xc2ce8ed0, v2
	v_cndmask_b32_e32 v6, 0, v6, vcc_lo
	v_cmp_nlt_f32_e32 vcc_lo, 0x42b17218, v1
	s_delay_alu instid0(VALU_DEP_4) | instskip(SKIP_1) | instid1(VALU_DEP_4)
	v_cndmask_b32_e32 v1, 0x7f800000, v5, vcc_lo
	v_cmp_nlt_f32_e32 vcc_lo, 0x42b17218, v2
	v_cndmask_b32_e32 v2, 0x7f800000, v6, vcc_lo
	v_cmp_ngt_f32_e32 vcc_lo, 0xc2ce8ed0, v3
	v_ldexp_f32 v6, v8, v9
	v_cndmask_b32_e32 v5, 0, v7, vcc_lo
	v_cmp_nlt_f32_e32 vcc_lo, 0x42b17218, v3
	s_delay_alu instid0(VALU_DEP_2) | instskip(SKIP_3) | instid1(VALU_DEP_2)
	v_dual_add_f32 v1, v1, v2 :: v_dual_cndmask_b32 v2, 0x7f800000, v5
	v_cmp_ngt_f32_e32 vcc_lo, 0xc2ce8ed0, v4
	v_cndmask_b32_e32 v3, 0, v6, vcc_lo
	v_cmp_nlt_f32_e32 vcc_lo, 0x42b17218, v4
	v_dual_add_f32 v1, v1, v2 :: v_dual_cndmask_b32 v2, 0x7f800000, v3
	s_delay_alu instid0(VALU_DEP_1) | instskip(NEXT) | instid1(VALU_DEP_1)
	v_add_f32_e32 v1, v1, v2
	v_add_f32_e32 v2, v12, v1
	s_delay_alu instid0(VALU_DEP_1)
	v_cmp_neq_f32_e32 vcc_lo, 0, v2
	s_and_b32 exec_lo, exec_lo, vcc_lo
	s_cbranch_execz .LBB129_12
; %bb.9:
	s_and_not1_b32 vcc_lo, exec_lo, s7
	s_cbranch_vccnz .LBB129_12
; %bb.10:
	v_div_scale_f32 v1, null, v2, v2, 1.0
	v_div_scale_f32 v5, vcc_lo, 1.0, v2, 1.0
	s_delay_alu instid0(VALU_DEP_2) | instskip(SKIP_2) | instid1(VALU_DEP_1)
	v_rcp_f32_e32 v3, v1
	s_waitcnt_depctr 0xfff
	v_fma_f32 v4, -v1, v3, 1.0
	v_fmac_f32_e32 v3, v4, v3
	s_delay_alu instid0(VALU_DEP_1) | instskip(NEXT) | instid1(VALU_DEP_1)
	v_mul_f32_e32 v4, v5, v3
	v_fma_f32 v6, -v1, v4, v5
	s_delay_alu instid0(VALU_DEP_1) | instskip(NEXT) | instid1(VALU_DEP_1)
	v_fmac_f32_e32 v4, v6, v3
	v_fma_f32 v5, -v1, v4, v5
	v_ashrrev_i32_e32 v1, 31, v0
	s_delay_alu instid0(VALU_DEP_2) | instskip(NEXT) | instid1(VALU_DEP_2)
	v_div_fmas_f32 v3, v5, v3, v4
	v_lshlrev_b64 v[0:1], 2, v[0:1]
	s_delay_alu instid0(VALU_DEP_2) | instskip(NEXT) | instid1(VALU_DEP_2)
	v_div_fixup_f32 v2, v3, v2, 1.0
	v_add_co_u32 v0, vcc_lo, s12, v0
	s_delay_alu instid0(VALU_DEP_3)
	v_add_co_ci_u32_e32 v1, vcc_lo, s13, v1, vcc_lo
.LBB129_11:                             ; =>This Inner Loop Header: Depth=1
	global_load_b32 v3, v[0:1], off
	s_add_i32 s4, s4, -1
	s_delay_alu instid0(SALU_CYCLE_1)
	s_cmp_lg_u32 s4, 0
	s_waitcnt vmcnt(0)
	v_mul_f32_e32 v3, v2, v3
	global_store_b32 v[0:1], v3, off
	v_add_co_u32 v0, vcc_lo, v0, 4
	v_add_co_ci_u32_e32 v1, vcc_lo, 0, v1, vcc_lo
	s_cbranch_scc1 .LBB129_11
.LBB129_12:
	s_nop 0
	s_sendmsg sendmsg(MSG_DEALLOC_VGPRS)
	s_endpgm
	.section	.rodata,"a",@progbits
	.p2align	6, 0x0
	.amdhsa_kernel _ZN4vllm3moe17topkGatingSoftmaxIDF16_Li4ELi4ELi8ELi8ELb0ELi1ELNS0_23SharedExpertScoringFuncE1EEEvPKT_PKbPfiPiS9_iiiiii
		.amdhsa_group_segment_fixed_size 0
		.amdhsa_private_segment_fixed_size 0
		.amdhsa_kernarg_size 72
		.amdhsa_user_sgpr_count 15
		.amdhsa_user_sgpr_dispatch_ptr 0
		.amdhsa_user_sgpr_queue_ptr 0
		.amdhsa_user_sgpr_kernarg_segment_ptr 1
		.amdhsa_user_sgpr_dispatch_id 0
		.amdhsa_user_sgpr_private_segment_size 0
		.amdhsa_wavefront_size32 1
		.amdhsa_uses_dynamic_stack 0
		.amdhsa_enable_private_segment 0
		.amdhsa_system_sgpr_workgroup_id_x 1
		.amdhsa_system_sgpr_workgroup_id_y 0
		.amdhsa_system_sgpr_workgroup_id_z 0
		.amdhsa_system_sgpr_workgroup_info 0
		.amdhsa_system_vgpr_workitem_id 1
		.amdhsa_next_free_vgpr 23
		.amdhsa_next_free_sgpr 17
		.amdhsa_reserve_vcc 1
		.amdhsa_float_round_mode_32 0
		.amdhsa_float_round_mode_16_64 0
		.amdhsa_float_denorm_mode_32 3
		.amdhsa_float_denorm_mode_16_64 3
		.amdhsa_dx10_clamp 1
		.amdhsa_ieee_mode 1
		.amdhsa_fp16_overflow 0
		.amdhsa_workgroup_processor_mode 1
		.amdhsa_memory_ordered 1
		.amdhsa_forward_progress 0
		.amdhsa_shared_vgpr_count 0
		.amdhsa_exception_fp_ieee_invalid_op 0
		.amdhsa_exception_fp_denorm_src 0
		.amdhsa_exception_fp_ieee_div_zero 0
		.amdhsa_exception_fp_ieee_overflow 0
		.amdhsa_exception_fp_ieee_underflow 0
		.amdhsa_exception_fp_ieee_inexact 0
		.amdhsa_exception_int_div_zero 0
	.end_amdhsa_kernel
	.section	.text._ZN4vllm3moe17topkGatingSoftmaxIDF16_Li4ELi4ELi8ELi8ELb0ELi1ELNS0_23SharedExpertScoringFuncE1EEEvPKT_PKbPfiPiS9_iiiiii,"axG",@progbits,_ZN4vllm3moe17topkGatingSoftmaxIDF16_Li4ELi4ELi8ELi8ELb0ELi1ELNS0_23SharedExpertScoringFuncE1EEEvPKT_PKbPfiPiS9_iiiiii,comdat
.Lfunc_end129:
	.size	_ZN4vllm3moe17topkGatingSoftmaxIDF16_Li4ELi4ELi8ELi8ELb0ELi1ELNS0_23SharedExpertScoringFuncE1EEEvPKT_PKbPfiPiS9_iiiiii, .Lfunc_end129-_ZN4vllm3moe17topkGatingSoftmaxIDF16_Li4ELi4ELi8ELi8ELb0ELi1ELNS0_23SharedExpertScoringFuncE1EEEvPKT_PKbPfiPiS9_iiiiii
                                        ; -- End function
	.section	.AMDGPU.csdata,"",@progbits
; Kernel info:
; codeLenInByte = 2036
; NumSgprs: 19
; NumVgprs: 23
; ScratchSize: 0
; MemoryBound: 0
; FloatMode: 240
; IeeeMode: 1
; LDSByteSize: 0 bytes/workgroup (compile time only)
; SGPRBlocks: 2
; VGPRBlocks: 2
; NumSGPRsForWavesPerEU: 19
; NumVGPRsForWavesPerEU: 23
; Occupancy: 16
; WaveLimiterHint : 0
; COMPUTE_PGM_RSRC2:SCRATCH_EN: 0
; COMPUTE_PGM_RSRC2:USER_SGPR: 15
; COMPUTE_PGM_RSRC2:TRAP_HANDLER: 0
; COMPUTE_PGM_RSRC2:TGID_X_EN: 1
; COMPUTE_PGM_RSRC2:TGID_Y_EN: 0
; COMPUTE_PGM_RSRC2:TGID_Z_EN: 0
; COMPUTE_PGM_RSRC2:TIDIG_COMP_CNT: 1
	.section	.text._ZN4vllm3moe17topkGatingSoftmaxIDF16_Li4ELi4ELi8ELi8ELb1ELi2ELNS0_23SharedExpertScoringFuncE1EEEvPKT_PKbPfiPiS9_iiiiii,"axG",@progbits,_ZN4vllm3moe17topkGatingSoftmaxIDF16_Li4ELi4ELi8ELi8ELb1ELi2ELNS0_23SharedExpertScoringFuncE1EEEvPKT_PKbPfiPiS9_iiiiii,comdat
	.protected	_ZN4vllm3moe17topkGatingSoftmaxIDF16_Li4ELi4ELi8ELi8ELb1ELi2ELNS0_23SharedExpertScoringFuncE1EEEvPKT_PKbPfiPiS9_iiiiii ; -- Begin function _ZN4vllm3moe17topkGatingSoftmaxIDF16_Li4ELi4ELi8ELi8ELb1ELi2ELNS0_23SharedExpertScoringFuncE1EEEvPKT_PKbPfiPiS9_iiiiii
	.globl	_ZN4vllm3moe17topkGatingSoftmaxIDF16_Li4ELi4ELi8ELi8ELb1ELi2ELNS0_23SharedExpertScoringFuncE1EEEvPKT_PKbPfiPiS9_iiiiii
	.p2align	8
	.type	_ZN4vllm3moe17topkGatingSoftmaxIDF16_Li4ELi4ELi8ELi8ELb1ELi2ELNS0_23SharedExpertScoringFuncE1EEEvPKT_PKbPfiPiS9_iiiiii,@function
_ZN4vllm3moe17topkGatingSoftmaxIDF16_Li4ELi4ELi8ELi8ELb1ELi2ELNS0_23SharedExpertScoringFuncE1EEEvPKT_PKbPfiPiS9_iiiiii: ; @_ZN4vllm3moe17topkGatingSoftmaxIDF16_Li4ELi4ELi8ELi8ELb1ELi2ELNS0_23SharedExpertScoringFuncE1EEEvPKT_PKbPfiPiS9_iiiiii
; %bb.0:
	s_load_b32 s3, s[0:1], 0x18
	v_bfe_u32 v1, v0, 10, 10
	v_and_b32_e32 v8, 0x3ff, v0
	s_lshl_b32 s15, s15, 8
	s_mov_b32 s2, exec_lo
	s_delay_alu instid0(VALU_DEP_2) | instskip(NEXT) | instid1(VALU_DEP_1)
	v_lshlrev_b32_e32 v7, 5, v1
	v_add3_u32 v9, v7, v8, s15
	s_waitcnt lgkmcnt(0)
	s_delay_alu instid0(VALU_DEP_1)
	v_cmpx_gt_i32_e64 s3, v9
	s_cbranch_execz .LBB130_12
; %bb.1:
	s_clause 0x1
	s_load_b128 s[4:7], s[0:1], 0x0
	s_load_b64 s[12:13], s[0:1], 0x10
	s_waitcnt lgkmcnt(0)
	s_cmp_eq_u64 s[6:7], 0
	s_cbranch_scc1 .LBB130_3
; %bb.2:
	v_ashrrev_i32_e32 v1, 31, v9
	v_add_co_u32 v0, vcc_lo, s6, v9
	s_delay_alu instid0(VALU_DEP_2) | instskip(SKIP_3) | instid1(VALU_DEP_1)
	v_add_co_ci_u32_e32 v1, vcc_lo, s7, v1, vcc_lo
	global_load_u8 v0, v[0:1], off
	s_waitcnt vmcnt(0)
	v_and_b32_e32 v0, 1, v0
	v_cmp_eq_u32_e32 vcc_lo, 1, v0
	s_xor_b32 s2, vcc_lo, -1
	s_delay_alu instid0(SALU_CYCLE_1)
	s_or_not1_b32 s14, s2, exec_lo
	s_branch .LBB130_4
.LBB130_3:
	s_mov_b32 s14, -1
.LBB130_4:
	s_load_b64 s[8:9], s[0:1], 0x40
	s_mov_b32 s2, 0x3fb8aa3b
	s_waitcnt lgkmcnt(0)
	v_mul_lo_u32 v0, v9, s9
	s_delay_alu instid0(VALU_DEP_1) | instskip(NEXT) | instid1(VALU_DEP_1)
	v_ashrrev_i32_e32 v1, 31, v0
	v_lshlrev_b64 v[0:1], 1, v[0:1]
	s_delay_alu instid0(VALU_DEP_1) | instskip(NEXT) | instid1(VALU_DEP_2)
	v_add_co_u32 v0, vcc_lo, s4, v0
	v_add_co_ci_u32_e32 v1, vcc_lo, s5, v1, vcc_lo
	s_mov_b32 s4, 0x32a5705f
	global_load_b96 v[0:2], v[0:1], off
	s_waitcnt vmcnt(0)
	v_lshrrev_b32_e32 v3, 16, v2
	v_cvt_f32_f16_e64 v4, -v2
	s_delay_alu instid0(VALU_DEP_2) | instskip(NEXT) | instid1(VALU_DEP_2)
	v_cvt_f32_f16_e64 v3, -v3
	v_mul_f32_e32 v5, 0x3fb8aa3b, v4
	v_cmp_ngt_f32_e32 vcc_lo, 0xc2ce8ed0, v4
	s_delay_alu instid0(VALU_DEP_3) | instskip(NEXT) | instid1(VALU_DEP_3)
	v_mul_f32_e32 v6, 0x3fb8aa3b, v3
	v_fma_mix_f32 v10, -v2, s2, -v5 op_sel_hi:[1,0,0]
	v_rndne_f32_e32 v11, v5
	s_delay_alu instid0(VALU_DEP_3) | instskip(NEXT) | instid1(VALU_DEP_3)
	v_rndne_f32_e32 v13, v6
	v_fma_mix_f32 v10, -v2, s4, v10 op_sel_hi:[1,0,0]
	s_delay_alu instid0(VALU_DEP_3) | instskip(SKIP_1) | instid1(VALU_DEP_2)
	v_sub_f32_e32 v5, v5, v11
	v_fma_mix_f32 v12, -v2, s2, -v6 op_sel:[1,0,0] op_sel_hi:[1,0,0]
	v_dual_sub_f32 v6, v6, v13 :: v_dual_add_f32 v5, v5, v10
	s_delay_alu instid0(VALU_DEP_2) | instskip(SKIP_2) | instid1(VALU_DEP_3)
	v_fma_mix_f32 v2, -v2, s4, v12 op_sel:[1,0,0] op_sel_hi:[1,0,0]
	v_cvt_i32_f32_e32 v10, v13
	s_load_b128 s[4:7], s[0:1], 0x30
	v_exp_f32_e32 v5, v5
	s_delay_alu instid0(VALU_DEP_2) | instskip(SKIP_3) | instid1(VALU_DEP_1)
	v_add_f32_e32 v2, v6, v2
	v_cvt_i32_f32_e32 v6, v11
	s_waitcnt_depctr 0xfff
	v_ldexp_f32 v5, v5, v6
	v_cndmask_b32_e32 v5, 0, v5, vcc_lo
	v_exp_f32_e32 v2, v2
	v_cmp_ngt_f32_e32 vcc_lo, 0xc2ce8ed0, v3
	s_waitcnt lgkmcnt(0)
	s_cmp_gt_i32 s4, 0
	s_waitcnt_depctr 0xfff
	v_ldexp_f32 v2, v2, v10
	s_delay_alu instid0(VALU_DEP_1) | instskip(SKIP_3) | instid1(VALU_DEP_2)
	v_cndmask_b32_e32 v2, 0, v2, vcc_lo
	v_cmp_nlt_f32_e32 vcc_lo, 0x42b17218, v4
	v_cndmask_b32_e32 v4, 0x7f800000, v5, vcc_lo
	v_cmp_nlt_f32_e32 vcc_lo, 0x42b17218, v3
	v_dual_add_f32 v5, 1.0, v4 :: v_dual_cndmask_b32 v2, 0x7f800000, v2
	s_delay_alu instid0(VALU_DEP_1) | instskip(NEXT) | instid1(VALU_DEP_2)
	v_div_scale_f32 v10, null, v5, v5, 1.0
	v_add_f32_e32 v6, 1.0, v2
	v_div_scale_f32 v14, vcc_lo, 1.0, v5, 1.0
	s_delay_alu instid0(VALU_DEP_3) | instskip(NEXT) | instid1(VALU_DEP_2)
	v_rcp_f32_e32 v12, v10
	v_div_scale_f32 v11, null, v6, v6, 1.0
	v_div_scale_f32 v15, s2, 1.0, v6, 1.0
	s_delay_alu instid0(VALU_DEP_2) | instskip(SKIP_2) | instid1(VALU_DEP_1)
	v_rcp_f32_e32 v13, v11
	s_waitcnt_depctr 0xfff
	v_fma_f32 v2, -v10, v12, 1.0
	v_fmac_f32_e32 v12, v2, v12
	v_mul_lo_u32 v2, v9, s7
	v_fma_f32 v3, -v11, v13, 1.0
	s_delay_alu instid0(VALU_DEP_1) | instskip(NEXT) | instid1(VALU_DEP_3)
	v_dual_mul_f32 v16, v14, v12 :: v_dual_fmac_f32 v13, v3, v13
	v_add_nc_u32_e32 v3, s4, v2
	s_delay_alu instid0(VALU_DEP_2) | instskip(NEXT) | instid1(VALU_DEP_3)
	v_fma_f32 v4, -v10, v16, v14
	v_mul_f32_e32 v17, v15, v13
	s_delay_alu instid0(VALU_DEP_1) | instskip(NEXT) | instid1(VALU_DEP_3)
	v_fma_f32 v18, -v11, v17, v15
	v_fmac_f32_e32 v16, v4, v12
	v_ashrrev_i32_e32 v4, 31, v3
	s_delay_alu instid0(VALU_DEP_3) | instskip(NEXT) | instid1(VALU_DEP_3)
	v_fmac_f32_e32 v17, v18, v13
	v_fma_f32 v10, -v10, v16, v14
	s_delay_alu instid0(VALU_DEP_3) | instskip(NEXT) | instid1(VALU_DEP_3)
	v_lshlrev_b64 v[3:4], 2, v[3:4]
	v_fma_f32 v11, -v11, v17, v15
	s_delay_alu instid0(VALU_DEP_3)
	v_div_fmas_f32 v10, v10, v12, v16
	s_mov_b32 vcc_lo, s2
	s_cselect_b32 s2, -1, 0
	s_cmp_lt_i32 s4, 1
	v_div_fmas_f32 v11, v11, v13, v17
	v_add_co_u32 v3, vcc_lo, s12, v3
	v_add_co_ci_u32_e32 v4, vcc_lo, s13, v4, vcc_lo
	v_div_fixup_f32 v5, v10, v5, 1.0
	s_delay_alu instid0(VALU_DEP_4)
	v_div_fixup_f32 v6, v11, v6, 1.0
	v_mov_b32_e32 v11, 0
	global_store_b64 v[3:4], v[5:6], off
	s_cbranch_scc1 .LBB130_8
; %bb.5:
	v_lshrrev_b32_e32 v3, 16, v0
	v_cvt_f32_f16_e32 v14, v0
	v_cvt_f32_f16_e32 v12, v1
	v_lshrrev_b32_e32 v1, 16, v1
	v_mul_lo_u32 v17, v9, s4
	v_cvt_f32_f16_e32 v13, v3
	v_cmp_lt_f16_e32 vcc_lo, v0, v3
	s_delay_alu instid0(VALU_DEP_4) | instskip(NEXT) | instid1(VALU_DEP_3)
	v_cvt_f32_f16_e32 v16, v1
	v_cndmask_b32_e32 v3, v14, v13, vcc_lo
	v_cndmask_b32_e64 v0, 0, 1, vcc_lo
	v_ashrrev_i32_e32 v18, 31, v17
	s_delay_alu instid0(VALU_DEP_3) | instskip(SKIP_1) | instid1(VALU_DEP_4)
	v_cmp_lt_f32_e32 vcc_lo, v3, v12
	v_cndmask_b32_e32 v1, v3, v12, vcc_lo
	v_cndmask_b32_e64 v0, v0, 2, vcc_lo
	v_ashrrev_i32_e32 v3, 31, v2
	s_delay_alu instid0(VALU_DEP_3) | instskip(SKIP_1) | instid1(VALU_DEP_4)
	v_cmp_lt_f32_e32 vcc_lo, v1, v16
	v_cndmask_b32_e32 v10, v1, v16, vcc_lo
	v_cndmask_b32_e64 v15, v0, 3, vcc_lo
	s_delay_alu instid0(VALU_DEP_2) | instskip(NEXT) | instid1(VALU_DEP_1)
	v_sub_f32_e32 v11, v10, v10
	v_mul_f32_e32 v0, 0x3fb8aa3b, v11
	s_delay_alu instid0(VALU_DEP_1) | instskip(NEXT) | instid1(VALU_DEP_1)
	v_rndne_f32_e32 v5, v0
	v_sub_f32_e32 v4, v0, v5
	v_fma_f32 v1, 0x3fb8aa3b, v11, -v0
	v_mul_lo_u32 v0, v9, s8
	s_load_b128 s[8:11], s[0:1], 0x20
	v_cvt_i32_f32_e32 v20, v5
	v_cmp_gt_i32_e64 s0, s6, v15
	v_fmac_f32_e32 v1, 0x32a5705f, v11
	s_delay_alu instid0(VALU_DEP_1) | instskip(SKIP_2) | instid1(VALU_DEP_3)
	v_add_f32_e32 v6, v4, v1
	v_lshlrev_b64 v[3:4], 2, v[2:3]
	v_ashrrev_i32_e32 v1, 31, v0
	v_exp_f32_e32 v19, v6
	s_delay_alu instid0(VALU_DEP_2) | instskip(NEXT) | instid1(VALU_DEP_3)
	v_add_co_u32 v5, vcc_lo, s12, v3
	v_add_co_ci_u32_e32 v6, vcc_lo, s13, v4, vcc_lo
	v_cmp_le_i32_e32 vcc_lo, s5, v15
	v_lshlrev_b64 v[0:1], 2, v[0:1]
	v_lshlrev_b64 v[3:4], 2, v[17:18]
	s_waitcnt_depctr 0xfff
	v_ldexp_f32 v19, v19, v20
	s_and_b32 s0, vcc_lo, s0
	v_cmp_ngt_f32_e32 vcc_lo, 0xc2ce8ed0, v11
	v_subrev_nc_u32_e32 v20, s5, v15
	s_delay_alu instid0(VALU_DEP_3)
	v_cndmask_b32_e32 v19, 0, v19, vcc_lo
	s_waitcnt lgkmcnt(0)
	v_add_co_u32 v17, vcc_lo, s8, v0
	v_add_co_ci_u32_e32 v18, vcc_lo, s9, v1, vcc_lo
	s_and_b32 vcc_lo, s14, s0
	s_cmp_eq_u32 s4, 1
	v_cndmask_b32_e32 v21, 4, v20, vcc_lo
	v_cmp_nlt_f32_e32 vcc_lo, 0x42b17218, v11
	v_cndmask_b32_e32 v11, 0x7f800000, v19, vcc_lo
	v_add_co_u32 v19, vcc_lo, s10, v3
	v_add_co_ci_u32_e32 v20, vcc_lo, s11, v4, vcc_lo
	global_store_b32 v[17:18], v21, off
	global_store_b32 v[5:6], v11, off
	;; [unrolled: 1-line block ×3, first 2 shown]
	s_cbranch_scc1 .LBB130_8
; %bb.6:
	v_cmp_ne_u32_e32 vcc_lo, 3, v15
	s_add_i32 s15, s15, s3
	s_add_i32 s7, s4, -1
	v_add3_u32 v7, s15, v8, v7
	v_cndmask_b32_e32 v9, 0xff800000, v16, vcc_lo
	v_cmp_ne_u32_e32 vcc_lo, 2, v15
	v_cndmask_b32_e32 v12, 0xff800000, v12, vcc_lo
	v_cmp_ne_u32_e32 vcc_lo, 1, v15
	;; [unrolled: 2-line block ×3, first 2 shown]
	v_cndmask_b32_e32 v14, 0xff800000, v14, vcc_lo
	v_add_co_u32 v3, vcc_lo, v3, s10
	v_add_co_ci_u32_e32 v4, vcc_lo, s11, v4, vcc_lo
	v_add_co_u32 v15, vcc_lo, v0, s8
	v_add_co_ci_u32_e32 v16, vcc_lo, s9, v1, vcc_lo
	s_delay_alu instid0(VALU_DEP_4) | instskip(NEXT) | instid1(VALU_DEP_4)
	v_add_co_u32 v0, vcc_lo, v3, 4
	v_add_co_ci_u32_e32 v1, vcc_lo, 0, v4, vcc_lo
	s_delay_alu instid0(VALU_DEP_4) | instskip(NEXT) | instid1(VALU_DEP_4)
	v_add_co_u32 v3, vcc_lo, v15, 4
	v_add_co_ci_u32_e32 v4, vcc_lo, 0, v16, vcc_lo
	v_add_co_u32 v5, vcc_lo, v5, 4
	v_add_co_ci_u32_e32 v6, vcc_lo, 0, v6, vcc_lo
.LBB130_7:                              ; =>This Inner Loop Header: Depth=1
	v_cmp_gt_f32_e32 vcc_lo, v13, v14
	s_add_i32 s7, s7, -1
	v_cndmask_b32_e32 v8, v14, v13, vcc_lo
	v_cndmask_b32_e64 v15, 0, 1, vcc_lo
	s_delay_alu instid0(VALU_DEP_2) | instskip(SKIP_1) | instid1(VALU_DEP_3)
	v_cmp_gt_f32_e32 vcc_lo, v12, v8
	v_cndmask_b32_e32 v8, v8, v12, vcc_lo
	v_cndmask_b32_e64 v15, v15, 2, vcc_lo
	s_delay_alu instid0(VALU_DEP_2) | instskip(NEXT) | instid1(VALU_DEP_2)
	v_cmp_gt_f32_e32 vcc_lo, v9, v8
	v_cndmask_b32_e64 v15, v15, 3, vcc_lo
	v_cndmask_b32_e32 v8, v8, v9, vcc_lo
	s_delay_alu instid0(VALU_DEP_2) | instskip(SKIP_3) | instid1(VALU_DEP_3)
	v_cmp_le_i32_e32 vcc_lo, s5, v15
	v_cmp_gt_i32_e64 s0, s6, v15
	v_subrev_nc_u32_e32 v17, s5, v15
	v_cmp_ne_u32_e64 s1, 3, v15
	s_and_b32 s0, vcc_lo, s0
	s_delay_alu instid0(SALU_CYCLE_1) | instskip(NEXT) | instid1(VALU_DEP_1)
	s_and_b32 vcc_lo, s14, s0
	v_cndmask_b32_e64 v9, 0xff800000, v9, s1
	v_cndmask_b32_e32 v17, 4, v17, vcc_lo
	v_cmp_ne_u32_e64 s1, 2, v15
	s_cmp_eq_u32 s7, 0
	global_store_b32 v[3:4], v17, off
	global_store_b32 v[0:1], v7, off
	v_dual_sub_f32 v8, v8, v10 :: v_dual_add_nc_u32 v7, s3, v7
	v_cndmask_b32_e64 v12, 0xff800000, v12, s1
	v_cmp_ne_u32_e64 s1, 1, v15
	v_add_co_u32 v0, vcc_lo, v0, 4
	s_delay_alu instid0(VALU_DEP_4) | instskip(SKIP_1) | instid1(VALU_DEP_4)
	v_mul_f32_e32 v16, 0x3fb8aa3b, v8
	v_add_co_ci_u32_e32 v1, vcc_lo, 0, v1, vcc_lo
	v_cndmask_b32_e64 v13, 0xff800000, v13, s1
	v_cmp_ne_u32_e64 s1, 0, v15
	s_delay_alu instid0(VALU_DEP_4) | instskip(SKIP_3) | instid1(VALU_DEP_3)
	v_fma_f32 v15, 0x3fb8aa3b, v8, -v16
	v_rndne_f32_e32 v18, v16
	v_add_co_u32 v3, vcc_lo, v3, 4
	v_add_co_ci_u32_e32 v4, vcc_lo, 0, v4, vcc_lo
	v_dual_fmac_f32 v15, 0x32a5705f, v8 :: v_dual_sub_f32 v16, v16, v18
	v_cvt_i32_f32_e32 v18, v18
	v_cmp_ngt_f32_e32 vcc_lo, 0xc2ce8ed0, v8
	v_cndmask_b32_e64 v14, 0xff800000, v14, s1
	s_delay_alu instid0(VALU_DEP_4) | instskip(NEXT) | instid1(VALU_DEP_1)
	v_add_f32_e32 v15, v16, v15
	v_exp_f32_e32 v15, v15
	s_waitcnt_depctr 0xfff
	v_ldexp_f32 v15, v15, v18
	s_delay_alu instid0(VALU_DEP_1) | instskip(SKIP_1) | instid1(VALU_DEP_2)
	v_cndmask_b32_e32 v15, 0, v15, vcc_lo
	v_cmp_nlt_f32_e32 vcc_lo, 0x42b17218, v8
	v_cndmask_b32_e32 v8, 0x7f800000, v15, vcc_lo
	global_store_b32 v[5:6], v8, off
	v_add_co_u32 v5, vcc_lo, v5, 4
	v_add_f32_e32 v11, v11, v8
	v_add_co_ci_u32_e32 v6, vcc_lo, 0, v6, vcc_lo
	s_cbranch_scc0 .LBB130_7
.LBB130_8:
	s_delay_alu instid0(VALU_DEP_2)
	v_cmp_neq_f32_e32 vcc_lo, 0, v11
	s_and_b32 exec_lo, exec_lo, vcc_lo
	s_cbranch_execz .LBB130_12
; %bb.9:
	s_and_not1_b32 vcc_lo, exec_lo, s2
	s_cbranch_vccnz .LBB130_12
; %bb.10:
	v_div_scale_f32 v0, null, v11, v11, 1.0
	v_div_scale_f32 v4, vcc_lo, 1.0, v11, 1.0
	s_delay_alu instid0(VALU_DEP_2) | instskip(SKIP_2) | instid1(VALU_DEP_1)
	v_rcp_f32_e32 v1, v0
	s_waitcnt_depctr 0xfff
	v_fma_f32 v3, -v0, v1, 1.0
	v_fmac_f32_e32 v1, v3, v1
	s_delay_alu instid0(VALU_DEP_1) | instskip(NEXT) | instid1(VALU_DEP_1)
	v_mul_f32_e32 v5, v4, v1
	v_fma_f32 v3, -v0, v5, v4
	s_delay_alu instid0(VALU_DEP_1) | instskip(SKIP_1) | instid1(VALU_DEP_2)
	v_fmac_f32_e32 v5, v3, v1
	v_ashrrev_i32_e32 v3, 31, v2
	v_fma_f32 v0, -v0, v5, v4
	s_delay_alu instid0(VALU_DEP_1) | instskip(NEXT) | instid1(VALU_DEP_3)
	v_div_fmas_f32 v4, v0, v1, v5
	v_lshlrev_b64 v[0:1], 2, v[2:3]
	s_delay_alu instid0(VALU_DEP_2) | instskip(NEXT) | instid1(VALU_DEP_2)
	v_div_fixup_f32 v2, v4, v11, 1.0
	v_add_co_u32 v0, vcc_lo, s12, v0
	s_delay_alu instid0(VALU_DEP_3)
	v_add_co_ci_u32_e32 v1, vcc_lo, s13, v1, vcc_lo
.LBB130_11:                             ; =>This Inner Loop Header: Depth=1
	global_load_b32 v3, v[0:1], off
	s_add_i32 s4, s4, -1
	s_delay_alu instid0(SALU_CYCLE_1)
	s_cmp_lg_u32 s4, 0
	s_waitcnt vmcnt(0)
	v_mul_f32_e32 v3, v2, v3
	global_store_b32 v[0:1], v3, off
	v_add_co_u32 v0, vcc_lo, v0, 4
	v_add_co_ci_u32_e32 v1, vcc_lo, 0, v1, vcc_lo
	s_cbranch_scc1 .LBB130_11
.LBB130_12:
	s_nop 0
	s_sendmsg sendmsg(MSG_DEALLOC_VGPRS)
	s_endpgm
	.section	.rodata,"a",@progbits
	.p2align	6, 0x0
	.amdhsa_kernel _ZN4vllm3moe17topkGatingSoftmaxIDF16_Li4ELi4ELi8ELi8ELb1ELi2ELNS0_23SharedExpertScoringFuncE1EEEvPKT_PKbPfiPiS9_iiiiii
		.amdhsa_group_segment_fixed_size 0
		.amdhsa_private_segment_fixed_size 0
		.amdhsa_kernarg_size 72
		.amdhsa_user_sgpr_count 15
		.amdhsa_user_sgpr_dispatch_ptr 0
		.amdhsa_user_sgpr_queue_ptr 0
		.amdhsa_user_sgpr_kernarg_segment_ptr 1
		.amdhsa_user_sgpr_dispatch_id 0
		.amdhsa_user_sgpr_private_segment_size 0
		.amdhsa_wavefront_size32 1
		.amdhsa_uses_dynamic_stack 0
		.amdhsa_enable_private_segment 0
		.amdhsa_system_sgpr_workgroup_id_x 1
		.amdhsa_system_sgpr_workgroup_id_y 0
		.amdhsa_system_sgpr_workgroup_id_z 0
		.amdhsa_system_sgpr_workgroup_info 0
		.amdhsa_system_vgpr_workitem_id 1
		.amdhsa_next_free_vgpr 22
		.amdhsa_next_free_sgpr 16
		.amdhsa_reserve_vcc 1
		.amdhsa_float_round_mode_32 0
		.amdhsa_float_round_mode_16_64 0
		.amdhsa_float_denorm_mode_32 3
		.amdhsa_float_denorm_mode_16_64 3
		.amdhsa_dx10_clamp 1
		.amdhsa_ieee_mode 1
		.amdhsa_fp16_overflow 0
		.amdhsa_workgroup_processor_mode 1
		.amdhsa_memory_ordered 1
		.amdhsa_forward_progress 0
		.amdhsa_shared_vgpr_count 0
		.amdhsa_exception_fp_ieee_invalid_op 0
		.amdhsa_exception_fp_denorm_src 0
		.amdhsa_exception_fp_ieee_div_zero 0
		.amdhsa_exception_fp_ieee_overflow 0
		.amdhsa_exception_fp_ieee_underflow 0
		.amdhsa_exception_fp_ieee_inexact 0
		.amdhsa_exception_int_div_zero 0
	.end_amdhsa_kernel
	.section	.text._ZN4vllm3moe17topkGatingSoftmaxIDF16_Li4ELi4ELi8ELi8ELb1ELi2ELNS0_23SharedExpertScoringFuncE1EEEvPKT_PKbPfiPiS9_iiiiii,"axG",@progbits,_ZN4vllm3moe17topkGatingSoftmaxIDF16_Li4ELi4ELi8ELi8ELb1ELi2ELNS0_23SharedExpertScoringFuncE1EEEvPKT_PKbPfiPiS9_iiiiii,comdat
.Lfunc_end130:
	.size	_ZN4vllm3moe17topkGatingSoftmaxIDF16_Li4ELi4ELi8ELi8ELb1ELi2ELNS0_23SharedExpertScoringFuncE1EEEvPKT_PKbPfiPiS9_iiiiii, .Lfunc_end130-_ZN4vllm3moe17topkGatingSoftmaxIDF16_Li4ELi4ELi8ELi8ELb1ELi2ELNS0_23SharedExpertScoringFuncE1EEEvPKT_PKbPfiPiS9_iiiiii
                                        ; -- End function
	.section	.AMDGPU.csdata,"",@progbits
; Kernel info:
; codeLenInByte = 1792
; NumSgprs: 18
; NumVgprs: 22
; ScratchSize: 0
; MemoryBound: 0
; FloatMode: 240
; IeeeMode: 1
; LDSByteSize: 0 bytes/workgroup (compile time only)
; SGPRBlocks: 2
; VGPRBlocks: 2
; NumSGPRsForWavesPerEU: 18
; NumVGPRsForWavesPerEU: 22
; Occupancy: 16
; WaveLimiterHint : 0
; COMPUTE_PGM_RSRC2:SCRATCH_EN: 0
; COMPUTE_PGM_RSRC2:USER_SGPR: 15
; COMPUTE_PGM_RSRC2:TRAP_HANDLER: 0
; COMPUTE_PGM_RSRC2:TGID_X_EN: 1
; COMPUTE_PGM_RSRC2:TGID_Y_EN: 0
; COMPUTE_PGM_RSRC2:TGID_Z_EN: 0
; COMPUTE_PGM_RSRC2:TIDIG_COMP_CNT: 1
	.section	.text._ZN4vllm3moe17topkGatingSoftmaxIDF16_Li4ELi4ELi8ELi8ELb0ELi2ELNS0_23SharedExpertScoringFuncE1EEEvPKT_PKbPfiPiS9_iiiiii,"axG",@progbits,_ZN4vllm3moe17topkGatingSoftmaxIDF16_Li4ELi4ELi8ELi8ELb0ELi2ELNS0_23SharedExpertScoringFuncE1EEEvPKT_PKbPfiPiS9_iiiiii,comdat
	.protected	_ZN4vllm3moe17topkGatingSoftmaxIDF16_Li4ELi4ELi8ELi8ELb0ELi2ELNS0_23SharedExpertScoringFuncE1EEEvPKT_PKbPfiPiS9_iiiiii ; -- Begin function _ZN4vllm3moe17topkGatingSoftmaxIDF16_Li4ELi4ELi8ELi8ELb0ELi2ELNS0_23SharedExpertScoringFuncE1EEEvPKT_PKbPfiPiS9_iiiiii
	.globl	_ZN4vllm3moe17topkGatingSoftmaxIDF16_Li4ELi4ELi8ELi8ELb0ELi2ELNS0_23SharedExpertScoringFuncE1EEEvPKT_PKbPfiPiS9_iiiiii
	.p2align	8
	.type	_ZN4vllm3moe17topkGatingSoftmaxIDF16_Li4ELi4ELi8ELi8ELb0ELi2ELNS0_23SharedExpertScoringFuncE1EEEvPKT_PKbPfiPiS9_iiiiii,@function
_ZN4vllm3moe17topkGatingSoftmaxIDF16_Li4ELi4ELi8ELi8ELb0ELi2ELNS0_23SharedExpertScoringFuncE1EEEvPKT_PKbPfiPiS9_iiiiii: ; @_ZN4vllm3moe17topkGatingSoftmaxIDF16_Li4ELi4ELi8ELi8ELb0ELi2ELNS0_23SharedExpertScoringFuncE1EEEvPKT_PKbPfiPiS9_iiiiii
; %bb.0:
	s_load_b32 s14, s[0:1], 0x18
	v_bfe_u32 v1, v0, 10, 10
	v_and_b32_e32 v14, 0x3ff, v0
	s_lshl_b32 s16, s15, 8
	s_mov_b32 s2, exec_lo
	s_delay_alu instid0(VALU_DEP_2) | instskip(NEXT) | instid1(VALU_DEP_1)
	v_lshlrev_b32_e32 v12, 5, v1
	v_add3_u32 v15, v12, v14, s16
	s_waitcnt lgkmcnt(0)
	s_delay_alu instid0(VALU_DEP_1)
	v_cmpx_gt_i32_e64 s14, v15
	s_cbranch_execz .LBB131_12
; %bb.1:
	s_clause 0x1
	s_load_b128 s[4:7], s[0:1], 0x0
	s_load_b64 s[12:13], s[0:1], 0x10
	s_waitcnt lgkmcnt(0)
	s_cmp_eq_u64 s[6:7], 0
	s_cbranch_scc1 .LBB131_3
; %bb.2:
	v_ashrrev_i32_e32 v1, 31, v15
	v_add_co_u32 v0, vcc_lo, s6, v15
	s_delay_alu instid0(VALU_DEP_2) | instskip(SKIP_3) | instid1(VALU_DEP_1)
	v_add_co_ci_u32_e32 v1, vcc_lo, s7, v1, vcc_lo
	global_load_u8 v0, v[0:1], off
	s_waitcnt vmcnt(0)
	v_and_b32_e32 v0, 1, v0
	v_cmp_eq_u32_e32 vcc_lo, 1, v0
	s_xor_b32 s2, vcc_lo, -1
	s_delay_alu instid0(SALU_CYCLE_1)
	s_or_not1_b32 s15, s2, exec_lo
	s_branch .LBB131_4
.LBB131_3:
	s_mov_b32 s15, -1
.LBB131_4:
	s_clause 0x1
	s_load_b64 s[6:7], s[0:1], 0x40
	s_load_b128 s[8:11], s[0:1], 0x30
	s_mov_b32 s2, 0x3fb8aa3b
	s_mov_b32 s3, 0x32a5705f
	s_waitcnt lgkmcnt(0)
	v_mul_lo_u32 v0, v15, s7
	s_cmp_gt_i32 s8, 0
	s_delay_alu instid0(VALU_DEP_1) | instskip(NEXT) | instid1(VALU_DEP_1)
	v_ashrrev_i32_e32 v1, 31, v0
	v_lshlrev_b64 v[0:1], 1, v[0:1]
	s_delay_alu instid0(VALU_DEP_1) | instskip(NEXT) | instid1(VALU_DEP_2)
	v_add_co_u32 v0, vcc_lo, s4, v0
	v_add_co_ci_u32_e32 v1, vcc_lo, s5, v1, vcc_lo
	global_load_b96 v[1:3], v[0:1], off
	s_waitcnt vmcnt(0)
	v_lshrrev_b32_e32 v0, 16, v3
	v_cvt_f32_f16_e64 v4, -v3
	v_cvt_f32_f16_e32 v11, v1
	v_lshrrev_b32_e32 v23, 16, v2
	s_delay_alu instid0(VALU_DEP_4) | instskip(NEXT) | instid1(VALU_DEP_4)
	v_cvt_f32_f16_e64 v0, -v0
	v_cmp_ngt_f32_e32 vcc_lo, 0xc2ce8ed0, v4
	s_delay_alu instid0(VALU_DEP_2) | instskip(NEXT) | instid1(VALU_DEP_1)
	v_mul_f32_e32 v6, 0x3fb8aa3b, v0
	v_rndne_f32_e32 v10, v6
	v_mul_f32_e32 v5, 0x3fb8aa3b, v4
	v_fma_mix_f32 v9, -v3, s2, -v6 op_sel:[1,0,0] op_sel_hi:[1,0,0]
	s_delay_alu instid0(VALU_DEP_3) | instskip(NEXT) | instid1(VALU_DEP_3)
	v_sub_f32_e32 v6, v6, v10
	v_fma_mix_f32 v7, -v3, s2, -v5 op_sel_hi:[1,0,0]
	v_rndne_f32_e32 v8, v5
	s_delay_alu instid0(VALU_DEP_2) | instskip(NEXT) | instid1(VALU_DEP_2)
	v_fma_mix_f32 v7, -v3, s3, v7 op_sel_hi:[1,0,0]
	v_sub_f32_e32 v5, v5, v8
	v_fma_mix_f32 v3, -v3, s3, v9 op_sel:[1,0,0] op_sel_hi:[1,0,0]
	s_delay_alu instid0(VALU_DEP_2) | instskip(NEXT) | instid1(VALU_DEP_2)
	v_add_f32_e32 v5, v5, v7
	v_add_f32_e32 v3, v6, v3
	v_cvt_i32_f32_e32 v6, v8
	v_cvt_i32_f32_e32 v7, v10
	v_lshrrev_b32_e32 v8, 16, v1
	v_exp_f32_e32 v5, v5
	v_exp_f32_e32 v3, v3
	s_delay_alu instid0(VALU_DEP_1)
	v_cvt_f32_f16_e32 v10, v8
	v_cmp_lt_f16_e64 s3, v1, v8
	v_cvt_f32_f16_e32 v8, v23
	s_waitcnt_depctr 0xfff
	v_ldexp_f32 v5, v5, v6
	v_ldexp_f32 v3, v3, v7
	v_cvt_f32_f16_e32 v7, v2
	s_delay_alu instid0(VALU_DEP_3) | instskip(SKIP_1) | instid1(VALU_DEP_4)
	v_cndmask_b32_e32 v5, 0, v5, vcc_lo
	v_cmp_ngt_f32_e32 vcc_lo, 0xc2ce8ed0, v0
	v_cndmask_b32_e32 v3, 0, v3, vcc_lo
	v_cmp_nlt_f32_e32 vcc_lo, 0x42b17218, v4
	s_delay_alu instid0(VALU_DEP_4) | instskip(SKIP_1) | instid1(VALU_DEP_2)
	v_cndmask_b32_e32 v4, 0x7f800000, v5, vcc_lo
	v_cmp_nlt_f32_e32 vcc_lo, 0x42b17218, v0
	v_dual_add_f32 v5, 1.0, v4 :: v_dual_cndmask_b32 v0, 0x7f800000, v3
	s_delay_alu instid0(VALU_DEP_1) | instskip(NEXT) | instid1(VALU_DEP_2)
	v_div_scale_f32 v9, null, v5, v5, 1.0
	v_add_f32_e32 v6, 1.0, v0
	v_div_scale_f32 v18, vcc_lo, 1.0, v5, 1.0
	s_delay_alu instid0(VALU_DEP_3) | instskip(SKIP_1) | instid1(VALU_DEP_3)
	v_rcp_f32_e32 v16, v9
	v_mul_lo_u32 v0, v15, s11
	v_div_scale_f32 v13, null, v6, v6, 1.0
	v_div_scale_f32 v19, s4, 1.0, v6, 1.0
	s_cselect_b32 s11, -1, 0
	s_delay_alu instid0(VALU_DEP_2) | instskip(SKIP_4) | instid1(VALU_DEP_2)
	v_rcp_f32_e32 v17, v13
	s_cmp_lt_i32 s8, 1
	s_waitcnt_depctr 0xfff
	v_fma_f32 v3, -v9, v16, 1.0
	v_fma_f32 v4, -v13, v17, 1.0
	v_fmac_f32_e32 v16, v3, v16
	v_add_nc_u32_e32 v3, s8, v0
	s_delay_alu instid0(VALU_DEP_2) | instskip(NEXT) | instid1(VALU_DEP_2)
	v_dual_fmac_f32 v17, v4, v17 :: v_dual_mul_f32 v20, v18, v16
	v_ashrrev_i32_e32 v4, 31, v3
	s_delay_alu instid0(VALU_DEP_2) | instskip(NEXT) | instid1(VALU_DEP_3)
	v_fma_f32 v22, -v9, v20, v18
	v_mul_f32_e32 v21, v19, v17
	s_delay_alu instid0(VALU_DEP_3) | instskip(NEXT) | instid1(VALU_DEP_3)
	v_lshlrev_b64 v[1:2], 2, v[3:4]
	v_fmac_f32_e32 v20, v22, v16
	s_delay_alu instid0(VALU_DEP_3) | instskip(SKIP_1) | instid1(VALU_DEP_3)
	v_fma_f32 v24, -v13, v21, v19
	v_cndmask_b32_e64 v22, v11, v10, s3
	v_fma_f32 v3, -v9, v20, v18
	s_delay_alu instid0(VALU_DEP_3) | instskip(NEXT) | instid1(VALU_DEP_3)
	v_fmac_f32_e32 v21, v24, v17
	v_cmp_lt_f32_e64 s2, v22, v7
	s_delay_alu instid0(VALU_DEP_3) | instskip(NEXT) | instid1(VALU_DEP_3)
	v_div_fmas_f32 v3, v3, v16, v20
	v_fma_f32 v9, -v13, v21, v19
	s_delay_alu instid0(VALU_DEP_3) | instskip(SKIP_1) | instid1(VALU_DEP_3)
	v_cndmask_b32_e64 v4, v22, v7, s2
	s_mov_b32 vcc_lo, s4
	v_div_fixup_f32 v3, v3, v5, 1.0
	s_delay_alu instid0(VALU_DEP_3)
	v_div_fmas_f32 v13, v9, v17, v21
	v_add_co_u32 v1, vcc_lo, s12, v1
	v_add_co_ci_u32_e32 v2, vcc_lo, s13, v2, vcc_lo
	v_cmp_lt_f32_e32 vcc_lo, v4, v8
	v_cndmask_b32_e32 v9, v4, v8, vcc_lo
	v_div_fixup_f32 v4, v13, v6, 1.0
	v_mov_b32_e32 v13, 0
	global_store_b64 v[1:2], v[3:4], off
	s_cbranch_scc1 .LBB131_8
; %bb.5:
	v_sub_f32_e32 v13, v9, v9
	v_cndmask_b32_e64 v4, 0, 1, s3
	v_mul_lo_u32 v2, v15, s6
	v_ashrrev_i32_e32 v1, 31, v0
	s_load_b128 s[4:7], s[0:1], 0x20
	v_mul_f32_e32 v3, 0x3fb8aa3b, v13
	v_mul_lo_u32 v16, v15, s8
	v_cndmask_b32_e64 v4, v4, 2, s2
	v_lshlrev_b64 v[5:6], 2, v[0:1]
	s_delay_alu instid0(VALU_DEP_4) | instskip(NEXT) | instid1(VALU_DEP_3)
	v_rndne_f32_e32 v18, v3
	v_cndmask_b32_e64 v21, v4, 3, vcc_lo
	v_ashrrev_i32_e32 v17, 31, v16
	s_delay_alu instid0(VALU_DEP_3) | instskip(SKIP_4) | instid1(VALU_DEP_4)
	v_sub_f32_e32 v20, v3, v18
	v_fma_f32 v19, 0x3fb8aa3b, v13, -v3
	v_ashrrev_i32_e32 v3, 31, v2
	v_add_co_u32 v5, vcc_lo, s12, v5
	v_add_co_ci_u32_e32 v6, vcc_lo, s13, v6, vcc_lo
	v_fmac_f32_e32 v19, 0x32a5705f, v13
	v_cmp_le_i32_e32 vcc_lo, s9, v21
	v_cmp_gt_i32_e64 s0, s10, v21
	v_cmp_ne_u32_e64 s1, 3, v21
	s_delay_alu instid0(VALU_DEP_4) | instskip(SKIP_1) | instid1(VALU_DEP_4)
	v_add_f32_e32 v1, v20, v19
	v_subrev_nc_u32_e32 v20, s9, v21
	s_and_b32 s0, vcc_lo, s0
	s_delay_alu instid0(VALU_DEP_3) | instskip(NEXT) | instid1(VALU_DEP_3)
	v_cndmask_b32_e64 v8, 0xff800000, v8, s1
	v_exp_f32_e32 v19, v1
	v_lshlrev_b64 v[1:2], 2, v[2:3]
	v_lshlrev_b64 v[3:4], 2, v[16:17]
	v_cvt_i32_f32_e32 v16, v18
	s_waitcnt_depctr 0xfff
	v_ldexp_f32 v18, v19, v16
	s_waitcnt lgkmcnt(0)
	v_add_co_u32 v16, vcc_lo, s4, v1
	v_add_co_ci_u32_e32 v17, vcc_lo, s5, v2, vcc_lo
	v_cmp_ngt_f32_e32 vcc_lo, 0xc2ce8ed0, v13
	v_cndmask_b32_e32 v22, 0, v18, vcc_lo
	v_add_co_u32 v18, vcc_lo, s6, v3
	v_add_co_ci_u32_e32 v19, vcc_lo, s7, v4, vcc_lo
	s_and_b32 vcc_lo, s15, s0
	s_cmp_eq_u32 s8, 1
	v_cndmask_b32_e32 v20, 4, v20, vcc_lo
	v_cmp_nlt_f32_e32 vcc_lo, 0x42b17218, v13
	v_cndmask_b32_e32 v13, 0x7f800000, v22, vcc_lo
	v_cmp_ne_u32_e32 vcc_lo, 2, v21
	global_store_b32 v[5:6], v13, off
	v_cndmask_b32_e32 v7, 0xff800000, v7, vcc_lo
	v_cmp_ne_u32_e32 vcc_lo, 1, v21
	global_store_b32 v[16:17], v20, off
	global_store_b32 v[18:19], v15, off
	v_cndmask_b32_e32 v10, 0xff800000, v10, vcc_lo
	v_cmp_ne_u32_e32 vcc_lo, 0, v21
	v_cndmask_b32_e32 v11, 0xff800000, v11, vcc_lo
	s_cbranch_scc1 .LBB131_8
; %bb.6:
	v_add_co_u32 v3, vcc_lo, v3, s6
	v_add_co_ci_u32_e32 v4, vcc_lo, s7, v4, vcc_lo
	v_add_co_u32 v15, vcc_lo, v1, s4
	v_add_co_ci_u32_e32 v16, vcc_lo, s5, v2, vcc_lo
	s_delay_alu instid0(VALU_DEP_4) | instskip(NEXT) | instid1(VALU_DEP_4)
	v_add_co_u32 v1, vcc_lo, v3, 4
	v_add_co_ci_u32_e32 v2, vcc_lo, 0, v4, vcc_lo
	s_delay_alu instid0(VALU_DEP_4) | instskip(NEXT) | instid1(VALU_DEP_4)
	v_add_co_u32 v3, vcc_lo, v15, 4
	v_add_co_ci_u32_e32 v4, vcc_lo, 0, v16, vcc_lo
	s_add_i32 s16, s16, s14
	v_add_co_u32 v5, vcc_lo, v5, 4
	v_add_co_ci_u32_e32 v6, vcc_lo, 0, v6, vcc_lo
	v_add3_u32 v12, s16, v14, v12
	s_add_i32 s2, s8, -1
.LBB131_7:                              ; =>This Inner Loop Header: Depth=1
	v_cmp_gt_f32_e32 vcc_lo, v10, v11
	s_add_i32 s2, s2, -1
	v_cndmask_b32_e32 v14, v11, v10, vcc_lo
	v_cndmask_b32_e64 v15, 0, 1, vcc_lo
	s_delay_alu instid0(VALU_DEP_2) | instskip(SKIP_1) | instid1(VALU_DEP_3)
	v_cmp_gt_f32_e32 vcc_lo, v7, v14
	v_cndmask_b32_e32 v14, v14, v7, vcc_lo
	v_cndmask_b32_e64 v15, v15, 2, vcc_lo
	s_delay_alu instid0(VALU_DEP_2) | instskip(NEXT) | instid1(VALU_DEP_2)
	v_cmp_gt_f32_e32 vcc_lo, v8, v14
	v_cndmask_b32_e64 v15, v15, 3, vcc_lo
	v_cndmask_b32_e32 v14, v14, v8, vcc_lo
	s_delay_alu instid0(VALU_DEP_2) | instskip(NEXT) | instid1(VALU_DEP_2)
	v_cmp_ne_u32_e64 s1, 3, v15
	v_sub_f32_e32 v14, v14, v9
	v_cmp_le_i32_e32 vcc_lo, s9, v15
	v_cmp_gt_i32_e64 s0, s10, v15
	v_subrev_nc_u32_e32 v17, s9, v15
	v_cndmask_b32_e64 v8, 0xff800000, v8, s1
	v_cmp_ne_u32_e64 s1, 2, v15
	v_mul_f32_e32 v16, 0x3fb8aa3b, v14
	s_and_b32 s0, vcc_lo, s0
	s_delay_alu instid0(SALU_CYCLE_1) | instskip(NEXT) | instid1(VALU_DEP_2)
	s_and_b32 vcc_lo, s15, s0
	v_cndmask_b32_e64 v7, 0xff800000, v7, s1
	v_cmp_ne_u32_e64 s1, 1, v15
	v_rndne_f32_e32 v18, v16
	v_cndmask_b32_e32 v17, 4, v17, vcc_lo
	global_store_b32 v[3:4], v17, off
	global_store_b32 v[1:2], v12, off
	v_cndmask_b32_e64 v10, 0xff800000, v10, s1
	v_cmp_ne_u32_e64 s1, 0, v15
	v_fma_f32 v15, 0x3fb8aa3b, v14, -v16
	v_sub_f32_e32 v16, v16, v18
	v_add_nc_u32_e32 v12, s14, v12
	v_add_co_u32 v1, vcc_lo, v1, 4
	s_delay_alu instid0(VALU_DEP_4) | instskip(SKIP_3) | instid1(VALU_DEP_4)
	v_fmac_f32_e32 v15, 0x32a5705f, v14
	v_cvt_i32_f32_e32 v18, v18
	v_add_co_ci_u32_e32 v2, vcc_lo, 0, v2, vcc_lo
	v_add_co_u32 v3, vcc_lo, v3, 4
	v_add_f32_e32 v15, v16, v15
	v_add_co_ci_u32_e32 v4, vcc_lo, 0, v4, vcc_lo
	v_cmp_ngt_f32_e32 vcc_lo, 0xc2ce8ed0, v14
	v_cndmask_b32_e64 v11, 0xff800000, v11, s1
	s_delay_alu instid0(VALU_DEP_4) | instskip(SKIP_3) | instid1(VALU_DEP_1)
	v_exp_f32_e32 v15, v15
	s_cmp_eq_u32 s2, 0
	s_waitcnt_depctr 0xfff
	v_ldexp_f32 v15, v15, v18
	v_cndmask_b32_e32 v15, 0, v15, vcc_lo
	v_cmp_nlt_f32_e32 vcc_lo, 0x42b17218, v14
	s_delay_alu instid0(VALU_DEP_2)
	v_cndmask_b32_e32 v14, 0x7f800000, v15, vcc_lo
	global_store_b32 v[5:6], v14, off
	v_add_co_u32 v5, vcc_lo, v5, 4
	v_add_f32_e32 v13, v13, v14
	v_add_co_ci_u32_e32 v6, vcc_lo, 0, v6, vcc_lo
	s_cbranch_scc0 .LBB131_7
.LBB131_8:
	v_sub_f32_e32 v4, v8, v9
	s_delay_alu instid0(VALU_DEP_1) | instskip(NEXT) | instid1(VALU_DEP_1)
	v_dual_sub_f32 v3, v7, v9 :: v_dual_mul_f32 v8, 0x3fb8aa3b, v4
	v_dual_sub_f32 v2, v10, v9 :: v_dual_mul_f32 v7, 0x3fb8aa3b, v3
	v_sub_f32_e32 v1, v11, v9
	s_delay_alu instid0(VALU_DEP_3) | instskip(NEXT) | instid1(VALU_DEP_3)
	v_rndne_f32_e32 v17, v8
	v_mul_f32_e32 v6, 0x3fb8aa3b, v2
	s_delay_alu instid0(VALU_DEP_4) | instskip(SKIP_2) | instid1(VALU_DEP_4)
	v_fma_f32 v14, 0x3fb8aa3b, v3, -v7
	v_rndne_f32_e32 v15, v7
	v_cmp_ngt_f32_e32 vcc_lo, 0xc2ce8ed0, v1
	v_rndne_f32_e32 v12, v6
	v_mul_f32_e32 v5, 0x3fb8aa3b, v1
	v_fma_f32 v11, 0x3fb8aa3b, v2, -v6
	v_sub_f32_e32 v7, v7, v15
	v_fmac_f32_e32 v14, 0x32a5705f, v3
	v_sub_f32_e32 v6, v6, v12
	v_fma_f32 v9, 0x3fb8aa3b, v1, -v5
	v_rndne_f32_e32 v10, v5
	s_delay_alu instid0(VALU_DEP_2) | instskip(NEXT) | instid1(VALU_DEP_2)
	v_fmac_f32_e32 v9, 0x32a5705f, v1
	v_sub_f32_e32 v5, v5, v10
	v_fma_f32 v16, 0x3fb8aa3b, v4, -v8
	v_dual_fmac_f32 v11, 0x32a5705f, v2 :: v_dual_sub_f32 v8, v8, v17
	s_delay_alu instid0(VALU_DEP_2) | instskip(NEXT) | instid1(VALU_DEP_2)
	v_dual_fmac_f32 v16, 0x32a5705f, v4 :: v_dual_add_f32 v5, v5, v9
	v_add_f32_e32 v6, v6, v11
	v_cvt_i32_f32_e32 v9, v10
	v_cvt_i32_f32_e32 v10, v12
	s_delay_alu instid0(VALU_DEP_4) | instskip(SKIP_3) | instid1(VALU_DEP_2)
	v_dual_add_f32 v7, v7, v14 :: v_dual_add_f32 v8, v8, v16
	v_exp_f32_e32 v5, v5
	v_exp_f32_e32 v6, v6
	v_cvt_i32_f32_e32 v11, v15
	v_exp_f32_e32 v7, v7
	v_exp_f32_e32 v8, v8
	v_ldexp_f32 v5, v5, v9
	s_delay_alu instid0(TRANS32_DEP_3)
	v_ldexp_f32 v6, v6, v10
	v_cvt_i32_f32_e32 v9, v17
	s_waitcnt_depctr 0xfff
	v_ldexp_f32 v7, v7, v11
	v_cndmask_b32_e32 v5, 0, v5, vcc_lo
	v_cmp_ngt_f32_e32 vcc_lo, 0xc2ce8ed0, v2
	v_cndmask_b32_e32 v6, 0, v6, vcc_lo
	v_cmp_nlt_f32_e32 vcc_lo, 0x42b17218, v1
	s_delay_alu instid0(VALU_DEP_4) | instskip(SKIP_1) | instid1(VALU_DEP_4)
	v_cndmask_b32_e32 v1, 0x7f800000, v5, vcc_lo
	v_cmp_nlt_f32_e32 vcc_lo, 0x42b17218, v2
	v_cndmask_b32_e32 v2, 0x7f800000, v6, vcc_lo
	v_cmp_ngt_f32_e32 vcc_lo, 0xc2ce8ed0, v3
	v_ldexp_f32 v6, v8, v9
	v_cndmask_b32_e32 v5, 0, v7, vcc_lo
	v_cmp_nlt_f32_e32 vcc_lo, 0x42b17218, v3
	s_delay_alu instid0(VALU_DEP_2) | instskip(SKIP_3) | instid1(VALU_DEP_2)
	v_dual_add_f32 v1, v1, v2 :: v_dual_cndmask_b32 v2, 0x7f800000, v5
	v_cmp_ngt_f32_e32 vcc_lo, 0xc2ce8ed0, v4
	v_cndmask_b32_e32 v3, 0, v6, vcc_lo
	v_cmp_nlt_f32_e32 vcc_lo, 0x42b17218, v4
	v_dual_add_f32 v1, v1, v2 :: v_dual_cndmask_b32 v2, 0x7f800000, v3
	s_delay_alu instid0(VALU_DEP_1) | instskip(NEXT) | instid1(VALU_DEP_1)
	v_add_f32_e32 v1, v1, v2
	v_add_f32_e32 v2, v13, v1
	s_delay_alu instid0(VALU_DEP_1)
	v_cmp_neq_f32_e32 vcc_lo, 0, v2
	s_and_b32 exec_lo, exec_lo, vcc_lo
	s_cbranch_execz .LBB131_12
; %bb.9:
	s_and_not1_b32 vcc_lo, exec_lo, s11
	s_cbranch_vccnz .LBB131_12
; %bb.10:
	v_div_scale_f32 v1, null, v2, v2, 1.0
	v_div_scale_f32 v5, vcc_lo, 1.0, v2, 1.0
	s_delay_alu instid0(VALU_DEP_2) | instskip(SKIP_2) | instid1(VALU_DEP_1)
	v_rcp_f32_e32 v3, v1
	s_waitcnt_depctr 0xfff
	v_fma_f32 v4, -v1, v3, 1.0
	v_fmac_f32_e32 v3, v4, v3
	s_delay_alu instid0(VALU_DEP_1) | instskip(NEXT) | instid1(VALU_DEP_1)
	v_mul_f32_e32 v4, v5, v3
	v_fma_f32 v6, -v1, v4, v5
	s_delay_alu instid0(VALU_DEP_1) | instskip(NEXT) | instid1(VALU_DEP_1)
	v_fmac_f32_e32 v4, v6, v3
	v_fma_f32 v5, -v1, v4, v5
	v_ashrrev_i32_e32 v1, 31, v0
	s_delay_alu instid0(VALU_DEP_2) | instskip(NEXT) | instid1(VALU_DEP_2)
	v_div_fmas_f32 v3, v5, v3, v4
	v_lshlrev_b64 v[0:1], 2, v[0:1]
	s_delay_alu instid0(VALU_DEP_2) | instskip(NEXT) | instid1(VALU_DEP_2)
	v_div_fixup_f32 v2, v3, v2, 1.0
	v_add_co_u32 v0, vcc_lo, s12, v0
	s_delay_alu instid0(VALU_DEP_3)
	v_add_co_ci_u32_e32 v1, vcc_lo, s13, v1, vcc_lo
.LBB131_11:                             ; =>This Inner Loop Header: Depth=1
	global_load_b32 v3, v[0:1], off
	s_add_i32 s8, s8, -1
	s_delay_alu instid0(SALU_CYCLE_1)
	s_cmp_lg_u32 s8, 0
	s_waitcnt vmcnt(0)
	v_mul_f32_e32 v3, v2, v3
	global_store_b32 v[0:1], v3, off
	v_add_co_u32 v0, vcc_lo, v0, 4
	v_add_co_ci_u32_e32 v1, vcc_lo, 0, v1, vcc_lo
	s_cbranch_scc1 .LBB131_11
.LBB131_12:
	s_nop 0
	s_sendmsg sendmsg(MSG_DEALLOC_VGPRS)
	s_endpgm
	.section	.rodata,"a",@progbits
	.p2align	6, 0x0
	.amdhsa_kernel _ZN4vllm3moe17topkGatingSoftmaxIDF16_Li4ELi4ELi8ELi8ELb0ELi2ELNS0_23SharedExpertScoringFuncE1EEEvPKT_PKbPfiPiS9_iiiiii
		.amdhsa_group_segment_fixed_size 0
		.amdhsa_private_segment_fixed_size 0
		.amdhsa_kernarg_size 72
		.amdhsa_user_sgpr_count 15
		.amdhsa_user_sgpr_dispatch_ptr 0
		.amdhsa_user_sgpr_queue_ptr 0
		.amdhsa_user_sgpr_kernarg_segment_ptr 1
		.amdhsa_user_sgpr_dispatch_id 0
		.amdhsa_user_sgpr_private_segment_size 0
		.amdhsa_wavefront_size32 1
		.amdhsa_uses_dynamic_stack 0
		.amdhsa_enable_private_segment 0
		.amdhsa_system_sgpr_workgroup_id_x 1
		.amdhsa_system_sgpr_workgroup_id_y 0
		.amdhsa_system_sgpr_workgroup_id_z 0
		.amdhsa_system_sgpr_workgroup_info 0
		.amdhsa_system_vgpr_workitem_id 1
		.amdhsa_next_free_vgpr 25
		.amdhsa_next_free_sgpr 17
		.amdhsa_reserve_vcc 1
		.amdhsa_float_round_mode_32 0
		.amdhsa_float_round_mode_16_64 0
		.amdhsa_float_denorm_mode_32 3
		.amdhsa_float_denorm_mode_16_64 3
		.amdhsa_dx10_clamp 1
		.amdhsa_ieee_mode 1
		.amdhsa_fp16_overflow 0
		.amdhsa_workgroup_processor_mode 1
		.amdhsa_memory_ordered 1
		.amdhsa_forward_progress 0
		.amdhsa_shared_vgpr_count 0
		.amdhsa_exception_fp_ieee_invalid_op 0
		.amdhsa_exception_fp_denorm_src 0
		.amdhsa_exception_fp_ieee_div_zero 0
		.amdhsa_exception_fp_ieee_overflow 0
		.amdhsa_exception_fp_ieee_underflow 0
		.amdhsa_exception_fp_ieee_inexact 0
		.amdhsa_exception_int_div_zero 0
	.end_amdhsa_kernel
	.section	.text._ZN4vllm3moe17topkGatingSoftmaxIDF16_Li4ELi4ELi8ELi8ELb0ELi2ELNS0_23SharedExpertScoringFuncE1EEEvPKT_PKbPfiPiS9_iiiiii,"axG",@progbits,_ZN4vllm3moe17topkGatingSoftmaxIDF16_Li4ELi4ELi8ELi8ELb0ELi2ELNS0_23SharedExpertScoringFuncE1EEEvPKT_PKbPfiPiS9_iiiiii,comdat
.Lfunc_end131:
	.size	_ZN4vllm3moe17topkGatingSoftmaxIDF16_Li4ELi4ELi8ELi8ELb0ELi2ELNS0_23SharedExpertScoringFuncE1EEEvPKT_PKbPfiPiS9_iiiiii, .Lfunc_end131-_ZN4vllm3moe17topkGatingSoftmaxIDF16_Li4ELi4ELi8ELi8ELb0ELi2ELNS0_23SharedExpertScoringFuncE1EEEvPKT_PKbPfiPiS9_iiiiii
                                        ; -- End function
	.section	.AMDGPU.csdata,"",@progbits
; Kernel info:
; codeLenInByte = 2212
; NumSgprs: 19
; NumVgprs: 25
; ScratchSize: 0
; MemoryBound: 0
; FloatMode: 240
; IeeeMode: 1
; LDSByteSize: 0 bytes/workgroup (compile time only)
; SGPRBlocks: 2
; VGPRBlocks: 3
; NumSGPRsForWavesPerEU: 19
; NumVGPRsForWavesPerEU: 25
; Occupancy: 16
; WaveLimiterHint : 0
; COMPUTE_PGM_RSRC2:SCRATCH_EN: 0
; COMPUTE_PGM_RSRC2:USER_SGPR: 15
; COMPUTE_PGM_RSRC2:TRAP_HANDLER: 0
; COMPUTE_PGM_RSRC2:TGID_X_EN: 1
; COMPUTE_PGM_RSRC2:TGID_Y_EN: 0
; COMPUTE_PGM_RSRC2:TGID_Z_EN: 0
; COMPUTE_PGM_RSRC2:TIDIG_COMP_CNT: 1
	.section	.text._ZN4vllm3moe17topkGatingSoftmaxIDF16_Li4ELi4ELi8ELi8ELb1ELi4ELNS0_23SharedExpertScoringFuncE1EEEvPKT_PKbPfiPiS9_iiiiii,"axG",@progbits,_ZN4vllm3moe17topkGatingSoftmaxIDF16_Li4ELi4ELi8ELi8ELb1ELi4ELNS0_23SharedExpertScoringFuncE1EEEvPKT_PKbPfiPiS9_iiiiii,comdat
	.protected	_ZN4vllm3moe17topkGatingSoftmaxIDF16_Li4ELi4ELi8ELi8ELb1ELi4ELNS0_23SharedExpertScoringFuncE1EEEvPKT_PKbPfiPiS9_iiiiii ; -- Begin function _ZN4vllm3moe17topkGatingSoftmaxIDF16_Li4ELi4ELi8ELi8ELb1ELi4ELNS0_23SharedExpertScoringFuncE1EEEvPKT_PKbPfiPiS9_iiiiii
	.globl	_ZN4vllm3moe17topkGatingSoftmaxIDF16_Li4ELi4ELi8ELi8ELb1ELi4ELNS0_23SharedExpertScoringFuncE1EEEvPKT_PKbPfiPiS9_iiiiii
	.p2align	8
	.type	_ZN4vllm3moe17topkGatingSoftmaxIDF16_Li4ELi4ELi8ELi8ELb1ELi4ELNS0_23SharedExpertScoringFuncE1EEEvPKT_PKbPfiPiS9_iiiiii,@function
_ZN4vllm3moe17topkGatingSoftmaxIDF16_Li4ELi4ELi8ELi8ELb1ELi4ELNS0_23SharedExpertScoringFuncE1EEEvPKT_PKbPfiPiS9_iiiiii: ; @_ZN4vllm3moe17topkGatingSoftmaxIDF16_Li4ELi4ELi8ELi8ELb1ELi4ELNS0_23SharedExpertScoringFuncE1EEEvPKT_PKbPfiPiS9_iiiiii
; %bb.0:
	s_load_b32 s14, s[0:1], 0x18
	v_bfe_u32 v1, v0, 10, 10
	v_and_b32_e32 v8, 0x3ff, v0
	s_lshl_b32 s16, s15, 8
	s_mov_b32 s2, exec_lo
	s_delay_alu instid0(VALU_DEP_2) | instskip(NEXT) | instid1(VALU_DEP_1)
	v_lshlrev_b32_e32 v7, 5, v1
	v_add3_u32 v9, v7, v8, s16
	s_waitcnt lgkmcnt(0)
	s_delay_alu instid0(VALU_DEP_1)
	v_cmpx_gt_i32_e64 s14, v9
	s_cbranch_execz .LBB132_12
; %bb.1:
	s_clause 0x1
	s_load_b128 s[4:7], s[0:1], 0x0
	s_load_b64 s[12:13], s[0:1], 0x10
	s_waitcnt lgkmcnt(0)
	s_cmp_eq_u64 s[6:7], 0
	s_cbranch_scc1 .LBB132_3
; %bb.2:
	v_ashrrev_i32_e32 v1, 31, v9
	v_add_co_u32 v0, vcc_lo, s6, v9
	s_delay_alu instid0(VALU_DEP_2) | instskip(SKIP_3) | instid1(VALU_DEP_1)
	v_add_co_ci_u32_e32 v1, vcc_lo, s7, v1, vcc_lo
	global_load_u8 v0, v[0:1], off
	s_waitcnt vmcnt(0)
	v_and_b32_e32 v0, 1, v0
	v_cmp_eq_u32_e32 vcc_lo, 1, v0
	s_xor_b32 s2, vcc_lo, -1
	s_delay_alu instid0(SALU_CYCLE_1)
	s_or_not1_b32 s15, s2, exec_lo
	s_branch .LBB132_4
.LBB132_3:
	s_mov_b32 s15, -1
.LBB132_4:
	s_clause 0x1
	s_load_b64 s[6:7], s[0:1], 0x40
	s_load_b128 s[8:11], s[0:1], 0x30
	s_mov_b32 s2, 0x3fb8aa3b
	s_mov_b32 s3, 0x32a5705f
	s_waitcnt lgkmcnt(0)
	v_mul_lo_u32 v0, v9, s7
	s_cmp_gt_i32 s8, 0
	s_delay_alu instid0(VALU_DEP_1) | instskip(NEXT) | instid1(VALU_DEP_1)
	v_ashrrev_i32_e32 v1, 31, v0
	v_lshlrev_b64 v[0:1], 1, v[0:1]
	s_delay_alu instid0(VALU_DEP_1) | instskip(NEXT) | instid1(VALU_DEP_2)
	v_add_co_u32 v0, vcc_lo, s4, v0
	v_add_co_ci_u32_e32 v1, vcc_lo, s5, v1, vcc_lo
	global_load_b128 v[0:3], v[0:1], off
	s_waitcnt vmcnt(0)
	v_cvt_f32_f16_e64 v4, -v2
	v_lshrrev_b32_e32 v5, 16, v2
	v_cvt_f32_f16_e64 v6, -v3
	v_lshrrev_b32_e32 v10, 16, v3
	s_delay_alu instid0(VALU_DEP_4) | instskip(NEXT) | instid1(VALU_DEP_4)
	v_mul_f32_e32 v11, 0x3fb8aa3b, v4
	v_cvt_f32_f16_e64 v5, -v5
	s_delay_alu instid0(VALU_DEP_4) | instskip(NEXT) | instid1(VALU_DEP_4)
	v_mul_f32_e32 v12, 0x3fb8aa3b, v6
	v_cvt_f32_f16_e64 v10, -v10
	v_cmp_ngt_f32_e32 vcc_lo, 0xc2ce8ed0, v4
	v_fma_mix_f32 v13, -v2, s2, -v11 op_sel_hi:[1,0,0]
	v_rndne_f32_e32 v14, v11
	s_delay_alu instid0(VALU_DEP_4)
	v_dual_mul_f32 v15, 0x3fb8aa3b, v5 :: v_dual_mul_f32 v18, 0x3fb8aa3b, v10
	v_fma_mix_f32 v16, -v3, s2, -v12 op_sel_hi:[1,0,0]
	v_rndne_f32_e32 v17, v12
	v_fma_mix_f32 v13, -v2, s3, v13 op_sel_hi:[1,0,0]
	v_sub_f32_e32 v11, v11, v14
	v_fma_mix_f32 v19, -v2, s2, -v15 op_sel:[1,0,0] op_sel_hi:[1,0,0]
	v_rndne_f32_e32 v20, v15
	v_sub_f32_e32 v12, v12, v17
	v_fma_mix_f32 v16, -v3, s3, v16 op_sel_hi:[1,0,0]
	v_add_f32_e32 v11, v11, v13
	v_fma_mix_f32 v21, -v3, s2, -v18 op_sel:[1,0,0] op_sel_hi:[1,0,0]
	v_fma_mix_f32 v2, -v2, s3, v19 op_sel:[1,0,0] op_sel_hi:[1,0,0]
	v_sub_f32_e32 v13, v15, v20
	v_add_f32_e32 v12, v12, v16
	v_exp_f32_e32 v11, v11
	v_fma_mix_f32 v3, -v3, s3, v21 op_sel:[1,0,0] op_sel_hi:[1,0,0]
	v_rndne_f32_e32 v22, v18
	v_add_f32_e32 v2, v13, v2
	v_exp_f32_e32 v12, v12
	v_cvt_i32_f32_e32 v13, v14
	v_cvt_i32_f32_e32 v14, v17
	s_delay_alu instid0(TRANS32_DEP_2) | instid1(VALU_DEP_2)
	v_ldexp_f32 v11, v11, v13
	v_cvt_i32_f32_e32 v13, v20
	s_waitcnt_depctr 0xfff
	v_ldexp_f32 v12, v12, v14
	v_cndmask_b32_e32 v11, 0, v11, vcc_lo
	v_cmp_ngt_f32_e32 vcc_lo, 0xc2ce8ed0, v6
	s_delay_alu instid0(VALU_DEP_3) | instskip(NEXT) | instid1(VALU_DEP_1)
	v_dual_sub_f32 v15, v18, v22 :: v_dual_cndmask_b32 v12, 0, v12
	v_add_f32_e32 v3, v15, v3
	v_exp_f32_e32 v2, v2
	v_cmp_nlt_f32_e32 vcc_lo, 0x42b17218, v4
	v_cvt_i32_f32_e32 v15, v22
	s_delay_alu instid0(VALU_DEP_3)
	v_exp_f32_e32 v3, v3
	v_cndmask_b32_e32 v4, 0x7f800000, v11, vcc_lo
	v_cmp_ngt_f32_e32 vcc_lo, 0xc2ce8ed0, v5
	s_waitcnt_depctr 0xfff
	v_ldexp_f32 v2, v2, v13
	v_ldexp_f32 v3, v3, v15
	s_delay_alu instid0(VALU_DEP_2)
	v_cndmask_b32_e32 v2, 0, v2, vcc_lo
	v_cmp_nlt_f32_e32 vcc_lo, 0x42b17218, v6
	v_cndmask_b32_e32 v6, 0x7f800000, v12, vcc_lo
	v_cmp_ngt_f32_e32 vcc_lo, 0xc2ce8ed0, v10
	v_cndmask_b32_e32 v3, 0, v3, vcc_lo
	v_cmp_nlt_f32_e32 vcc_lo, 0x42b17218, v5
	v_dual_add_f32 v11, 1.0, v4 :: v_dual_cndmask_b32 v2, 0x7f800000, v2
	v_cmp_nlt_f32_e32 vcc_lo, 0x42b17218, v10
	s_delay_alu instid0(VALU_DEP_2) | instskip(SKIP_1) | instid1(VALU_DEP_4)
	v_dual_add_f32 v10, 1.0, v2 :: v_dual_cndmask_b32 v3, 0x7f800000, v3
	v_add_f32_e32 v5, 1.0, v6
	v_div_scale_f32 v6, null, v11, v11, 1.0
	s_delay_alu instid0(VALU_DEP_3) | instskip(NEXT) | instid1(VALU_DEP_4)
	v_div_scale_f32 v13, null, v10, v10, 1.0
	v_add_f32_e32 v14, 1.0, v3
	s_delay_alu instid0(VALU_DEP_4) | instskip(NEXT) | instid1(VALU_DEP_4)
	v_div_scale_f32 v12, null, v5, v5, 1.0
	v_rcp_f32_e32 v15, v6
	s_delay_alu instid0(VALU_DEP_3) | instskip(NEXT) | instid1(VALU_DEP_2)
	v_rcp_f32_e32 v18, v13
	v_div_scale_f32 v17, null, v14, v14, 1.0
	s_delay_alu instid0(VALU_DEP_2) | instskip(SKIP_1) | instid1(VALU_DEP_2)
	v_rcp_f32_e32 v16, v12
	v_div_scale_f32 v19, vcc_lo, 1.0, v11, 1.0
	v_rcp_f32_e32 v20, v17
	v_mul_lo_u32 v2, v9, s11
	v_div_scale_f32 v21, s2, 1.0, v5, 1.0
	v_fma_f32 v3, -v6, v15, 1.0
	s_delay_alu instid0(TRANS32_DEP_3) | instskip(SKIP_1) | instid1(TRANS32_DEP_2)
	v_fma_f32 v22, -v13, v18, 1.0
	v_div_scale_f32 v23, s3, 1.0, v10, 1.0
	v_fma_f32 v4, -v12, v16, 1.0
	s_delay_alu instid0(VALU_DEP_4) | instskip(NEXT) | instid1(TRANS32_DEP_1)
	v_fmac_f32_e32 v15, v3, v15
	v_fma_f32 v3, -v17, v20, 1.0
	s_delay_alu instid0(VALU_DEP_3) | instskip(SKIP_1) | instid1(VALU_DEP_4)
	v_fmac_f32_e32 v16, v4, v16
	v_fmac_f32_e32 v18, v22, v18
	v_mul_f32_e32 v24, v19, v15
	v_div_scale_f32 v22, s4, 1.0, v14, 1.0
	v_fmac_f32_e32 v20, v3, v20
	s_delay_alu instid0(VALU_DEP_4) | instskip(SKIP_2) | instid1(VALU_DEP_4)
	v_dual_mul_f32 v25, v21, v16 :: v_dual_mul_f32 v26, v23, v18
	v_add_nc_u32_e32 v3, s8, v2
	v_fma_f32 v27, -v6, v24, v19
	v_mul_f32_e32 v29, v22, v20
	s_delay_alu instid0(VALU_DEP_4) | instskip(SKIP_4) | instid1(VALU_DEP_4)
	v_fma_f32 v28, -v12, v25, v21
	v_fma_f32 v30, -v13, v26, v23
	v_ashrrev_i32_e32 v4, 31, v3
	v_fmac_f32_e32 v24, v27, v15
	v_fma_f32 v27, -v17, v29, v22
	v_dual_fmac_f32 v25, v28, v16 :: v_dual_fmac_f32 v26, v30, v18
	s_delay_alu instid0(VALU_DEP_4) | instskip(NEXT) | instid1(VALU_DEP_4)
	v_lshlrev_b64 v[3:4], 2, v[3:4]
	v_fma_f32 v6, -v6, v24, v19
	s_delay_alu instid0(VALU_DEP_4) | instskip(NEXT) | instid1(VALU_DEP_4)
	v_fmac_f32_e32 v29, v27, v20
	v_fma_f32 v12, -v12, v25, v21
	v_fma_f32 v13, -v13, v26, v23
	s_delay_alu instid0(VALU_DEP_4) | instskip(SKIP_2) | instid1(VALU_DEP_3)
	v_div_fmas_f32 v6, v6, v15, v24
	s_mov_b32 vcc_lo, s3
	v_fma_f32 v15, -v17, v29, v22
	v_div_fmas_f32 v17, v13, v18, v26
	s_mov_b32 vcc_lo, s2
	s_cselect_b32 s2, -1, 0
	v_div_fmas_f32 v16, v12, v16, v25
	s_mov_b32 vcc_lo, s4
	s_cmp_lt_i32 s8, 1
	v_div_fmas_f32 v15, v15, v20, v29
	v_add_co_u32 v12, vcc_lo, s12, v3
	v_add_co_ci_u32_e32 v13, vcc_lo, s13, v4, vcc_lo
	v_div_fixup_f32 v3, v6, v11, 1.0
	v_div_fixup_f32 v4, v17, v10, 1.0
	;; [unrolled: 1-line block ×4, first 2 shown]
	v_mov_b32_e32 v11, 0
	global_store_b128 v[12:13], v[3:6], off
	s_cbranch_scc1 .LBB132_8
; %bb.5:
	v_lshrrev_b32_e32 v3, 16, v0
	v_cvt_f32_f16_e32 v14, v0
	v_cvt_f32_f16_e32 v12, v1
	v_lshrrev_b32_e32 v1, 16, v1
	v_mul_lo_u32 v17, v9, s8
	v_cvt_f32_f16_e32 v13, v3
	v_cmp_lt_f16_e32 vcc_lo, v0, v3
	s_delay_alu instid0(VALU_DEP_4) | instskip(NEXT) | instid1(VALU_DEP_3)
	v_cvt_f32_f16_e32 v16, v1
	v_cndmask_b32_e32 v3, v14, v13, vcc_lo
	v_cndmask_b32_e64 v0, 0, 1, vcc_lo
	v_ashrrev_i32_e32 v18, 31, v17
	s_delay_alu instid0(VALU_DEP_3) | instskip(SKIP_1) | instid1(VALU_DEP_4)
	v_cmp_lt_f32_e32 vcc_lo, v3, v12
	v_cndmask_b32_e32 v1, v3, v12, vcc_lo
	v_cndmask_b32_e64 v0, v0, 2, vcc_lo
	v_ashrrev_i32_e32 v3, 31, v2
	s_delay_alu instid0(VALU_DEP_3) | instskip(SKIP_1) | instid1(VALU_DEP_4)
	v_cmp_lt_f32_e32 vcc_lo, v1, v16
	v_cndmask_b32_e32 v10, v1, v16, vcc_lo
	v_cndmask_b32_e64 v15, v0, 3, vcc_lo
	s_delay_alu instid0(VALU_DEP_2) | instskip(NEXT) | instid1(VALU_DEP_1)
	v_sub_f32_e32 v11, v10, v10
	v_mul_f32_e32 v0, 0x3fb8aa3b, v11
	s_delay_alu instid0(VALU_DEP_1) | instskip(NEXT) | instid1(VALU_DEP_1)
	v_rndne_f32_e32 v5, v0
	v_sub_f32_e32 v4, v0, v5
	v_fma_f32 v1, 0x3fb8aa3b, v11, -v0
	v_mul_lo_u32 v0, v9, s6
	s_load_b128 s[4:7], s[0:1], 0x20
	v_cvt_i32_f32_e32 v20, v5
	v_cmp_gt_i32_e64 s0, s10, v15
	v_fmac_f32_e32 v1, 0x32a5705f, v11
	s_delay_alu instid0(VALU_DEP_1) | instskip(SKIP_2) | instid1(VALU_DEP_3)
	v_add_f32_e32 v6, v4, v1
	v_lshlrev_b64 v[3:4], 2, v[2:3]
	v_ashrrev_i32_e32 v1, 31, v0
	v_exp_f32_e32 v19, v6
	s_delay_alu instid0(VALU_DEP_2) | instskip(NEXT) | instid1(VALU_DEP_3)
	v_add_co_u32 v5, vcc_lo, s12, v3
	v_add_co_ci_u32_e32 v6, vcc_lo, s13, v4, vcc_lo
	v_cmp_le_i32_e32 vcc_lo, s9, v15
	v_lshlrev_b64 v[0:1], 2, v[0:1]
	v_lshlrev_b64 v[3:4], 2, v[17:18]
	s_waitcnt_depctr 0xfff
	v_ldexp_f32 v19, v19, v20
	s_and_b32 s0, vcc_lo, s0
	v_cmp_ngt_f32_e32 vcc_lo, 0xc2ce8ed0, v11
	v_subrev_nc_u32_e32 v20, s9, v15
	s_delay_alu instid0(VALU_DEP_3)
	v_cndmask_b32_e32 v19, 0, v19, vcc_lo
	s_waitcnt lgkmcnt(0)
	v_add_co_u32 v17, vcc_lo, s4, v0
	v_add_co_ci_u32_e32 v18, vcc_lo, s5, v1, vcc_lo
	s_and_b32 vcc_lo, s15, s0
	s_cmp_eq_u32 s8, 1
	v_cndmask_b32_e32 v21, 4, v20, vcc_lo
	v_cmp_nlt_f32_e32 vcc_lo, 0x42b17218, v11
	v_cndmask_b32_e32 v11, 0x7f800000, v19, vcc_lo
	v_add_co_u32 v19, vcc_lo, s6, v3
	v_add_co_ci_u32_e32 v20, vcc_lo, s7, v4, vcc_lo
	global_store_b32 v[17:18], v21, off
	global_store_b32 v[5:6], v11, off
	;; [unrolled: 1-line block ×3, first 2 shown]
	s_cbranch_scc1 .LBB132_8
; %bb.6:
	v_cmp_ne_u32_e32 vcc_lo, 3, v15
	s_add_i32 s16, s16, s14
	s_add_i32 s3, s8, -1
	v_add3_u32 v7, s16, v8, v7
	v_cndmask_b32_e32 v9, 0xff800000, v16, vcc_lo
	v_cmp_ne_u32_e32 vcc_lo, 2, v15
	v_cndmask_b32_e32 v12, 0xff800000, v12, vcc_lo
	v_cmp_ne_u32_e32 vcc_lo, 1, v15
	v_cndmask_b32_e32 v13, 0xff800000, v13, vcc_lo
	v_cmp_ne_u32_e32 vcc_lo, 0, v15
	v_cndmask_b32_e32 v14, 0xff800000, v14, vcc_lo
	v_add_co_u32 v3, vcc_lo, v3, s6
	v_add_co_ci_u32_e32 v4, vcc_lo, s7, v4, vcc_lo
	v_add_co_u32 v15, vcc_lo, v0, s4
	v_add_co_ci_u32_e32 v16, vcc_lo, s5, v1, vcc_lo
	s_delay_alu instid0(VALU_DEP_4) | instskip(NEXT) | instid1(VALU_DEP_4)
	v_add_co_u32 v0, vcc_lo, v3, 4
	v_add_co_ci_u32_e32 v1, vcc_lo, 0, v4, vcc_lo
	s_delay_alu instid0(VALU_DEP_4) | instskip(NEXT) | instid1(VALU_DEP_4)
	v_add_co_u32 v3, vcc_lo, v15, 4
	v_add_co_ci_u32_e32 v4, vcc_lo, 0, v16, vcc_lo
	v_add_co_u32 v5, vcc_lo, v5, 4
	v_add_co_ci_u32_e32 v6, vcc_lo, 0, v6, vcc_lo
.LBB132_7:                              ; =>This Inner Loop Header: Depth=1
	v_cmp_gt_f32_e32 vcc_lo, v13, v14
	s_add_i32 s3, s3, -1
	v_cndmask_b32_e32 v8, v14, v13, vcc_lo
	v_cndmask_b32_e64 v15, 0, 1, vcc_lo
	s_delay_alu instid0(VALU_DEP_2) | instskip(SKIP_1) | instid1(VALU_DEP_3)
	v_cmp_gt_f32_e32 vcc_lo, v12, v8
	v_cndmask_b32_e32 v8, v8, v12, vcc_lo
	v_cndmask_b32_e64 v15, v15, 2, vcc_lo
	s_delay_alu instid0(VALU_DEP_2) | instskip(NEXT) | instid1(VALU_DEP_2)
	v_cmp_gt_f32_e32 vcc_lo, v9, v8
	v_cndmask_b32_e64 v15, v15, 3, vcc_lo
	v_cndmask_b32_e32 v8, v8, v9, vcc_lo
	s_delay_alu instid0(VALU_DEP_2) | instskip(SKIP_3) | instid1(VALU_DEP_3)
	v_cmp_le_i32_e32 vcc_lo, s9, v15
	v_cmp_gt_i32_e64 s0, s10, v15
	v_subrev_nc_u32_e32 v17, s9, v15
	v_cmp_ne_u32_e64 s1, 3, v15
	s_and_b32 s0, vcc_lo, s0
	s_delay_alu instid0(SALU_CYCLE_1) | instskip(NEXT) | instid1(VALU_DEP_1)
	s_and_b32 vcc_lo, s15, s0
	v_cndmask_b32_e64 v9, 0xff800000, v9, s1
	v_cndmask_b32_e32 v17, 4, v17, vcc_lo
	v_cmp_ne_u32_e64 s1, 2, v15
	s_cmp_eq_u32 s3, 0
	global_store_b32 v[3:4], v17, off
	global_store_b32 v[0:1], v7, off
	v_dual_sub_f32 v8, v8, v10 :: v_dual_add_nc_u32 v7, s14, v7
	v_cndmask_b32_e64 v12, 0xff800000, v12, s1
	v_cmp_ne_u32_e64 s1, 1, v15
	v_add_co_u32 v0, vcc_lo, v0, 4
	s_delay_alu instid0(VALU_DEP_4) | instskip(SKIP_1) | instid1(VALU_DEP_4)
	v_mul_f32_e32 v16, 0x3fb8aa3b, v8
	v_add_co_ci_u32_e32 v1, vcc_lo, 0, v1, vcc_lo
	v_cndmask_b32_e64 v13, 0xff800000, v13, s1
	v_cmp_ne_u32_e64 s1, 0, v15
	s_delay_alu instid0(VALU_DEP_4) | instskip(SKIP_3) | instid1(VALU_DEP_3)
	v_fma_f32 v15, 0x3fb8aa3b, v8, -v16
	v_rndne_f32_e32 v18, v16
	v_add_co_u32 v3, vcc_lo, v3, 4
	v_add_co_ci_u32_e32 v4, vcc_lo, 0, v4, vcc_lo
	v_dual_fmac_f32 v15, 0x32a5705f, v8 :: v_dual_sub_f32 v16, v16, v18
	v_cvt_i32_f32_e32 v18, v18
	v_cmp_ngt_f32_e32 vcc_lo, 0xc2ce8ed0, v8
	v_cndmask_b32_e64 v14, 0xff800000, v14, s1
	s_delay_alu instid0(VALU_DEP_4) | instskip(NEXT) | instid1(VALU_DEP_1)
	v_add_f32_e32 v15, v16, v15
	v_exp_f32_e32 v15, v15
	s_waitcnt_depctr 0xfff
	v_ldexp_f32 v15, v15, v18
	s_delay_alu instid0(VALU_DEP_1) | instskip(SKIP_1) | instid1(VALU_DEP_2)
	v_cndmask_b32_e32 v15, 0, v15, vcc_lo
	v_cmp_nlt_f32_e32 vcc_lo, 0x42b17218, v8
	v_cndmask_b32_e32 v8, 0x7f800000, v15, vcc_lo
	global_store_b32 v[5:6], v8, off
	v_add_co_u32 v5, vcc_lo, v5, 4
	v_add_f32_e32 v11, v11, v8
	v_add_co_ci_u32_e32 v6, vcc_lo, 0, v6, vcc_lo
	s_cbranch_scc0 .LBB132_7
.LBB132_8:
	s_delay_alu instid0(VALU_DEP_2)
	v_cmp_neq_f32_e32 vcc_lo, 0, v11
	s_and_b32 exec_lo, exec_lo, vcc_lo
	s_cbranch_execz .LBB132_12
; %bb.9:
	s_and_not1_b32 vcc_lo, exec_lo, s2
	s_cbranch_vccnz .LBB132_12
; %bb.10:
	v_div_scale_f32 v0, null, v11, v11, 1.0
	v_div_scale_f32 v4, vcc_lo, 1.0, v11, 1.0
	s_delay_alu instid0(VALU_DEP_2) | instskip(SKIP_2) | instid1(VALU_DEP_1)
	v_rcp_f32_e32 v1, v0
	s_waitcnt_depctr 0xfff
	v_fma_f32 v3, -v0, v1, 1.0
	v_fmac_f32_e32 v1, v3, v1
	s_delay_alu instid0(VALU_DEP_1) | instskip(NEXT) | instid1(VALU_DEP_1)
	v_mul_f32_e32 v5, v4, v1
	v_fma_f32 v3, -v0, v5, v4
	s_delay_alu instid0(VALU_DEP_1) | instskip(SKIP_1) | instid1(VALU_DEP_2)
	v_fmac_f32_e32 v5, v3, v1
	v_ashrrev_i32_e32 v3, 31, v2
	v_fma_f32 v0, -v0, v5, v4
	s_delay_alu instid0(VALU_DEP_1) | instskip(NEXT) | instid1(VALU_DEP_3)
	v_div_fmas_f32 v4, v0, v1, v5
	v_lshlrev_b64 v[0:1], 2, v[2:3]
	s_delay_alu instid0(VALU_DEP_2) | instskip(NEXT) | instid1(VALU_DEP_2)
	v_div_fixup_f32 v2, v4, v11, 1.0
	v_add_co_u32 v0, vcc_lo, s12, v0
	s_delay_alu instid0(VALU_DEP_3)
	v_add_co_ci_u32_e32 v1, vcc_lo, s13, v1, vcc_lo
.LBB132_11:                             ; =>This Inner Loop Header: Depth=1
	global_load_b32 v3, v[0:1], off
	s_add_i32 s8, s8, -1
	s_delay_alu instid0(SALU_CYCLE_1)
	s_cmp_lg_u32 s8, 0
	s_waitcnt vmcnt(0)
	v_mul_f32_e32 v3, v2, v3
	global_store_b32 v[0:1], v3, off
	v_add_co_u32 v0, vcc_lo, v0, 4
	v_add_co_ci_u32_e32 v1, vcc_lo, 0, v1, vcc_lo
	s_cbranch_scc1 .LBB132_11
.LBB132_12:
	s_nop 0
	s_sendmsg sendmsg(MSG_DEALLOC_VGPRS)
	s_endpgm
	.section	.rodata,"a",@progbits
	.p2align	6, 0x0
	.amdhsa_kernel _ZN4vllm3moe17topkGatingSoftmaxIDF16_Li4ELi4ELi8ELi8ELb1ELi4ELNS0_23SharedExpertScoringFuncE1EEEvPKT_PKbPfiPiS9_iiiiii
		.amdhsa_group_segment_fixed_size 0
		.amdhsa_private_segment_fixed_size 0
		.amdhsa_kernarg_size 72
		.amdhsa_user_sgpr_count 15
		.amdhsa_user_sgpr_dispatch_ptr 0
		.amdhsa_user_sgpr_queue_ptr 0
		.amdhsa_user_sgpr_kernarg_segment_ptr 1
		.amdhsa_user_sgpr_dispatch_id 0
		.amdhsa_user_sgpr_private_segment_size 0
		.amdhsa_wavefront_size32 1
		.amdhsa_uses_dynamic_stack 0
		.amdhsa_enable_private_segment 0
		.amdhsa_system_sgpr_workgroup_id_x 1
		.amdhsa_system_sgpr_workgroup_id_y 0
		.amdhsa_system_sgpr_workgroup_id_z 0
		.amdhsa_system_sgpr_workgroup_info 0
		.amdhsa_system_vgpr_workitem_id 1
		.amdhsa_next_free_vgpr 31
		.amdhsa_next_free_sgpr 17
		.amdhsa_reserve_vcc 1
		.amdhsa_float_round_mode_32 0
		.amdhsa_float_round_mode_16_64 0
		.amdhsa_float_denorm_mode_32 3
		.amdhsa_float_denorm_mode_16_64 3
		.amdhsa_dx10_clamp 1
		.amdhsa_ieee_mode 1
		.amdhsa_fp16_overflow 0
		.amdhsa_workgroup_processor_mode 1
		.amdhsa_memory_ordered 1
		.amdhsa_forward_progress 0
		.amdhsa_shared_vgpr_count 0
		.amdhsa_exception_fp_ieee_invalid_op 0
		.amdhsa_exception_fp_denorm_src 0
		.amdhsa_exception_fp_ieee_div_zero 0
		.amdhsa_exception_fp_ieee_overflow 0
		.amdhsa_exception_fp_ieee_underflow 0
		.amdhsa_exception_fp_ieee_inexact 0
		.amdhsa_exception_int_div_zero 0
	.end_amdhsa_kernel
	.section	.text._ZN4vllm3moe17topkGatingSoftmaxIDF16_Li4ELi4ELi8ELi8ELb1ELi4ELNS0_23SharedExpertScoringFuncE1EEEvPKT_PKbPfiPiS9_iiiiii,"axG",@progbits,_ZN4vllm3moe17topkGatingSoftmaxIDF16_Li4ELi4ELi8ELi8ELb1ELi4ELNS0_23SharedExpertScoringFuncE1EEEvPKT_PKbPfiPiS9_iiiiii,comdat
.Lfunc_end132:
	.size	_ZN4vllm3moe17topkGatingSoftmaxIDF16_Li4ELi4ELi8ELi8ELb1ELi4ELNS0_23SharedExpertScoringFuncE1EEEvPKT_PKbPfiPiS9_iiiiii, .Lfunc_end132-_ZN4vllm3moe17topkGatingSoftmaxIDF16_Li4ELi4ELi8ELi8ELb1ELi4ELNS0_23SharedExpertScoringFuncE1EEEvPKT_PKbPfiPiS9_iiiiii
                                        ; -- End function
	.section	.AMDGPU.csdata,"",@progbits
; Kernel info:
; codeLenInByte = 2136
; NumSgprs: 19
; NumVgprs: 31
; ScratchSize: 0
; MemoryBound: 0
; FloatMode: 240
; IeeeMode: 1
; LDSByteSize: 0 bytes/workgroup (compile time only)
; SGPRBlocks: 2
; VGPRBlocks: 3
; NumSGPRsForWavesPerEU: 19
; NumVGPRsForWavesPerEU: 31
; Occupancy: 16
; WaveLimiterHint : 0
; COMPUTE_PGM_RSRC2:SCRATCH_EN: 0
; COMPUTE_PGM_RSRC2:USER_SGPR: 15
; COMPUTE_PGM_RSRC2:TRAP_HANDLER: 0
; COMPUTE_PGM_RSRC2:TGID_X_EN: 1
; COMPUTE_PGM_RSRC2:TGID_Y_EN: 0
; COMPUTE_PGM_RSRC2:TGID_Z_EN: 0
; COMPUTE_PGM_RSRC2:TIDIG_COMP_CNT: 1
	.section	.text._ZN4vllm3moe17topkGatingSoftmaxIDF16_Li4ELi4ELi8ELi8ELb0ELi4ELNS0_23SharedExpertScoringFuncE1EEEvPKT_PKbPfiPiS9_iiiiii,"axG",@progbits,_ZN4vllm3moe17topkGatingSoftmaxIDF16_Li4ELi4ELi8ELi8ELb0ELi4ELNS0_23SharedExpertScoringFuncE1EEEvPKT_PKbPfiPiS9_iiiiii,comdat
	.protected	_ZN4vllm3moe17topkGatingSoftmaxIDF16_Li4ELi4ELi8ELi8ELb0ELi4ELNS0_23SharedExpertScoringFuncE1EEEvPKT_PKbPfiPiS9_iiiiii ; -- Begin function _ZN4vllm3moe17topkGatingSoftmaxIDF16_Li4ELi4ELi8ELi8ELb0ELi4ELNS0_23SharedExpertScoringFuncE1EEEvPKT_PKbPfiPiS9_iiiiii
	.globl	_ZN4vllm3moe17topkGatingSoftmaxIDF16_Li4ELi4ELi8ELi8ELb0ELi4ELNS0_23SharedExpertScoringFuncE1EEEvPKT_PKbPfiPiS9_iiiiii
	.p2align	8
	.type	_ZN4vllm3moe17topkGatingSoftmaxIDF16_Li4ELi4ELi8ELi8ELb0ELi4ELNS0_23SharedExpertScoringFuncE1EEEvPKT_PKbPfiPiS9_iiiiii,@function
_ZN4vllm3moe17topkGatingSoftmaxIDF16_Li4ELi4ELi8ELi8ELb0ELi4ELNS0_23SharedExpertScoringFuncE1EEEvPKT_PKbPfiPiS9_iiiiii: ; @_ZN4vllm3moe17topkGatingSoftmaxIDF16_Li4ELi4ELi8ELi8ELb0ELi4ELNS0_23SharedExpertScoringFuncE1EEEvPKT_PKbPfiPiS9_iiiiii
; %bb.0:
	s_load_b32 s16, s[0:1], 0x18
	v_bfe_u32 v1, v0, 10, 10
	v_and_b32_e32 v10, 0x3ff, v0
	s_lshl_b32 s18, s15, 8
	s_mov_b32 s2, exec_lo
	s_delay_alu instid0(VALU_DEP_2) | instskip(NEXT) | instid1(VALU_DEP_1)
	v_lshlrev_b32_e32 v9, 5, v1
	v_add3_u32 v12, v9, v10, s18
	s_waitcnt lgkmcnt(0)
	s_delay_alu instid0(VALU_DEP_1)
	v_cmpx_gt_i32_e64 s16, v12
	s_cbranch_execz .LBB133_12
; %bb.1:
	s_clause 0x1
	s_load_b128 s[4:7], s[0:1], 0x0
	s_load_b64 s[12:13], s[0:1], 0x10
	s_waitcnt lgkmcnt(0)
	s_cmp_eq_u64 s[6:7], 0
	s_cbranch_scc1 .LBB133_3
; %bb.2:
	v_ashrrev_i32_e32 v1, 31, v12
	v_add_co_u32 v0, vcc_lo, s6, v12
	s_delay_alu instid0(VALU_DEP_2) | instskip(SKIP_3) | instid1(VALU_DEP_1)
	v_add_co_ci_u32_e32 v1, vcc_lo, s7, v1, vcc_lo
	global_load_u8 v0, v[0:1], off
	s_waitcnt vmcnt(0)
	v_and_b32_e32 v0, 1, v0
	v_cmp_eq_u32_e32 vcc_lo, 1, v0
	s_xor_b32 s2, vcc_lo, -1
	s_delay_alu instid0(SALU_CYCLE_1)
	s_or_not1_b32 s17, s2, exec_lo
	s_branch .LBB133_4
.LBB133_3:
	s_mov_b32 s17, -1
.LBB133_4:
	s_clause 0x1
	s_load_b64 s[14:15], s[0:1], 0x40
	s_load_b128 s[8:11], s[0:1], 0x30
	s_mov_b32 s2, 0x3fb8aa3b
	s_mov_b32 s3, 0x32a5705f
	s_waitcnt lgkmcnt(0)
	v_mul_lo_u32 v0, v12, s15
	s_cmp_gt_i32 s8, 0
	s_delay_alu instid0(VALU_DEP_1) | instskip(NEXT) | instid1(VALU_DEP_1)
	v_ashrrev_i32_e32 v1, 31, v0
	v_lshlrev_b64 v[0:1], 1, v[0:1]
	s_delay_alu instid0(VALU_DEP_1) | instskip(NEXT) | instid1(VALU_DEP_2)
	v_add_co_u32 v0, vcc_lo, s4, v0
	v_add_co_ci_u32_e32 v1, vcc_lo, s5, v1, vcc_lo
	global_load_b128 v[1:4], v[0:1], off
	v_mul_lo_u32 v0, v12, s11
	s_cselect_b32 s11, -1, 0
	s_cmp_lt_i32 s8, 1
	s_waitcnt vmcnt(0)
	v_cvt_f32_f16_e64 v11, -v3
	v_lshrrev_b32_e32 v8, 16, v3
	v_cvt_f32_f16_e64 v13, -v4
	v_lshrrev_b32_e32 v14, 16, v4
	v_add_nc_u32_e32 v5, s8, v0
	v_cvt_f32_f16_e32 v7, v1
	v_cvt_f32_f16_e64 v16, -v8
	v_mul_f32_e32 v8, 0x3fb8aa3b, v13
	v_cvt_f32_f16_e64 v14, -v14
	v_mul_f32_e32 v15, 0x3fb8aa3b, v11
	v_ashrrev_i32_e32 v6, 31, v5
	s_delay_alu instid0(VALU_DEP_4) | instskip(NEXT) | instid1(VALU_DEP_4)
	v_fma_mix_f32 v20, -v4, s2, -v8 op_sel_hi:[1,0,0]
	v_mul_f32_e32 v22, 0x3fb8aa3b, v14
	s_delay_alu instid0(VALU_DEP_4)
	v_fma_mix_f32 v17, -v3, s2, -v15 op_sel_hi:[1,0,0]
	v_rndne_f32_e32 v18, v15
	v_rndne_f32_e32 v21, v8
	v_mul_f32_e32 v19, 0x3fb8aa3b, v16
	v_fma_mix_f32 v20, -v4, s3, v20 op_sel_hi:[1,0,0]
	v_fma_mix_f32 v17, -v3, s3, v17 op_sel_hi:[1,0,0]
	v_fma_mix_f32 v25, -v4, s2, -v22 op_sel:[1,0,0] op_sel_hi:[1,0,0]
	v_dual_sub_f32 v8, v8, v21 :: v_dual_sub_f32 v15, v15, v18
	v_fma_mix_f32 v23, -v3, s2, -v19 op_sel:[1,0,0] op_sel_hi:[1,0,0]
	v_rndne_f32_e32 v24, v19
	v_rndne_f32_e32 v26, v22
	s_delay_alu instid0(VALU_DEP_4) | instskip(NEXT) | instid1(VALU_DEP_4)
	v_dual_add_f32 v8, v8, v20 :: v_dual_add_f32 v15, v15, v17
	v_fma_mix_f32 v3, -v3, s3, v23 op_sel:[1,0,0] op_sel_hi:[1,0,0]
	s_delay_alu instid0(VALU_DEP_4)
	v_sub_f32_e32 v17, v19, v24
	v_lshlrev_b64 v[5:6], 2, v[5:6]
	v_fma_mix_f32 v4, -v4, s3, v25 op_sel:[1,0,0] op_sel_hi:[1,0,0]
	v_exp_f32_e32 v15, v15
	v_sub_f32_e32 v19, v22, v26
	v_add_f32_e32 v3, v17, v3
	v_exp_f32_e32 v20, v8
	v_cvt_i32_f32_e32 v18, v18
	v_add_co_u32 v5, vcc_lo, s12, v5
	v_add_f32_e32 v4, v19, v4
	v_add_co_ci_u32_e32 v6, vcc_lo, s13, v6, vcc_lo
	v_exp_f32_e32 v3, v3
	v_cvt_i32_f32_e32 v19, v21
	v_ldexp_f32 v15, v15, v18
	v_cmp_ngt_f32_e32 vcc_lo, 0xc2ce8ed0, v11
	v_cvt_i32_f32_e32 v18, v24
	v_exp_f32_e32 v4, v4
	v_ldexp_f32 v19, v20, v19
	v_cvt_i32_f32_e32 v21, v26
	v_cndmask_b32_e32 v15, 0, v15, vcc_lo
	v_cmp_ngt_f32_e32 vcc_lo, 0xc2ce8ed0, v13
	v_ldexp_f32 v3, v3, v18
	v_lshrrev_b32_e32 v17, 16, v1
	v_cvt_f32_f16_e32 v8, v2
	v_lshrrev_b32_e32 v2, 16, v2
	v_cndmask_b32_e32 v18, 0, v19, vcc_lo
	v_cmp_nlt_f32_e32 vcc_lo, 0x42b17218, v11
	v_ldexp_f32 v4, v4, v21
	v_cmp_lt_f16_e64 s3, v1, v17
	v_cndmask_b32_e32 v11, 0x7f800000, v15, vcc_lo
	v_cmp_ngt_f32_e32 vcc_lo, 0xc2ce8ed0, v16
	v_cndmask_b32_e32 v3, 0, v3, vcc_lo
	v_cmp_nlt_f32_e32 vcc_lo, 0x42b17218, v13
	v_cndmask_b32_e32 v13, 0x7f800000, v18, vcc_lo
	v_cmp_ngt_f32_e32 vcc_lo, 0xc2ce8ed0, v14
	v_cndmask_b32_e32 v4, 0, v4, vcc_lo
	v_cmp_nlt_f32_e32 vcc_lo, 0x42b17218, v16
	s_delay_alu instid0(VALU_DEP_4)
	v_add_f32_e32 v16, 1.0, v13
	v_cvt_f32_f16_e32 v13, v17
	v_cndmask_b32_e32 v3, 0x7f800000, v3, vcc_lo
	v_cmp_nlt_f32_e32 vcc_lo, 0x42b17218, v14
	v_add_f32_e32 v15, 1.0, v11
	v_div_scale_f32 v18, null, v16, v16, 1.0
	v_cndmask_b32_e64 v1, v7, v13, s3
	v_cndmask_b32_e32 v4, 0x7f800000, v4, vcc_lo
	s_delay_alu instid0(VALU_DEP_4) | instskip(NEXT) | instid1(VALU_DEP_4)
	v_div_scale_f32 v14, null, v15, v15, 1.0
	v_rcp_f32_e32 v21, v18
	s_delay_alu instid0(VALU_DEP_3) | instskip(NEXT) | instid1(VALU_DEP_3)
	v_cmp_lt_f32_e64 s2, v1, v8
	v_add_f32_e32 v4, 1.0, v4
	s_delay_alu instid0(VALU_DEP_3) | instskip(SKIP_1) | instid1(VALU_DEP_3)
	v_rcp_f32_e32 v20, v14
	v_div_scale_f32 v26, s4, 1.0, v16, 1.0
	v_cndmask_b32_e64 v1, v1, v8, s2
	s_delay_alu instid0(VALU_DEP_3) | instskip(SKIP_1) | instid1(TRANS32_DEP_2)
	v_div_scale_f32 v22, null, v4, v4, 1.0
	v_div_scale_f32 v24, vcc_lo, 1.0, v15, 1.0
	v_fma_f32 v27, -v18, v21, 1.0
	s_delay_alu instid0(VALU_DEP_3) | instskip(NEXT) | instid1(TRANS32_DEP_2)
	v_rcp_f32_e32 v25, v22
	v_fma_f32 v11, -v14, v20, 1.0
	s_delay_alu instid0(VALU_DEP_1) | instskip(SKIP_2) | instid1(VALU_DEP_1)
	v_fmac_f32_e32 v20, v11, v20
	s_waitcnt_depctr 0xfff
	v_fma_f32 v11, -v22, v25, 1.0
	v_fmac_f32_e32 v25, v11, v25
	v_cvt_f32_f16_e32 v11, v2
	v_fmac_f32_e32 v21, v27, v21
	v_div_scale_f32 v27, s6, 1.0, v4, 1.0
	s_delay_alu instid0(VALU_DEP_2) | instskip(NEXT) | instid1(VALU_DEP_2)
	v_mul_f32_e32 v30, v26, v21
	v_mul_f32_e32 v33, v27, v25
	s_delay_alu instid0(VALU_DEP_2) | instskip(NEXT) | instid1(VALU_DEP_1)
	v_fma_f32 v32, -v18, v30, v26
	v_dual_add_f32 v3, 1.0, v3 :: v_dual_fmac_f32 v30, v32, v21
	s_delay_alu instid0(VALU_DEP_1) | instskip(SKIP_1) | instid1(VALU_DEP_3)
	v_div_scale_f32 v19, null, v3, v3, 1.0
	v_div_scale_f32 v29, s5, 1.0, v3, 1.0
	v_fma_f32 v17, -v18, v30, v26
	s_delay_alu instid0(VALU_DEP_3) | instskip(SKIP_2) | instid1(VALU_DEP_1)
	v_rcp_f32_e32 v23, v19
	s_waitcnt_depctr 0xfff
	v_fma_f32 v28, -v19, v23, 1.0
	v_fmac_f32_e32 v23, v28, v23
	s_delay_alu instid0(VALU_DEP_1) | instskip(NEXT) | instid1(VALU_DEP_1)
	v_dual_mul_f32 v28, v24, v20 :: v_dual_mul_f32 v31, v29, v23
	v_fma_f32 v2, -v14, v28, v24
	s_delay_alu instid0(VALU_DEP_2) | instskip(NEXT) | instid1(VALU_DEP_2)
	v_fma_f32 v34, -v19, v31, v29
	v_fmac_f32_e32 v28, v2, v20
	v_fma_f32 v2, -v22, v33, v27
	s_delay_alu instid0(VALU_DEP_3) | instskip(NEXT) | instid1(VALU_DEP_3)
	v_fmac_f32_e32 v31, v34, v23
	v_fma_f32 v14, -v14, v28, v24
	s_delay_alu instid0(VALU_DEP_3) | instskip(NEXT) | instid1(VALU_DEP_3)
	v_fmac_f32_e32 v33, v2, v25
	v_fma_f32 v2, -v19, v31, v29
	s_delay_alu instid0(VALU_DEP_3) | instskip(SKIP_1) | instid1(VALU_DEP_3)
	v_div_fmas_f32 v18, v14, v20, v28
	s_mov_b32 vcc_lo, s5
	v_fma_f32 v14, -v22, v33, v27
	s_delay_alu instid0(VALU_DEP_3) | instskip(SKIP_3) | instid1(VALU_DEP_2)
	v_div_fmas_f32 v2, v2, v23, v31
	s_mov_b32 vcc_lo, s4
	v_div_fmas_f32 v17, v17, v21, v30
	s_mov_b32 vcc_lo, s6
	v_div_fixup_f32 v2, v2, v3, 1.0
	v_div_fmas_f32 v19, v14, v25, v33
	v_cmp_lt_f32_e32 vcc_lo, v1, v11
	v_div_fixup_f32 v3, v17, v16, 1.0
	s_delay_alu instid0(VALU_DEP_3)
	v_div_fixup_f32 v4, v19, v4, 1.0
	v_cndmask_b32_e32 v14, v1, v11, vcc_lo
	v_div_fixup_f32 v1, v18, v15, 1.0
	v_mov_b32_e32 v15, 0
	global_store_b128 v[5:6], v[1:4], off
	s_cbranch_scc1 .LBB133_8
; %bb.5:
	v_cndmask_b32_e64 v4, 0, 1, s3
	v_sub_f32_e32 v20, v14, v14
	s_load_b128 s[4:7], s[0:1], 0x20
	v_mul_lo_u32 v2, v12, s14
	v_ashrrev_i32_e32 v1, 31, v0
	v_cndmask_b32_e64 v4, v4, 2, s2
	v_mul_lo_u32 v15, v12, s8
	s_delay_alu instid0(VALU_DEP_3) | instskip(NEXT) | instid1(VALU_DEP_3)
	v_lshlrev_b64 v[5:6], 2, v[0:1]
	v_cndmask_b32_e64 v21, v4, 3, vcc_lo
	s_delay_alu instid0(VALU_DEP_3) | instskip(NEXT) | instid1(VALU_DEP_2)
	v_ashrrev_i32_e32 v16, 31, v15
	v_subrev_nc_u32_e32 v22, s9, v21
	v_mul_f32_e32 v3, 0x3fb8aa3b, v20
	v_add_co_u32 v5, vcc_lo, s12, v5
	v_add_co_ci_u32_e32 v6, vcc_lo, s13, v6, vcc_lo
	s_delay_alu instid0(VALU_DEP_3) | instskip(SKIP_3) | instid1(VALU_DEP_4)
	v_rndne_f32_e32 v17, v3
	v_cmp_le_i32_e32 vcc_lo, s9, v21
	v_cmp_gt_i32_e64 s0, s10, v21
	v_cmp_ne_u32_e64 s1, 3, v21
	v_sub_f32_e32 v19, v3, v17
	v_fma_f32 v18, 0x3fb8aa3b, v20, -v3
	v_ashrrev_i32_e32 v3, 31, v2
	s_and_b32 s0, vcc_lo, s0
	v_cndmask_b32_e64 v11, 0xff800000, v11, s1
	s_delay_alu instid0(VALU_DEP_3) | instskip(NEXT) | instid1(VALU_DEP_1)
	v_fmac_f32_e32 v18, 0x32a5705f, v20
	v_add_f32_e32 v1, v19, v18
	s_delay_alu instid0(VALU_DEP_1) | instskip(SKIP_4) | instid1(VALU_DEP_3)
	v_exp_f32_e32 v18, v1
	v_lshlrev_b64 v[1:2], 2, v[2:3]
	v_lshlrev_b64 v[3:4], 2, v[15:16]
	v_cvt_i32_f32_e32 v15, v17
	s_waitcnt lgkmcnt(0)
	v_add_co_u32 v16, vcc_lo, s4, v1
	s_delay_alu instid0(VALU_DEP_4) | instskip(SKIP_3) | instid1(VALU_DEP_2)
	v_add_co_ci_u32_e32 v17, vcc_lo, s5, v2, vcc_lo
	s_waitcnt_depctr 0xfff
	v_ldexp_f32 v15, v18, v15
	v_cmp_ngt_f32_e32 vcc_lo, 0xc2ce8ed0, v20
	v_cndmask_b32_e32 v15, 0, v15, vcc_lo
	v_add_co_u32 v18, vcc_lo, s6, v3
	v_add_co_ci_u32_e32 v19, vcc_lo, s7, v4, vcc_lo
	s_and_b32 vcc_lo, s17, s0
	s_cmp_eq_u32 s8, 1
	v_cndmask_b32_e32 v22, 4, v22, vcc_lo
	v_cmp_nlt_f32_e32 vcc_lo, 0x42b17218, v20
	v_cndmask_b32_e32 v15, 0x7f800000, v15, vcc_lo
	v_cmp_ne_u32_e32 vcc_lo, 2, v21
	global_store_b32 v[5:6], v15, off
	v_cndmask_b32_e32 v8, 0xff800000, v8, vcc_lo
	v_cmp_ne_u32_e32 vcc_lo, 1, v21
	global_store_b32 v[16:17], v22, off
	global_store_b32 v[18:19], v12, off
	v_cndmask_b32_e32 v13, 0xff800000, v13, vcc_lo
	v_cmp_ne_u32_e32 vcc_lo, 0, v21
	v_cndmask_b32_e32 v7, 0xff800000, v7, vcc_lo
	s_cbranch_scc1 .LBB133_8
; %bb.6:
	v_add_co_u32 v3, vcc_lo, v3, s6
	v_add_co_ci_u32_e32 v4, vcc_lo, s7, v4, vcc_lo
	v_add_co_u32 v12, vcc_lo, v1, s4
	v_add_co_ci_u32_e32 v16, vcc_lo, s5, v2, vcc_lo
	s_delay_alu instid0(VALU_DEP_4) | instskip(NEXT) | instid1(VALU_DEP_4)
	v_add_co_u32 v1, vcc_lo, v3, 4
	v_add_co_ci_u32_e32 v2, vcc_lo, 0, v4, vcc_lo
	s_delay_alu instid0(VALU_DEP_4) | instskip(NEXT) | instid1(VALU_DEP_4)
	v_add_co_u32 v3, vcc_lo, v12, 4
	v_add_co_ci_u32_e32 v4, vcc_lo, 0, v16, vcc_lo
	s_add_i32 s18, s18, s16
	v_add_co_u32 v5, vcc_lo, v5, 4
	v_add_co_ci_u32_e32 v6, vcc_lo, 0, v6, vcc_lo
	v_add3_u32 v9, s18, v10, v9
	s_add_i32 s2, s8, -1
.LBB133_7:                              ; =>This Inner Loop Header: Depth=1
	v_cmp_gt_f32_e32 vcc_lo, v13, v7
	s_add_i32 s2, s2, -1
	v_cndmask_b32_e32 v10, v7, v13, vcc_lo
	v_cndmask_b32_e64 v12, 0, 1, vcc_lo
	s_delay_alu instid0(VALU_DEP_2) | instskip(SKIP_1) | instid1(VALU_DEP_3)
	v_cmp_gt_f32_e32 vcc_lo, v8, v10
	v_cndmask_b32_e32 v10, v10, v8, vcc_lo
	v_cndmask_b32_e64 v12, v12, 2, vcc_lo
	s_delay_alu instid0(VALU_DEP_2) | instskip(NEXT) | instid1(VALU_DEP_2)
	v_cmp_gt_f32_e32 vcc_lo, v11, v10
	v_cndmask_b32_e64 v12, v12, 3, vcc_lo
	v_cndmask_b32_e32 v10, v10, v11, vcc_lo
	s_delay_alu instid0(VALU_DEP_2) | instskip(SKIP_3) | instid1(VALU_DEP_3)
	v_cmp_le_i32_e32 vcc_lo, s9, v12
	v_cmp_gt_i32_e64 s0, s10, v12
	v_subrev_nc_u32_e32 v17, s9, v12
	v_cmp_ne_u32_e64 s1, 3, v12
	s_and_b32 s0, vcc_lo, s0
	s_delay_alu instid0(SALU_CYCLE_1) | instskip(NEXT) | instid1(VALU_DEP_1)
	s_and_b32 vcc_lo, s17, s0
	v_cndmask_b32_e64 v11, 0xff800000, v11, s1
	v_cndmask_b32_e32 v17, 4, v17, vcc_lo
	v_cmp_ne_u32_e64 s1, 2, v12
	s_cmp_eq_u32 s2, 0
	global_store_b32 v[3:4], v17, off
	global_store_b32 v[1:2], v9, off
	v_dual_sub_f32 v10, v10, v14 :: v_dual_add_nc_u32 v9, s16, v9
	v_cndmask_b32_e64 v8, 0xff800000, v8, s1
	v_cmp_ne_u32_e64 s1, 1, v12
	v_add_co_u32 v1, vcc_lo, v1, 4
	s_delay_alu instid0(VALU_DEP_4) | instskip(SKIP_1) | instid1(VALU_DEP_4)
	v_mul_f32_e32 v16, 0x3fb8aa3b, v10
	v_add_co_ci_u32_e32 v2, vcc_lo, 0, v2, vcc_lo
	v_cndmask_b32_e64 v13, 0xff800000, v13, s1
	v_cmp_ne_u32_e64 s1, 0, v12
	s_delay_alu instid0(VALU_DEP_4) | instskip(SKIP_3) | instid1(VALU_DEP_4)
	v_fma_f32 v12, 0x3fb8aa3b, v10, -v16
	v_rndne_f32_e32 v18, v16
	v_add_co_u32 v3, vcc_lo, v3, 4
	v_add_co_ci_u32_e32 v4, vcc_lo, 0, v4, vcc_lo
	v_fmac_f32_e32 v12, 0x32a5705f, v10
	s_delay_alu instid0(VALU_DEP_4) | instskip(SKIP_3) | instid1(VALU_DEP_4)
	v_sub_f32_e32 v16, v16, v18
	v_cvt_i32_f32_e32 v18, v18
	v_cmp_ngt_f32_e32 vcc_lo, 0xc2ce8ed0, v10
	v_cndmask_b32_e64 v7, 0xff800000, v7, s1
	v_add_f32_e32 v12, v16, v12
	s_delay_alu instid0(VALU_DEP_1) | instskip(SKIP_2) | instid1(VALU_DEP_1)
	v_exp_f32_e32 v12, v12
	s_waitcnt_depctr 0xfff
	v_ldexp_f32 v12, v12, v18
	v_cndmask_b32_e32 v12, 0, v12, vcc_lo
	v_cmp_nlt_f32_e32 vcc_lo, 0x42b17218, v10
	s_delay_alu instid0(VALU_DEP_2) | instskip(NEXT) | instid1(VALU_DEP_1)
	v_cndmask_b32_e32 v10, 0x7f800000, v12, vcc_lo
	v_add_f32_e32 v15, v15, v10
	global_store_b32 v[5:6], v10, off
	v_add_co_u32 v5, vcc_lo, v5, 4
	v_add_co_ci_u32_e32 v6, vcc_lo, 0, v6, vcc_lo
	s_cbranch_scc0 .LBB133_7
.LBB133_8:
	v_sub_f32_e32 v3, v8, v14
	v_sub_f32_e32 v4, v11, v14
	s_delay_alu instid0(VALU_DEP_1) | instskip(NEXT) | instid1(VALU_DEP_1)
	v_dual_sub_f32 v1, v7, v14 :: v_dual_mul_f32 v8, 0x3fb8aa3b, v4
	v_dual_sub_f32 v2, v13, v14 :: v_dual_mul_f32 v5, 0x3fb8aa3b, v1
	v_cmp_ngt_f32_e32 vcc_lo, 0xc2ce8ed0, v1
	s_delay_alu instid0(VALU_DEP_3) | instskip(NEXT) | instid1(VALU_DEP_3)
	v_rndne_f32_e32 v17, v8
	v_fma_f32 v9, 0x3fb8aa3b, v1, -v5
	v_rndne_f32_e32 v10, v5
	s_delay_alu instid0(VALU_DEP_2) | instskip(NEXT) | instid1(VALU_DEP_2)
	v_fmac_f32_e32 v9, 0x32a5705f, v1
	v_sub_f32_e32 v5, v5, v10
	s_delay_alu instid0(VALU_DEP_1) | instskip(NEXT) | instid1(VALU_DEP_1)
	v_dual_mul_f32 v6, 0x3fb8aa3b, v2 :: v_dual_add_f32 v5, v5, v9
	v_fma_f32 v11, 0x3fb8aa3b, v2, -v6
	v_rndne_f32_e32 v12, v6
	v_cvt_i32_f32_e32 v9, v10
	s_delay_alu instid0(VALU_DEP_4) | instskip(NEXT) | instid1(VALU_DEP_2)
	v_exp_f32_e32 v5, v5
	v_dual_fmac_f32 v11, 0x32a5705f, v2 :: v_dual_sub_f32 v6, v6, v12
	v_mul_f32_e32 v7, 0x3fb8aa3b, v3
	v_fma_f32 v16, 0x3fb8aa3b, v4, -v8
	v_sub_f32_e32 v8, v8, v17
	v_cvt_i32_f32_e32 v10, v12
	v_add_f32_e32 v6, v6, v11
	v_fma_f32 v13, 0x3fb8aa3b, v3, -v7
	v_rndne_f32_e32 v14, v7
	v_fmac_f32_e32 v16, 0x32a5705f, v4
	v_ldexp_f32 v5, v5, v9
	v_exp_f32_e32 v6, v6
	v_fmac_f32_e32 v13, 0x32a5705f, v3
	s_delay_alu instid0(VALU_DEP_3) | instskip(NEXT) | instid1(VALU_DEP_3)
	v_dual_sub_f32 v7, v7, v14 :: v_dual_add_f32 v8, v8, v16
	v_cndmask_b32_e32 v5, 0, v5, vcc_lo
	v_cmp_ngt_f32_e32 vcc_lo, 0xc2ce8ed0, v2
	v_cvt_i32_f32_e32 v11, v14
	v_cvt_i32_f32_e32 v9, v17
	v_exp_f32_e32 v8, v8
	s_delay_alu instid0(TRANS32_DEP_2) | instskip(NEXT) | instid1(VALU_DEP_1)
	v_ldexp_f32 v6, v6, v10
	v_dual_add_f32 v7, v7, v13 :: v_dual_cndmask_b32 v6, 0, v6
	s_delay_alu instid0(VALU_DEP_1)
	v_exp_f32_e32 v7, v7
	v_cmp_nlt_f32_e32 vcc_lo, 0x42b17218, v1
	v_cndmask_b32_e32 v1, 0x7f800000, v5, vcc_lo
	v_cmp_nlt_f32_e32 vcc_lo, 0x42b17218, v2
	s_waitcnt_depctr 0xfff
	v_ldexp_f32 v7, v7, v11
	v_cndmask_b32_e32 v2, 0x7f800000, v6, vcc_lo
	v_cmp_ngt_f32_e32 vcc_lo, 0xc2ce8ed0, v3
	v_ldexp_f32 v6, v8, v9
	s_delay_alu instid0(VALU_DEP_3) | instskip(SKIP_2) | instid1(VALU_DEP_2)
	v_add_f32_e32 v1, v1, v2
	v_cndmask_b32_e32 v5, 0, v7, vcc_lo
	v_cmp_nlt_f32_e32 vcc_lo, 0x42b17218, v3
	v_cndmask_b32_e32 v2, 0x7f800000, v5, vcc_lo
	v_cmp_ngt_f32_e32 vcc_lo, 0xc2ce8ed0, v4
	s_delay_alu instid0(VALU_DEP_2) | instskip(SKIP_2) | instid1(VALU_DEP_2)
	v_add_f32_e32 v1, v1, v2
	v_cndmask_b32_e32 v3, 0, v6, vcc_lo
	v_cmp_nlt_f32_e32 vcc_lo, 0x42b17218, v4
	v_cndmask_b32_e32 v2, 0x7f800000, v3, vcc_lo
	s_delay_alu instid0(VALU_DEP_1) | instskip(NEXT) | instid1(VALU_DEP_1)
	v_add_f32_e32 v1, v1, v2
	v_add_f32_e32 v2, v15, v1
	s_delay_alu instid0(VALU_DEP_1)
	v_cmp_neq_f32_e32 vcc_lo, 0, v2
	s_and_b32 exec_lo, exec_lo, vcc_lo
	s_cbranch_execz .LBB133_12
; %bb.9:
	s_and_not1_b32 vcc_lo, exec_lo, s11
	s_cbranch_vccnz .LBB133_12
; %bb.10:
	v_div_scale_f32 v1, null, v2, v2, 1.0
	v_div_scale_f32 v5, vcc_lo, 1.0, v2, 1.0
	s_delay_alu instid0(VALU_DEP_2) | instskip(SKIP_2) | instid1(VALU_DEP_1)
	v_rcp_f32_e32 v3, v1
	s_waitcnt_depctr 0xfff
	v_fma_f32 v4, -v1, v3, 1.0
	v_fmac_f32_e32 v3, v4, v3
	s_delay_alu instid0(VALU_DEP_1) | instskip(NEXT) | instid1(VALU_DEP_1)
	v_mul_f32_e32 v4, v5, v3
	v_fma_f32 v6, -v1, v4, v5
	s_delay_alu instid0(VALU_DEP_1) | instskip(NEXT) | instid1(VALU_DEP_1)
	v_fmac_f32_e32 v4, v6, v3
	v_fma_f32 v5, -v1, v4, v5
	v_ashrrev_i32_e32 v1, 31, v0
	s_delay_alu instid0(VALU_DEP_2) | instskip(NEXT) | instid1(VALU_DEP_2)
	v_div_fmas_f32 v3, v5, v3, v4
	v_lshlrev_b64 v[0:1], 2, v[0:1]
	s_delay_alu instid0(VALU_DEP_2) | instskip(NEXT) | instid1(VALU_DEP_2)
	v_div_fixup_f32 v2, v3, v2, 1.0
	v_add_co_u32 v0, vcc_lo, s12, v0
	s_delay_alu instid0(VALU_DEP_3)
	v_add_co_ci_u32_e32 v1, vcc_lo, s13, v1, vcc_lo
.LBB133_11:                             ; =>This Inner Loop Header: Depth=1
	global_load_b32 v3, v[0:1], off
	s_add_i32 s8, s8, -1
	s_delay_alu instid0(SALU_CYCLE_1)
	s_cmp_lg_u32 s8, 0
	s_waitcnt vmcnt(0)
	v_mul_f32_e32 v3, v2, v3
	global_store_b32 v[0:1], v3, off
	v_add_co_u32 v0, vcc_lo, v0, 4
	v_add_co_ci_u32_e32 v1, vcc_lo, 0, v1, vcc_lo
	s_cbranch_scc1 .LBB133_11
.LBB133_12:
	s_nop 0
	s_sendmsg sendmsg(MSG_DEALLOC_VGPRS)
	s_endpgm
	.section	.rodata,"a",@progbits
	.p2align	6, 0x0
	.amdhsa_kernel _ZN4vllm3moe17topkGatingSoftmaxIDF16_Li4ELi4ELi8ELi8ELb0ELi4ELNS0_23SharedExpertScoringFuncE1EEEvPKT_PKbPfiPiS9_iiiiii
		.amdhsa_group_segment_fixed_size 0
		.amdhsa_private_segment_fixed_size 0
		.amdhsa_kernarg_size 72
		.amdhsa_user_sgpr_count 15
		.amdhsa_user_sgpr_dispatch_ptr 0
		.amdhsa_user_sgpr_queue_ptr 0
		.amdhsa_user_sgpr_kernarg_segment_ptr 1
		.amdhsa_user_sgpr_dispatch_id 0
		.amdhsa_user_sgpr_private_segment_size 0
		.amdhsa_wavefront_size32 1
		.amdhsa_uses_dynamic_stack 0
		.amdhsa_enable_private_segment 0
		.amdhsa_system_sgpr_workgroup_id_x 1
		.amdhsa_system_sgpr_workgroup_id_y 0
		.amdhsa_system_sgpr_workgroup_id_z 0
		.amdhsa_system_sgpr_workgroup_info 0
		.amdhsa_system_vgpr_workitem_id 1
		.amdhsa_next_free_vgpr 35
		.amdhsa_next_free_sgpr 19
		.amdhsa_reserve_vcc 1
		.amdhsa_float_round_mode_32 0
		.amdhsa_float_round_mode_16_64 0
		.amdhsa_float_denorm_mode_32 3
		.amdhsa_float_denorm_mode_16_64 3
		.amdhsa_dx10_clamp 1
		.amdhsa_ieee_mode 1
		.amdhsa_fp16_overflow 0
		.amdhsa_workgroup_processor_mode 1
		.amdhsa_memory_ordered 1
		.amdhsa_forward_progress 0
		.amdhsa_shared_vgpr_count 0
		.amdhsa_exception_fp_ieee_invalid_op 0
		.amdhsa_exception_fp_denorm_src 0
		.amdhsa_exception_fp_ieee_div_zero 0
		.amdhsa_exception_fp_ieee_overflow 0
		.amdhsa_exception_fp_ieee_underflow 0
		.amdhsa_exception_fp_ieee_inexact 0
		.amdhsa_exception_int_div_zero 0
	.end_amdhsa_kernel
	.section	.text._ZN4vllm3moe17topkGatingSoftmaxIDF16_Li4ELi4ELi8ELi8ELb0ELi4ELNS0_23SharedExpertScoringFuncE1EEEvPKT_PKbPfiPiS9_iiiiii,"axG",@progbits,_ZN4vllm3moe17topkGatingSoftmaxIDF16_Li4ELi4ELi8ELi8ELb0ELi4ELNS0_23SharedExpertScoringFuncE1EEEvPKT_PKbPfiPiS9_iiiiii,comdat
.Lfunc_end133:
	.size	_ZN4vllm3moe17topkGatingSoftmaxIDF16_Li4ELi4ELi8ELi8ELb0ELi4ELNS0_23SharedExpertScoringFuncE1EEEvPKT_PKbPfiPiS9_iiiiii, .Lfunc_end133-_ZN4vllm3moe17topkGatingSoftmaxIDF16_Li4ELi4ELi8ELi8ELb0ELi4ELNS0_23SharedExpertScoringFuncE1EEEvPKT_PKbPfiPiS9_iiiiii
                                        ; -- End function
	.section	.AMDGPU.csdata,"",@progbits
; Kernel info:
; codeLenInByte = 2584
; NumSgprs: 21
; NumVgprs: 35
; ScratchSize: 0
; MemoryBound: 0
; FloatMode: 240
; IeeeMode: 1
; LDSByteSize: 0 bytes/workgroup (compile time only)
; SGPRBlocks: 2
; VGPRBlocks: 4
; NumSGPRsForWavesPerEU: 21
; NumVGPRsForWavesPerEU: 35
; Occupancy: 16
; WaveLimiterHint : 0
; COMPUTE_PGM_RSRC2:SCRATCH_EN: 0
; COMPUTE_PGM_RSRC2:USER_SGPR: 15
; COMPUTE_PGM_RSRC2:TRAP_HANDLER: 0
; COMPUTE_PGM_RSRC2:TGID_X_EN: 1
; COMPUTE_PGM_RSRC2:TGID_Y_EN: 0
; COMPUTE_PGM_RSRC2:TGID_Z_EN: 0
; COMPUTE_PGM_RSRC2:TIDIG_COMP_CNT: 1
	.section	.text._ZN4vllm3moe17topkGatingSoftmaxIDF16_Li4ELi4ELi8ELi8ELb1ELi8ELNS0_23SharedExpertScoringFuncE1EEEvPKT_PKbPfiPiS9_iiiiii,"axG",@progbits,_ZN4vllm3moe17topkGatingSoftmaxIDF16_Li4ELi4ELi8ELi8ELb1ELi8ELNS0_23SharedExpertScoringFuncE1EEEvPKT_PKbPfiPiS9_iiiiii,comdat
	.protected	_ZN4vllm3moe17topkGatingSoftmaxIDF16_Li4ELi4ELi8ELi8ELb1ELi8ELNS0_23SharedExpertScoringFuncE1EEEvPKT_PKbPfiPiS9_iiiiii ; -- Begin function _ZN4vllm3moe17topkGatingSoftmaxIDF16_Li4ELi4ELi8ELi8ELb1ELi8ELNS0_23SharedExpertScoringFuncE1EEEvPKT_PKbPfiPiS9_iiiiii
	.globl	_ZN4vllm3moe17topkGatingSoftmaxIDF16_Li4ELi4ELi8ELi8ELb1ELi8ELNS0_23SharedExpertScoringFuncE1EEEvPKT_PKbPfiPiS9_iiiiii
	.p2align	8
	.type	_ZN4vllm3moe17topkGatingSoftmaxIDF16_Li4ELi4ELi8ELi8ELb1ELi8ELNS0_23SharedExpertScoringFuncE1EEEvPKT_PKbPfiPiS9_iiiiii,@function
_ZN4vllm3moe17topkGatingSoftmaxIDF16_Li4ELi4ELi8ELi8ELb1ELi8ELNS0_23SharedExpertScoringFuncE1EEEvPKT_PKbPfiPiS9_iiiiii: ; @_ZN4vllm3moe17topkGatingSoftmaxIDF16_Li4ELi4ELi8ELi8ELb1ELi8ELNS0_23SharedExpertScoringFuncE1EEEvPKT_PKbPfiPiS9_iiiiii
; %bb.0:
	s_load_b32 s9, s[0:1], 0x18
	v_bfe_u32 v1, v0, 10, 10
	v_and_b32_e32 v8, 0x3ff, v0
	s_lshl_b32 s19, s15, 8
	s_mov_b32 s2, exec_lo
	s_delay_alu instid0(VALU_DEP_2) | instskip(NEXT) | instid1(VALU_DEP_1)
	v_lshlrev_b32_e32 v7, 5, v1
	v_add3_u32 v9, v7, v8, s19
	s_waitcnt lgkmcnt(0)
	s_delay_alu instid0(VALU_DEP_1)
	v_cmpx_gt_i32_e64 s9, v9
	s_cbranch_execz .LBB134_12
; %bb.1:
	s_clause 0x1
	s_load_b128 s[4:7], s[0:1], 0x0
	s_load_b64 s[10:11], s[0:1], 0x10
	s_waitcnt lgkmcnt(0)
	s_cmp_eq_u64 s[6:7], 0
	s_cbranch_scc1 .LBB134_3
; %bb.2:
	v_ashrrev_i32_e32 v1, 31, v9
	v_add_co_u32 v0, vcc_lo, s6, v9
	s_delay_alu instid0(VALU_DEP_2) | instskip(SKIP_3) | instid1(VALU_DEP_1)
	v_add_co_ci_u32_e32 v1, vcc_lo, s7, v1, vcc_lo
	global_load_u8 v0, v[0:1], off
	s_waitcnt vmcnt(0)
	v_and_b32_e32 v0, 1, v0
	v_cmp_eq_u32_e32 vcc_lo, 1, v0
	s_xor_b32 s2, vcc_lo, -1
	s_delay_alu instid0(SALU_CYCLE_1)
	s_or_not1_b32 s18, s2, exec_lo
	s_branch .LBB134_4
.LBB134_3:
	s_mov_b32 s18, -1
.LBB134_4:
	s_clause 0x1
	s_load_b64 s[16:17], s[0:1], 0x40
	s_load_b128 s[12:15], s[0:1], 0x30
	s_mov_b32 s2, 0x3fb8aa3b
	s_mov_b32 s3, 0x32a5705f
	s_waitcnt lgkmcnt(0)
	v_mul_lo_u32 v0, v9, s17
	s_cmp_gt_i32 s12, 0
	s_delay_alu instid0(VALU_DEP_1) | instskip(NEXT) | instid1(VALU_DEP_1)
	v_ashrrev_i32_e32 v1, 31, v0
	v_lshlrev_b64 v[0:1], 1, v[0:1]
	s_delay_alu instid0(VALU_DEP_1) | instskip(NEXT) | instid1(VALU_DEP_2)
	v_add_co_u32 v4, vcc_lo, s4, v0
	v_add_co_ci_u32_e32 v5, vcc_lo, s5, v1, vcc_lo
	s_clause 0x1
	global_load_b128 v[0:3], v[4:5], off
	global_load_b64 v[5:6], v[4:5], off offset:16
	v_mul_lo_u32 v4, v9, s15
	s_waitcnt vmcnt(1)
	v_cvt_f32_f16_e64 v13, -v3
	s_delay_alu instid0(VALU_DEP_2)
	v_add_nc_u32_e32 v10, s12, v4
	v_cvt_f32_f16_e64 v12, -v2
	s_waitcnt vmcnt(0)
	v_cvt_f32_f16_e64 v17, -v6
	v_lshrrev_b32_e32 v14, 16, v5
	v_mul_f32_e32 v19, 0x3fb8aa3b, v13
	v_ashrrev_i32_e32 v11, 31, v10
	s_delay_alu instid0(VALU_DEP_4) | instskip(SKIP_2) | instid1(VALU_DEP_4)
	v_dual_mul_f32 v18, 0x3fb8aa3b, v12 :: v_dual_mul_f32 v23, 0x3fb8aa3b, v17
	v_cvt_f32_f16_e64 v16, -v5
	v_lshrrev_b32_e32 v15, 16, v6
	v_lshlrev_b64 v[10:11], 2, v[10:11]
	s_delay_alu instid0(VALU_DEP_4)
	v_fma_mix_f32 v24, -v2, s2, -v18 op_sel_hi:[1,0,0]
	v_rndne_f32_e32 v25, v18
	v_cvt_f32_f16_e64 v14, -v14
	v_fma_mix_f32 v27, -v3, s2, -v19 op_sel_hi:[1,0,0]
	v_rndne_f32_e32 v28, v19
	v_add_co_u32 v20, vcc_lo, s10, v10
	v_add_co_ci_u32_e32 v21, vcc_lo, s11, v11, vcc_lo
	v_lshrrev_b32_e32 v10, 16, v2
	v_lshrrev_b32_e32 v11, 16, v3
	v_fma_mix_f32 v33, -v6, s2, -v23 op_sel_hi:[1,0,0]
	v_rndne_f32_e32 v34, v23
	v_fma_mix_f32 v24, -v2, s3, v24 op_sel_hi:[1,0,0]
	v_cvt_f32_f16_e64 v10, -v10
	v_cvt_f32_f16_e64 v11, -v11
	v_mul_f32_e32 v22, 0x3fb8aa3b, v16
	v_dual_sub_f32 v18, v18, v25 :: v_dual_sub_f32 v23, v23, v34
	v_cvt_f32_f16_e64 v15, -v15
	s_delay_alu instid0(VALU_DEP_4) | instskip(NEXT) | instid1(VALU_DEP_4)
	v_dual_mul_f32 v26, 0x3fb8aa3b, v10 :: v_dual_mul_f32 v29, 0x3fb8aa3b, v11
	v_fma_mix_f32 v30, -v5, s2, -v22 op_sel_hi:[1,0,0]
	v_rndne_f32_e32 v31, v22
	s_delay_alu instid0(VALU_DEP_4)
	v_dual_mul_f32 v35, 0x3fb8aa3b, v15 :: v_dual_mul_f32 v32, 0x3fb8aa3b, v14
	v_sub_f32_e32 v19, v19, v28
	v_fma_mix_f32 v27, -v3, s3, v27 op_sel_hi:[1,0,0]
	v_fma_mix_f32 v33, -v6, s3, v33 op_sel_hi:[1,0,0]
	v_add_f32_e32 v18, v18, v24
	v_rndne_f32_e32 v37, v26
	v_fma_mix_f32 v38, -v3, s2, -v29 op_sel:[1,0,0] op_sel_hi:[1,0,0]
	v_add_f32_e32 v19, v19, v27
	v_rndne_f32_e32 v39, v29
	v_fma_mix_f32 v30, -v5, s3, v30 op_sel_hi:[1,0,0]
	v_dual_sub_f32 v22, v22, v31 :: v_dual_add_f32 v23, v23, v33
	v_exp_f32_e32 v18, v18
	v_cvt_i32_f32_e32 v25, v25
	v_rndne_f32_e32 v41, v32
	v_rndne_f32_e32 v43, v35
	v_dual_sub_f32 v24, v26, v37 :: v_dual_sub_f32 v27, v29, v39
	v_fma_mix_f32 v3, -v3, s3, v38 op_sel:[1,0,0] op_sel_hi:[1,0,0]
	s_delay_alu instid0(VALU_DEP_3)
	v_dual_add_f32 v22, v22, v30 :: v_dual_sub_f32 v33, v35, v43
	v_exp_f32_e32 v19, v19
	v_exp_f32_e32 v23, v23
	v_fma_mix_f32 v36, -v2, s2, -v26 op_sel:[1,0,0] op_sel_hi:[1,0,0]
	v_cvt_i32_f32_e32 v28, v28
	v_cvt_i32_f32_e32 v34, v34
	v_fma_mix_f32 v42, -v6, s2, -v35 op_sel:[1,0,0] op_sel_hi:[1,0,0]
	v_dual_sub_f32 v30, v32, v41 :: v_dual_add_f32 v3, v27, v3
	v_exp_f32_e32 v22, v22
	v_ldexp_f32 v18, v18, v25
	v_cmp_ngt_f32_e32 vcc_lo, 0xc2ce8ed0, v12
	v_cvt_i32_f32_e32 v31, v31
	v_fma_mix_f32 v40, -v5, s2, -v32 op_sel:[1,0,0] op_sel_hi:[1,0,0]
	v_fma_mix_f32 v2, -v2, s3, v36 op_sel:[1,0,0] op_sel_hi:[1,0,0]
	v_fma_mix_f32 v6, -v6, s3, v42 op_sel:[1,0,0] op_sel_hi:[1,0,0]
	v_exp_f32_e32 v3, v3
	v_ldexp_f32 v19, v19, v28
	v_ldexp_f32 v23, v23, v34
	v_cndmask_b32_e32 v18, 0, v18, vcc_lo
	v_cmp_ngt_f32_e32 vcc_lo, 0xc2ce8ed0, v13
	v_cvt_i32_f32_e32 v29, v39
	v_fma_mix_f32 v5, -v5, s3, v40 op_sel:[1,0,0] op_sel_hi:[1,0,0]
	v_add_f32_e32 v2, v24, v2
	v_dual_add_f32 v6, v33, v6 :: v_dual_cndmask_b32 v19, 0, v19
	v_ldexp_f32 v22, v22, v31
	v_cmp_ngt_f32_e32 vcc_lo, 0xc2ce8ed0, v16
	v_add_f32_e32 v5, v30, v5
	v_exp_f32_e32 v2, v2
	v_ldexp_f32 v3, v3, v29
	v_cvt_i32_f32_e32 v26, v37
	v_cndmask_b32_e32 v22, 0, v22, vcc_lo
	v_cmp_ngt_f32_e32 vcc_lo, 0xc2ce8ed0, v17
	v_exp_f32_e32 v5, v5
	v_cvt_i32_f32_e32 v32, v41
	v_exp_f32_e32 v6, v6
	v_cvt_i32_f32_e32 v24, v43
	v_cndmask_b32_e32 v23, 0, v23, vcc_lo
	v_cmp_nlt_f32_e32 vcc_lo, 0x42b17218, v12
	v_ldexp_f32 v2, v2, v26
	v_cndmask_b32_e32 v12, 0x7f800000, v18, vcc_lo
	v_cmp_ngt_f32_e32 vcc_lo, 0xc2ce8ed0, v10
	s_delay_alu instid0(TRANS32_DEP_2) | instskip(NEXT) | instid1(TRANS32_DEP_1)
	v_ldexp_f32 v5, v5, v32
	v_ldexp_f32 v6, v6, v24
	v_cndmask_b32_e32 v2, 0, v2, vcc_lo
	v_cmp_nlt_f32_e32 vcc_lo, 0x42b17218, v13
	v_cndmask_b32_e32 v13, 0x7f800000, v19, vcc_lo
	v_cmp_ngt_f32_e32 vcc_lo, 0xc2ce8ed0, v11
	v_cndmask_b32_e32 v3, 0, v3, vcc_lo
	v_cmp_nlt_f32_e32 vcc_lo, 0x42b17218, v16
	v_cndmask_b32_e32 v16, 0x7f800000, v22, vcc_lo
	v_cmp_ngt_f32_e32 vcc_lo, 0xc2ce8ed0, v14
	;; [unrolled: 4-line block ×3, first 2 shown]
	v_cndmask_b32_e32 v6, 0, v6, vcc_lo
	v_cmp_nlt_f32_e32 vcc_lo, 0x42b17218, v10
	v_cndmask_b32_e32 v2, 0x7f800000, v2, vcc_lo
	v_cmp_nlt_f32_e32 vcc_lo, 0x42b17218, v11
	;; [unrolled: 2-line block ×3, first 2 shown]
	s_delay_alu instid0(VALU_DEP_2)
	v_add_f32_e32 v3, 1.0, v3
	v_add_f32_e32 v11, 1.0, v16
	;; [unrolled: 1-line block ×5, first 2 shown]
	v_cndmask_b32_e32 v5, 0x7f800000, v5, vcc_lo
	v_cmp_nlt_f32_e32 vcc_lo, 0x42b17218, v15
	v_div_scale_f32 v13, null, v12, v12, 1.0
	v_div_scale_f32 v15, null, v10, v10, 1.0
	;; [unrolled: 1-line block ×3, first 2 shown]
	s_delay_alu instid0(VALU_DEP_3) | instskip(NEXT) | instid1(VALU_DEP_2)
	v_rcp_f32_e32 v24, v13
	v_rcp_f32_e32 v27, v15
	v_div_scale_f32 v16, s2, 1.0, v10, 1.0
	s_delay_alu instid0(VALU_DEP_2)
	v_rcp_f32_e32 v33, v22
	v_div_scale_f32 v17, null, v11, v11, 1.0
	v_div_scale_f32 v28, null, v3, v3, 1.0
	v_div_scale_f32 v19, s3, 1.0, v11, 1.0
	s_waitcnt_depctr 0xfff
	v_fma_f32 v41, -v15, v27, 1.0
	v_fma_f32 v39, -v13, v24, 1.0
	v_rcp_f32_e32 v30, v17
	v_fma_f32 v43, -v22, v33, 1.0
	v_rcp_f32_e32 v37, v28
	v_dual_fmac_f32 v27, v41, v27 :: v_dual_add_f32 v2, 1.0, v2
	v_dual_add_f32 v5, 1.0, v5 :: v_dual_cndmask_b32 v6, 0x7f800000, v6
	s_delay_alu instid0(VALU_DEP_3) | instskip(SKIP_1) | instid1(VALU_DEP_4)
	v_fmac_f32_e32 v33, v43, v33
	v_fmac_f32_e32 v24, v39, v24
	v_div_scale_f32 v25, null, v2, v2, 1.0
	s_delay_alu instid0(VALU_DEP_4) | instskip(SKIP_1) | instid1(VALU_DEP_3)
	v_div_scale_f32 v31, null, v5, v5, 1.0
	v_div_scale_f32 v14, vcc_lo, 1.0, v12, 1.0
	v_rcp_f32_e32 v35, v25
	s_delay_alu instid0(VALU_DEP_2)
	v_rcp_f32_e32 v38, v31
	v_fma_f32 v42, -v17, v30, 1.0
	v_fma_f32 v41, -v28, v37, 1.0
	v_div_scale_f32 v23, s4, 1.0, v18, 1.0
	v_div_scale_f32 v26, s5, 1.0, v2, 1.0
	;; [unrolled: 1-line block ×3, first 2 shown]
	s_delay_alu instid0(TRANS32_DEP_2) | instskip(SKIP_2) | instid1(TRANS32_DEP_1)
	v_fma_f32 v39, -v25, v35, 1.0
	v_add_f32_e32 v6, 1.0, v6
	v_dual_fmac_f32 v30, v42, v30 :: v_dual_fmac_f32 v37, v41, v37
	v_fma_f32 v42, -v31, v38, 1.0
	s_delay_alu instid0(VALU_DEP_4) | instskip(NEXT) | instid1(VALU_DEP_4)
	v_fmac_f32_e32 v35, v39, v35
	v_div_scale_f32 v34, null, v6, v6, 1.0
	v_dual_mul_f32 v39, v16, v27 :: v_dual_mul_f32 v44, v14, v24
	v_mul_f32_e32 v41, v19, v30
	s_delay_alu instid0(VALU_DEP_3)
	v_rcp_f32_e32 v40, v34
	v_div_scale_f32 v32, s7, 1.0, v5, 1.0
	v_dual_fmac_f32 v38, v42, v38 :: v_dual_mul_f32 v47, v29, v37
	v_dual_mul_f32 v42, v23, v33 :: v_dual_mul_f32 v45, v26, v35
	v_fma_f32 v46, -v15, v39, v16
	v_fma_f32 v48, -v17, v41, v19
	v_div_scale_f32 v36, s8, 1.0, v6, 1.0
	s_delay_alu instid0(TRANS32_DEP_1) | instskip(SKIP_3) | instid1(VALU_DEP_4)
	v_fma_f32 v43, -v34, v40, 1.0
	v_mul_f32_e32 v49, v32, v38
	v_fmac_f32_e32 v39, v46, v27
	v_fma_f32 v46, -v28, v47, v29
	v_dual_fmac_f32 v41, v48, v30 :: v_dual_fmac_f32 v40, v43, v40
	v_fma_f32 v43, -v13, v44, v14
	v_fma_f32 v50, -v22, v42, v23
	;; [unrolled: 1-line block ×3, first 2 shown]
	v_fmac_f32_e32 v47, v46, v37
	v_mul_f32_e32 v51, v36, v40
	v_fmac_f32_e32 v44, v43, v24
	v_fma_f32 v43, -v25, v45, v26
	v_dual_fmac_f32 v42, v50, v33 :: v_dual_fmac_f32 v49, v48, v38
	s_delay_alu instid0(VALU_DEP_4) | instskip(NEXT) | instid1(VALU_DEP_4)
	v_fma_f32 v50, -v34, v51, v36
	v_fma_f32 v13, -v13, v44, v14
	s_delay_alu instid0(VALU_DEP_4)
	v_fmac_f32_e32 v45, v43, v35
	v_fma_f32 v14, -v15, v39, v16
	v_fma_f32 v15, -v17, v41, v19
	;; [unrolled: 1-line block ×3, first 2 shown]
	v_div_fmas_f32 v13, v13, v24, v44
	v_fma_f32 v17, -v25, v45, v26
	s_mov_b32 vcc_lo, s5
	v_fmac_f32_e32 v51, v50, v40
	v_fma_f32 v16, -v22, v42, v23
	v_div_fixup_f32 v12, v13, v12, 1.0
	v_div_fmas_f32 v13, v17, v35, v45
	s_mov_b32 vcc_lo, s2
	v_fma_f32 v22, -v31, v49, v32
	v_div_fmas_f32 v14, v14, v27, v39
	s_mov_b32 vcc_lo, s6
	v_div_fixup_f32 v13, v13, v2, 1.0
	v_div_fmas_f32 v17, v19, v37, v47
	s_mov_b32 vcc_lo, s3
	v_fma_f32 v23, -v34, v51, v36
	v_div_fmas_f32 v2, v15, v30, v41
	s_mov_b32 vcc_lo, s7
	v_div_fixup_f32 v14, v14, v10, 1.0
	v_div_fmas_f32 v10, v22, v38, v49
	s_mov_b32 vcc_lo, s4
	v_div_fixup_f32 v15, v17, v3, 1.0
	;; [unrolled: 3-line block ×3, first 2 shown]
	v_div_fmas_f32 v22, v23, v40, v51
	v_mov_b32_e32 v11, 0
	v_div_fixup_f32 v17, v10, v5, 1.0
	v_div_fixup_f32 v18, v19, v18, 1.0
	s_cselect_b32 s2, -1, 0
	v_div_fixup_f32 v19, v22, v6, 1.0
	s_cmp_lt_i32 s12, 1
	s_clause 0x1
	global_store_b128 v[20:21], v[12:15], off
	global_store_b128 v[20:21], v[16:19], off offset:16
	s_cbranch_scc1 .LBB134_8
; %bb.5:
	v_lshrrev_b32_e32 v2, 16, v0
	v_cvt_f32_f16_e32 v14, v0
	v_cvt_f32_f16_e32 v12, v1
	v_lshrrev_b32_e32 v1, 16, v1
	v_ashrrev_i32_e32 v5, 31, v4
	v_cvt_f32_f16_e32 v13, v2
	v_cmp_lt_f16_e32 vcc_lo, v0, v2
	s_load_b128 s[4:7], s[0:1], 0x20
	v_cvt_f32_f16_e32 v16, v1
	v_lshlrev_b64 v[5:6], 2, v[4:5]
	v_cndmask_b32_e32 v2, v14, v13, vcc_lo
	v_cndmask_b32_e64 v0, 0, 1, vcc_lo
	s_delay_alu instid0(VALU_DEP_2) | instskip(SKIP_1) | instid1(VALU_DEP_3)
	v_cmp_lt_f32_e32 vcc_lo, v2, v12
	v_cndmask_b32_e32 v1, v2, v12, vcc_lo
	v_cndmask_b32_e64 v0, v0, 2, vcc_lo
	v_mul_lo_u32 v2, v9, s12
	s_delay_alu instid0(VALU_DEP_3) | instskip(SKIP_1) | instid1(VALU_DEP_4)
	v_cmp_lt_f32_e32 vcc_lo, v1, v16
	v_cndmask_b32_e32 v10, v1, v16, vcc_lo
	v_cndmask_b32_e64 v15, v0, 3, vcc_lo
	v_add_co_u32 v5, vcc_lo, s10, v5
	v_add_co_ci_u32_e32 v6, vcc_lo, s11, v6, vcc_lo
	s_delay_alu instid0(VALU_DEP_4) | instskip(NEXT) | instid1(VALU_DEP_4)
	v_sub_f32_e32 v11, v10, v10
	v_cmp_le_i32_e32 vcc_lo, s13, v15
	v_cmp_gt_i32_e64 s0, s14, v15
	v_subrev_nc_u32_e32 v19, s13, v15
	s_delay_alu instid0(VALU_DEP_4) | instskip(NEXT) | instid1(VALU_DEP_3)
	v_mul_f32_e32 v0, 0x3fb8aa3b, v11
	s_and_b32 s0, vcc_lo, s0
	v_cmp_ngt_f32_e32 vcc_lo, 0xc2ce8ed0, v11
	s_delay_alu instid0(VALU_DEP_2) | instskip(SKIP_1) | instid1(VALU_DEP_2)
	v_fma_f32 v1, 0x3fb8aa3b, v11, -v0
	v_rndne_f32_e32 v17, v0
	v_fmac_f32_e32 v1, 0x32a5705f, v11
	s_delay_alu instid0(VALU_DEP_2) | instskip(SKIP_2) | instid1(VALU_DEP_3)
	v_sub_f32_e32 v3, v0, v17
	v_mul_lo_u32 v0, v9, s16
	v_cvt_i32_f32_e32 v17, v17
	v_add_f32_e32 v3, v3, v1
	s_delay_alu instid0(VALU_DEP_3) | instskip(NEXT) | instid1(VALU_DEP_2)
	v_ashrrev_i32_e32 v1, 31, v0
	v_exp_f32_e32 v18, v3
	v_ashrrev_i32_e32 v3, 31, v2
	s_delay_alu instid0(VALU_DEP_2) | instskip(NEXT) | instid1(VALU_DEP_2)
	v_lshlrev_b64 v[0:1], 2, v[0:1]
	v_lshlrev_b64 v[2:3], 2, v[2:3]
	s_waitcnt_depctr 0xfff
	v_ldexp_f32 v17, v18, v17
	s_delay_alu instid0(VALU_DEP_1)
	v_cndmask_b32_e32 v20, 0, v17, vcc_lo
	s_waitcnt lgkmcnt(0)
	v_add_co_u32 v17, vcc_lo, s4, v0
	v_add_co_ci_u32_e32 v18, vcc_lo, s5, v1, vcc_lo
	s_and_b32 vcc_lo, s18, s0
	s_cmp_eq_u32 s12, 1
	v_cndmask_b32_e32 v21, 4, v19, vcc_lo
	v_cmp_nlt_f32_e32 vcc_lo, 0x42b17218, v11
	v_cndmask_b32_e32 v11, 0x7f800000, v20, vcc_lo
	v_add_co_u32 v19, vcc_lo, s6, v2
	v_add_co_ci_u32_e32 v20, vcc_lo, s7, v3, vcc_lo
	global_store_b32 v[17:18], v21, off
	global_store_b32 v[5:6], v11, off
	;; [unrolled: 1-line block ×3, first 2 shown]
	s_cbranch_scc1 .LBB134_8
; %bb.6:
	v_cmp_ne_u32_e32 vcc_lo, 3, v15
	s_add_i32 s19, s19, s9
	s_add_i32 s3, s12, -1
	v_add3_u32 v7, s19, v8, v7
	v_cndmask_b32_e32 v9, 0xff800000, v16, vcc_lo
	v_cmp_ne_u32_e32 vcc_lo, 2, v15
	v_cndmask_b32_e32 v12, 0xff800000, v12, vcc_lo
	v_cmp_ne_u32_e32 vcc_lo, 1, v15
	;; [unrolled: 2-line block ×3, first 2 shown]
	v_cndmask_b32_e32 v14, 0xff800000, v14, vcc_lo
	v_add_co_u32 v2, vcc_lo, v2, s6
	v_add_co_ci_u32_e32 v3, vcc_lo, s7, v3, vcc_lo
	v_add_co_u32 v15, vcc_lo, v0, s4
	v_add_co_ci_u32_e32 v16, vcc_lo, s5, v1, vcc_lo
	s_delay_alu instid0(VALU_DEP_4) | instskip(NEXT) | instid1(VALU_DEP_4)
	v_add_co_u32 v0, vcc_lo, v2, 4
	v_add_co_ci_u32_e32 v1, vcc_lo, 0, v3, vcc_lo
	s_delay_alu instid0(VALU_DEP_4) | instskip(NEXT) | instid1(VALU_DEP_4)
	v_add_co_u32 v2, vcc_lo, v15, 4
	v_add_co_ci_u32_e32 v3, vcc_lo, 0, v16, vcc_lo
	v_add_co_u32 v5, vcc_lo, v5, 4
	v_add_co_ci_u32_e32 v6, vcc_lo, 0, v6, vcc_lo
.LBB134_7:                              ; =>This Inner Loop Header: Depth=1
	v_cmp_gt_f32_e32 vcc_lo, v13, v14
	s_add_i32 s3, s3, -1
	v_cndmask_b32_e32 v8, v14, v13, vcc_lo
	v_cndmask_b32_e64 v15, 0, 1, vcc_lo
	s_delay_alu instid0(VALU_DEP_2) | instskip(SKIP_1) | instid1(VALU_DEP_3)
	v_cmp_gt_f32_e32 vcc_lo, v12, v8
	v_cndmask_b32_e32 v8, v8, v12, vcc_lo
	v_cndmask_b32_e64 v15, v15, 2, vcc_lo
	s_delay_alu instid0(VALU_DEP_2) | instskip(NEXT) | instid1(VALU_DEP_2)
	v_cmp_gt_f32_e32 vcc_lo, v9, v8
	v_cndmask_b32_e64 v15, v15, 3, vcc_lo
	v_cndmask_b32_e32 v8, v8, v9, vcc_lo
	s_delay_alu instid0(VALU_DEP_2) | instskip(SKIP_3) | instid1(VALU_DEP_3)
	v_cmp_le_i32_e32 vcc_lo, s13, v15
	v_cmp_gt_i32_e64 s0, s14, v15
	v_subrev_nc_u32_e32 v17, s13, v15
	v_cmp_ne_u32_e64 s1, 3, v15
	s_and_b32 s0, vcc_lo, s0
	s_delay_alu instid0(SALU_CYCLE_1) | instskip(NEXT) | instid1(VALU_DEP_1)
	s_and_b32 vcc_lo, s18, s0
	v_cndmask_b32_e64 v9, 0xff800000, v9, s1
	v_cndmask_b32_e32 v17, 4, v17, vcc_lo
	v_cmp_ne_u32_e64 s1, 2, v15
	s_cmp_eq_u32 s3, 0
	global_store_b32 v[2:3], v17, off
	global_store_b32 v[0:1], v7, off
	v_dual_sub_f32 v8, v8, v10 :: v_dual_add_nc_u32 v7, s9, v7
	v_cndmask_b32_e64 v12, 0xff800000, v12, s1
	v_cmp_ne_u32_e64 s1, 1, v15
	v_add_co_u32 v0, vcc_lo, v0, 4
	s_delay_alu instid0(VALU_DEP_4) | instskip(SKIP_1) | instid1(VALU_DEP_4)
	v_mul_f32_e32 v16, 0x3fb8aa3b, v8
	v_add_co_ci_u32_e32 v1, vcc_lo, 0, v1, vcc_lo
	v_cndmask_b32_e64 v13, 0xff800000, v13, s1
	v_cmp_ne_u32_e64 s1, 0, v15
	s_delay_alu instid0(VALU_DEP_4) | instskip(SKIP_3) | instid1(VALU_DEP_3)
	v_fma_f32 v15, 0x3fb8aa3b, v8, -v16
	v_rndne_f32_e32 v18, v16
	v_add_co_u32 v2, vcc_lo, v2, 4
	v_add_co_ci_u32_e32 v3, vcc_lo, 0, v3, vcc_lo
	v_dual_fmac_f32 v15, 0x32a5705f, v8 :: v_dual_sub_f32 v16, v16, v18
	v_cvt_i32_f32_e32 v18, v18
	v_cmp_ngt_f32_e32 vcc_lo, 0xc2ce8ed0, v8
	v_cndmask_b32_e64 v14, 0xff800000, v14, s1
	s_delay_alu instid0(VALU_DEP_4) | instskip(NEXT) | instid1(VALU_DEP_1)
	v_add_f32_e32 v15, v16, v15
	v_exp_f32_e32 v15, v15
	s_waitcnt_depctr 0xfff
	v_ldexp_f32 v15, v15, v18
	s_delay_alu instid0(VALU_DEP_1) | instskip(SKIP_1) | instid1(VALU_DEP_2)
	v_cndmask_b32_e32 v15, 0, v15, vcc_lo
	v_cmp_nlt_f32_e32 vcc_lo, 0x42b17218, v8
	v_cndmask_b32_e32 v8, 0x7f800000, v15, vcc_lo
	global_store_b32 v[5:6], v8, off
	v_add_co_u32 v5, vcc_lo, v5, 4
	v_add_f32_e32 v11, v11, v8
	v_add_co_ci_u32_e32 v6, vcc_lo, 0, v6, vcc_lo
	s_cbranch_scc0 .LBB134_7
.LBB134_8:
	s_delay_alu instid0(VALU_DEP_2)
	v_cmp_neq_f32_e32 vcc_lo, 0, v11
	s_and_b32 exec_lo, exec_lo, vcc_lo
	s_cbranch_execz .LBB134_12
; %bb.9:
	s_and_not1_b32 vcc_lo, exec_lo, s2
	s_cbranch_vccnz .LBB134_12
; %bb.10:
	v_div_scale_f32 v0, null, v11, v11, 1.0
	v_div_scale_f32 v3, vcc_lo, 1.0, v11, 1.0
	s_delay_alu instid0(VALU_DEP_2) | instskip(SKIP_2) | instid1(VALU_DEP_1)
	v_rcp_f32_e32 v1, v0
	s_waitcnt_depctr 0xfff
	v_fma_f32 v2, -v0, v1, 1.0
	v_fmac_f32_e32 v1, v2, v1
	s_delay_alu instid0(VALU_DEP_1) | instskip(NEXT) | instid1(VALU_DEP_1)
	v_mul_f32_e32 v2, v3, v1
	v_fma_f32 v5, -v0, v2, v3
	s_delay_alu instid0(VALU_DEP_1) | instskip(SKIP_1) | instid1(VALU_DEP_2)
	v_fmac_f32_e32 v2, v5, v1
	v_ashrrev_i32_e32 v5, 31, v4
	v_fma_f32 v0, -v0, v2, v3
	s_delay_alu instid0(VALU_DEP_1) | instskip(NEXT) | instid1(VALU_DEP_3)
	v_div_fmas_f32 v2, v0, v1, v2
	v_lshlrev_b64 v[0:1], 2, v[4:5]
	s_delay_alu instid0(VALU_DEP_2) | instskip(NEXT) | instid1(VALU_DEP_2)
	v_div_fixup_f32 v2, v2, v11, 1.0
	v_add_co_u32 v0, vcc_lo, s10, v0
	s_delay_alu instid0(VALU_DEP_3)
	v_add_co_ci_u32_e32 v1, vcc_lo, s11, v1, vcc_lo
.LBB134_11:                             ; =>This Inner Loop Header: Depth=1
	global_load_b32 v3, v[0:1], off
	s_add_i32 s12, s12, -1
	s_delay_alu instid0(SALU_CYCLE_1)
	s_cmp_lg_u32 s12, 0
	s_waitcnt vmcnt(0)
	v_mul_f32_e32 v3, v2, v3
	global_store_b32 v[0:1], v3, off
	v_add_co_u32 v0, vcc_lo, v0, 4
	v_add_co_ci_u32_e32 v1, vcc_lo, 0, v1, vcc_lo
	s_cbranch_scc1 .LBB134_11
.LBB134_12:
	s_nop 0
	s_sendmsg sendmsg(MSG_DEALLOC_VGPRS)
	s_endpgm
	.section	.rodata,"a",@progbits
	.p2align	6, 0x0
	.amdhsa_kernel _ZN4vllm3moe17topkGatingSoftmaxIDF16_Li4ELi4ELi8ELi8ELb1ELi8ELNS0_23SharedExpertScoringFuncE1EEEvPKT_PKbPfiPiS9_iiiiii
		.amdhsa_group_segment_fixed_size 0
		.amdhsa_private_segment_fixed_size 0
		.amdhsa_kernarg_size 72
		.amdhsa_user_sgpr_count 15
		.amdhsa_user_sgpr_dispatch_ptr 0
		.amdhsa_user_sgpr_queue_ptr 0
		.amdhsa_user_sgpr_kernarg_segment_ptr 1
		.amdhsa_user_sgpr_dispatch_id 0
		.amdhsa_user_sgpr_private_segment_size 0
		.amdhsa_wavefront_size32 1
		.amdhsa_uses_dynamic_stack 0
		.amdhsa_enable_private_segment 0
		.amdhsa_system_sgpr_workgroup_id_x 1
		.amdhsa_system_sgpr_workgroup_id_y 0
		.amdhsa_system_sgpr_workgroup_id_z 0
		.amdhsa_system_sgpr_workgroup_info 0
		.amdhsa_system_vgpr_workitem_id 1
		.amdhsa_next_free_vgpr 52
		.amdhsa_next_free_sgpr 20
		.amdhsa_reserve_vcc 1
		.amdhsa_float_round_mode_32 0
		.amdhsa_float_round_mode_16_64 0
		.amdhsa_float_denorm_mode_32 3
		.amdhsa_float_denorm_mode_16_64 3
		.amdhsa_dx10_clamp 1
		.amdhsa_ieee_mode 1
		.amdhsa_fp16_overflow 0
		.amdhsa_workgroup_processor_mode 1
		.amdhsa_memory_ordered 1
		.amdhsa_forward_progress 0
		.amdhsa_shared_vgpr_count 0
		.amdhsa_exception_fp_ieee_invalid_op 0
		.amdhsa_exception_fp_denorm_src 0
		.amdhsa_exception_fp_ieee_div_zero 0
		.amdhsa_exception_fp_ieee_overflow 0
		.amdhsa_exception_fp_ieee_underflow 0
		.amdhsa_exception_fp_ieee_inexact 0
		.amdhsa_exception_int_div_zero 0
	.end_amdhsa_kernel
	.section	.text._ZN4vllm3moe17topkGatingSoftmaxIDF16_Li4ELi4ELi8ELi8ELb1ELi8ELNS0_23SharedExpertScoringFuncE1EEEvPKT_PKbPfiPiS9_iiiiii,"axG",@progbits,_ZN4vllm3moe17topkGatingSoftmaxIDF16_Li4ELi4ELi8ELi8ELb1ELi8ELNS0_23SharedExpertScoringFuncE1EEEvPKT_PKbPfiPiS9_iiiiii,comdat
.Lfunc_end134:
	.size	_ZN4vllm3moe17topkGatingSoftmaxIDF16_Li4ELi4ELi8ELi8ELb1ELi8ELNS0_23SharedExpertScoringFuncE1EEEvPKT_PKbPfiPiS9_iiiiii, .Lfunc_end134-_ZN4vllm3moe17topkGatingSoftmaxIDF16_Li4ELi4ELi8ELi8ELb1ELi8ELNS0_23SharedExpertScoringFuncE1EEEvPKT_PKbPfiPiS9_iiiiii
                                        ; -- End function
	.section	.AMDGPU.csdata,"",@progbits
; Kernel info:
; codeLenInByte = 2832
; NumSgprs: 22
; NumVgprs: 52
; ScratchSize: 0
; MemoryBound: 0
; FloatMode: 240
; IeeeMode: 1
; LDSByteSize: 0 bytes/workgroup (compile time only)
; SGPRBlocks: 2
; VGPRBlocks: 6
; NumSGPRsForWavesPerEU: 22
; NumVGPRsForWavesPerEU: 52
; Occupancy: 16
; WaveLimiterHint : 0
; COMPUTE_PGM_RSRC2:SCRATCH_EN: 0
; COMPUTE_PGM_RSRC2:USER_SGPR: 15
; COMPUTE_PGM_RSRC2:TRAP_HANDLER: 0
; COMPUTE_PGM_RSRC2:TGID_X_EN: 1
; COMPUTE_PGM_RSRC2:TGID_Y_EN: 0
; COMPUTE_PGM_RSRC2:TGID_Z_EN: 0
; COMPUTE_PGM_RSRC2:TIDIG_COMP_CNT: 1
	.section	.text._ZN4vllm3moe17topkGatingSoftmaxIDF16_Li4ELi4ELi8ELi8ELb0ELi8ELNS0_23SharedExpertScoringFuncE1EEEvPKT_PKbPfiPiS9_iiiiii,"axG",@progbits,_ZN4vllm3moe17topkGatingSoftmaxIDF16_Li4ELi4ELi8ELi8ELb0ELi8ELNS0_23SharedExpertScoringFuncE1EEEvPKT_PKbPfiPiS9_iiiiii,comdat
	.protected	_ZN4vllm3moe17topkGatingSoftmaxIDF16_Li4ELi4ELi8ELi8ELb0ELi8ELNS0_23SharedExpertScoringFuncE1EEEvPKT_PKbPfiPiS9_iiiiii ; -- Begin function _ZN4vllm3moe17topkGatingSoftmaxIDF16_Li4ELi4ELi8ELi8ELb0ELi8ELNS0_23SharedExpertScoringFuncE1EEEvPKT_PKbPfiPiS9_iiiiii
	.globl	_ZN4vllm3moe17topkGatingSoftmaxIDF16_Li4ELi4ELi8ELi8ELb0ELi8ELNS0_23SharedExpertScoringFuncE1EEEvPKT_PKbPfiPiS9_iiiiii
	.p2align	8
	.type	_ZN4vllm3moe17topkGatingSoftmaxIDF16_Li4ELi4ELi8ELi8ELb0ELi8ELNS0_23SharedExpertScoringFuncE1EEEvPKT_PKbPfiPiS9_iiiiii,@function
_ZN4vllm3moe17topkGatingSoftmaxIDF16_Li4ELi4ELi8ELi8ELb0ELi8ELNS0_23SharedExpertScoringFuncE1EEEvPKT_PKbPfiPiS9_iiiiii: ; @_ZN4vllm3moe17topkGatingSoftmaxIDF16_Li4ELi4ELi8ELi8ELb0ELi8ELNS0_23SharedExpertScoringFuncE1EEEvPKT_PKbPfiPiS9_iiiiii
; %bb.0:
	s_load_b32 s20, s[0:1], 0x18
	v_bfe_u32 v1, v0, 10, 10
	v_and_b32_e32 v8, 0x3ff, v0
	s_lshl_b32 s22, s15, 8
	s_mov_b32 s2, exec_lo
	s_delay_alu instid0(VALU_DEP_2) | instskip(NEXT) | instid1(VALU_DEP_1)
	v_lshlrev_b32_e32 v7, 5, v1
	v_add3_u32 v11, v7, v8, s22
	s_waitcnt lgkmcnt(0)
	s_delay_alu instid0(VALU_DEP_1)
	v_cmpx_gt_i32_e64 s20, v11
	s_cbranch_execz .LBB135_12
; %bb.1:
	s_clause 0x1
	s_load_b128 s[4:7], s[0:1], 0x0
	s_load_b64 s[16:17], s[0:1], 0x10
	s_waitcnt lgkmcnt(0)
	s_cmp_eq_u64 s[6:7], 0
	s_cbranch_scc1 .LBB135_3
; %bb.2:
	v_ashrrev_i32_e32 v1, 31, v11
	v_add_co_u32 v0, vcc_lo, s6, v11
	s_delay_alu instid0(VALU_DEP_2) | instskip(SKIP_3) | instid1(VALU_DEP_1)
	v_add_co_ci_u32_e32 v1, vcc_lo, s7, v1, vcc_lo
	global_load_u8 v0, v[0:1], off
	s_waitcnt vmcnt(0)
	v_and_b32_e32 v0, 1, v0
	v_cmp_eq_u32_e32 vcc_lo, 1, v0
	s_xor_b32 s2, vcc_lo, -1
	s_delay_alu instid0(SALU_CYCLE_1)
	s_or_not1_b32 s21, s2, exec_lo
	s_branch .LBB135_4
.LBB135_3:
	s_mov_b32 s21, -1
.LBB135_4:
	s_clause 0x1
	s_load_b64 s[18:19], s[0:1], 0x40
	s_load_b128 s[12:15], s[0:1], 0x30
	s_mov_b32 s3, 0x3fb8aa3b
	s_waitcnt lgkmcnt(0)
	v_mul_lo_u32 v0, v11, s19
	s_cmp_gt_i32 s12, 0
	s_delay_alu instid0(VALU_DEP_1) | instskip(NEXT) | instid1(VALU_DEP_1)
	v_ashrrev_i32_e32 v1, 31, v0
	v_lshlrev_b64 v[0:1], 1, v[0:1]
	s_delay_alu instid0(VALU_DEP_1) | instskip(NEXT) | instid1(VALU_DEP_2)
	v_add_co_u32 v5, vcc_lo, s4, v0
	v_add_co_ci_u32_e32 v6, vcc_lo, s5, v1, vcc_lo
	v_mul_lo_u32 v0, v11, s15
	s_mov_b32 s4, 0x32a5705f
	s_clause 0x1
	global_load_b128 v[1:4], v[5:6], off
	global_load_b64 v[5:6], v[5:6], off offset:16
	s_waitcnt vmcnt(1)
	v_cvt_f32_f16_e64 v17, -v3
	v_add_nc_u32_e32 v9, s12, v0
	v_lshrrev_b32_e32 v14, 16, v3
	v_lshrrev_b32_e32 v15, 16, v4
	;; [unrolled: 1-line block ×3, first 2 shown]
	v_cvt_f32_f16_e64 v18, -v4
	v_ashrrev_i32_e32 v10, 31, v9
	s_waitcnt vmcnt(0)
	v_lshrrev_b32_e32 v19, 16, v5
	v_lshrrev_b32_e32 v22, 16, v6
	v_cvt_f32_f16_e64 v24, -v6
	v_cvt_f32_f16_e64 v23, -v5
	v_lshlrev_b64 v[9:10], 2, v[9:10]
	v_cvt_f32_f16_e32 v13, v16
	v_cvt_f32_f16_e64 v25, -v14
	v_dual_mul_f32 v14, 0x3fb8aa3b, v18 :: v_dual_mul_f32 v27, 0x3fb8aa3b, v24
	v_cvt_f32_f16_e64 v15, -v15
	v_add_co_u32 v20, vcc_lo, s16, v9
	v_cvt_f32_f16_e32 v9, v2
	v_lshrrev_b32_e32 v2, 16, v2
	v_add_co_ci_u32_e32 v21, vcc_lo, s17, v10, vcc_lo
	v_cvt_f32_f16_e32 v10, v1
	v_cvt_f32_f16_e64 v19, -v19
	s_delay_alu instid0(VALU_DEP_4)
	v_cvt_f32_f16_e32 v12, v2
	v_mul_f32_e32 v2, 0x3fb8aa3b, v17
	v_cvt_f32_f16_e64 v22, -v22
	v_cmp_lt_f16_e64 s2, v1, v16
	v_mul_f32_e32 v26, 0x3fb8aa3b, v23
	v_dual_mul_f32 v30, 0x3fb8aa3b, v25 :: v_dual_mul_f32 v33, 0x3fb8aa3b, v15
	v_fma_mix_f32 v28, -v3, s3, -v2 op_sel_hi:[1,0,0]
	v_rndne_f32_e32 v29, v2
	v_rndne_f32_e32 v38, v27
	v_dual_mul_f32 v36, 0x3fb8aa3b, v19 :: v_dual_mul_f32 v39, 0x3fb8aa3b, v22
	v_cndmask_b32_e64 v1, v10, v13, s2
	v_fma_mix_f32 v31, -v4, s3, -v14 op_sel_hi:[1,0,0]
	v_rndne_f32_e32 v32, v14
	v_fma_mix_f32 v34, -v5, s3, -v26 op_sel_hi:[1,0,0]
	v_fma_mix_f32 v37, -v6, s3, -v27 op_sel_hi:[1,0,0]
	v_sub_f32_e32 v27, v27, v38
	v_fma_mix_f32 v16, -v3, s4, v28 op_sel_hi:[1,0,0]
	v_cvt_i32_f32_e32 v28, v29
	v_rndne_f32_e32 v40, v30
	v_fma_mix_f32 v41, -v4, s3, -v33 op_sel:[1,0,0] op_sel_hi:[1,0,0]
	v_rndne_f32_e32 v42, v33
	v_fma_mix_f32 v43, -v5, s3, -v36 op_sel:[1,0,0] op_sel_hi:[1,0,0]
	v_rndne_f32_e32 v44, v36
	v_sub_f32_e32 v2, v2, v29
	v_fma_mix_f32 v29, -v3, s3, -v30 op_sel:[1,0,0] op_sel_hi:[1,0,0]
	v_fma_mix_f32 v45, -v6, s3, -v39 op_sel:[1,0,0] op_sel_hi:[1,0,0]
	v_rndne_f32_e32 v46, v39
	v_cmp_lt_f32_e64 s3, v1, v9
	v_rndne_f32_e32 v35, v26
	v_fma_mix_f32 v31, -v4, s4, v31 op_sel_hi:[1,0,0]
	v_fma_mix_f32 v34, -v5, s4, v34 op_sel_hi:[1,0,0]
	;; [unrolled: 1-line block ×3, first 2 shown]
	v_sub_f32_e32 v14, v14, v32
	v_cndmask_b32_e64 v1, v1, v9, s3
	v_fma_mix_f32 v3, -v3, s4, v29 op_sel:[1,0,0] op_sel_hi:[1,0,0]
	v_add_f32_e32 v2, v2, v16
	v_sub_f32_e32 v16, v30, v40
	v_fma_mix_f32 v4, -v4, s4, v41 op_sel:[1,0,0] op_sel_hi:[1,0,0]
	v_sub_f32_e32 v30, v33, v42
	v_fma_mix_f32 v5, -v5, s4, v43 op_sel:[1,0,0] op_sel_hi:[1,0,0]
	;; [unrolled: 2-line block ×3, first 2 shown]
	v_sub_f32_e32 v36, v39, v46
	v_dual_sub_f32 v26, v26, v35 :: v_dual_add_f32 v27, v27, v37
	s_delay_alu instid0(VALU_DEP_4) | instskip(SKIP_1) | instid1(VALU_DEP_4)
	v_dual_add_f32 v5, v33, v5 :: v_dual_add_f32 v14, v14, v31
	v_dual_add_f32 v3, v16, v3 :: v_dual_add_f32 v4, v30, v4
	v_add_f32_e32 v6, v36, v6
	v_cmp_lt_f32_e64 s4, v1, v12
	s_delay_alu instid0(VALU_DEP_4)
	v_exp_f32_e32 v16, v14
	v_cvt_i32_f32_e32 v37, v46
	v_exp_f32_e32 v2, v2
	v_cvt_i32_f32_e32 v32, v32
	v_cndmask_b32_e64 v14, v1, v12, s4
	v_exp_f32_e32 v1, v3
	v_exp_f32_e32 v3, v4
	;; [unrolled: 1-line block ×4, first 2 shown]
	v_cmp_ngt_f32_e32 vcc_lo, 0xc2ce8ed0, v17
	v_cvt_i32_f32_e32 v35, v35
	v_exp_f32_e32 v27, v27
	v_ldexp_f32 v2, v2, v28
	v_ldexp_f32 v6, v16, v32
	v_cvt_i32_f32_e32 v38, v38
	v_cvt_i32_f32_e32 v29, v40
	;; [unrolled: 1-line block ×3, first 2 shown]
	v_cndmask_b32_e32 v2, 0, v2, vcc_lo
	v_ldexp_f32 v5, v5, v37
	v_add_f32_e32 v26, v26, v34
	v_cmp_ngt_f32_e32 vcc_lo, 0xc2ce8ed0, v18
	v_ldexp_f32 v1, v1, v29
	v_ldexp_f32 v3, v3, v31
	v_cvt_i32_f32_e32 v34, v44
	v_exp_f32_e32 v26, v26
	v_cndmask_b32_e32 v6, 0, v6, vcc_lo
	v_cmp_ngt_f32_e32 vcc_lo, 0xc2ce8ed0, v23
	s_delay_alu instid0(VALU_DEP_3) | instskip(SKIP_3) | instid1(VALU_DEP_2)
	v_ldexp_f32 v4, v4, v34
	s_waitcnt_depctr 0xfff
	v_ldexp_f32 v16, v26, v35
	v_ldexp_f32 v26, v27, v38
	v_cndmask_b32_e32 v16, 0, v16, vcc_lo
	v_cmp_ngt_f32_e32 vcc_lo, 0xc2ce8ed0, v24
	s_delay_alu instid0(VALU_DEP_3)
	v_cndmask_b32_e32 v26, 0, v26, vcc_lo
	v_cmp_nlt_f32_e32 vcc_lo, 0x42b17218, v17
	v_cndmask_b32_e32 v2, 0x7f800000, v2, vcc_lo
	v_cmp_ngt_f32_e32 vcc_lo, 0xc2ce8ed0, v25
	v_cndmask_b32_e32 v1, 0, v1, vcc_lo
	v_cmp_nlt_f32_e32 vcc_lo, 0x42b17218, v18
	v_cndmask_b32_e32 v6, 0x7f800000, v6, vcc_lo
	v_cmp_ngt_f32_e32 vcc_lo, 0xc2ce8ed0, v15
	;; [unrolled: 4-line block ×4, first 2 shown]
	v_cndmask_b32_e32 v5, 0, v5, vcc_lo
	v_cmp_nlt_f32_e32 vcc_lo, 0x42b17218, v25
	v_cndmask_b32_e32 v1, 0x7f800000, v1, vcc_lo
	v_cmp_nlt_f32_e32 vcc_lo, 0x42b17218, v15
	v_add_f32_e32 v15, 1.0, v16
	v_cndmask_b32_e32 v3, 0x7f800000, v3, vcc_lo
	v_cmp_nlt_f32_e32 vcc_lo, 0x42b17218, v19
	v_add_f32_e32 v19, 1.0, v1
	s_delay_alu instid0(VALU_DEP_4) | instskip(NEXT) | instid1(VALU_DEP_4)
	v_div_scale_f32 v24, s6, 1.0, v15, 1.0
	v_dual_add_f32 v23, 1.0, v3 :: v_dual_cndmask_b32 v4, 0x7f800000, v4
	v_cmp_nlt_f32_e32 vcc_lo, 0x42b17218, v22
	v_add_f32_e32 v2, 1.0, v2
	v_div_scale_f32 v3, null, v15, v15, 1.0
	s_delay_alu instid0(VALU_DEP_4) | instskip(SKIP_1) | instid1(VALU_DEP_4)
	v_add_f32_e32 v25, 1.0, v4
	v_cndmask_b32_e32 v5, 0x7f800000, v5, vcc_lo
	v_div_scale_f32 v16, null, v2, v2, 1.0
	s_delay_alu instid0(VALU_DEP_4) | instskip(NEXT) | instid1(VALU_DEP_3)
	v_rcp_f32_e32 v33, v3
	v_div_scale_f32 v34, null, v25, v25, 1.0
	s_delay_alu instid0(VALU_DEP_2) | instskip(SKIP_2) | instid1(VALU_DEP_3)
	v_rcp_f32_e32 v27, v16
	v_add_f32_e32 v5, 1.0, v5
	v_div_scale_f32 v28, null, v19, v19, 1.0
	v_rcp_f32_e32 v41, v34
	v_div_scale_f32 v31, null, v23, v23, 1.0
	s_delay_alu instid0(VALU_DEP_3) | instskip(NEXT) | instid1(TRANS32_DEP_3)
	v_div_scale_f32 v37, null, v5, v5, 1.0
	v_fma_f32 v45, -v3, v33, 1.0
	s_delay_alu instid0(TRANS32_DEP_2) | instskip(SKIP_1) | instid1(VALU_DEP_3)
	v_fma_f32 v42, -v16, v27, 1.0
	v_rcp_f32_e32 v38, v28
	v_rcp_f32_e32 v43, v37
	;; [unrolled: 1-line block ×3, first 2 shown]
	v_fmac_f32_e32 v33, v45, v33
	v_dual_fmac_f32 v27, v42, v27 :: v_dual_add_f32 v18, 1.0, v17
	v_div_scale_f32 v17, vcc_lo, 1.0, v2, 1.0
	v_fma_f32 v45, -v34, v41, 1.0
	v_div_scale_f32 v29, s8, 1.0, v19, 1.0
	s_delay_alu instid0(VALU_DEP_4) | instskip(NEXT) | instid1(VALU_DEP_4)
	v_div_scale_f32 v4, null, v18, v18, 1.0
	v_mul_f32_e32 v47, v17, v27
	s_delay_alu instid0(VALU_DEP_4) | instskip(SKIP_1) | instid1(VALU_DEP_4)
	v_fmac_f32_e32 v41, v45, v41
	v_fma_f32 v42, -v28, v38, 1.0
	v_rcp_f32_e32 v36, v4
	v_div_scale_f32 v32, s9, 1.0, v23, 1.0
	v_div_scale_f32 v35, s10, 1.0, v25, 1.0
	s_delay_alu instid0(VALU_DEP_3) | instskip(SKIP_1) | instid1(VALU_DEP_3)
	v_fmac_f32_e32 v38, v42, v38
	v_div_scale_f32 v39, s11, 1.0, v5, 1.0
	v_mul_f32_e32 v52, v35, v41
	s_waitcnt_depctr 0xfff
	v_fma_f32 v46, -v4, v36, 1.0
	v_mul_f32_e32 v48, v29, v38
	s_delay_alu instid0(VALU_DEP_2) | instskip(SKIP_1) | instid1(VALU_DEP_1)
	v_fmac_f32_e32 v36, v46, v36
	v_fma_f32 v46, -v37, v43, 1.0
	v_fmac_f32_e32 v43, v46, v43
	v_fma_f32 v46, -v16, v47, v17
	s_delay_alu instid0(VALU_DEP_2) | instskip(NEXT) | instid1(VALU_DEP_2)
	v_mul_f32_e32 v54, v39, v43
	v_fmac_f32_e32 v47, v46, v27
	v_div_scale_f32 v26, s7, 1.0, v18, 1.0
	v_add_f32_e32 v6, 1.0, v6
	v_fma_f32 v46, -v28, v48, v29
	s_delay_alu instid0(VALU_DEP_4) | instskip(NEXT) | instid1(VALU_DEP_4)
	v_fma_f32 v16, -v16, v47, v17
	v_mul_f32_e32 v45, v26, v36
	s_delay_alu instid0(VALU_DEP_4) | instskip(SKIP_1) | instid1(VALU_DEP_3)
	v_div_scale_f32 v1, null, v6, v6, 1.0
	v_div_scale_f32 v22, s5, 1.0, v6, 1.0
	v_fma_f32 v53, -v4, v45, v26
	s_delay_alu instid0(VALU_DEP_3) | instskip(NEXT) | instid1(VALU_DEP_1)
	v_rcp_f32_e32 v30, v1
	v_dual_fmac_f32 v48, v46, v38 :: v_dual_fmac_f32 v45, v53, v36
	v_fma_f32 v53, -v37, v54, v39
	s_delay_alu instid0(VALU_DEP_2) | instskip(SKIP_3) | instid1(VALU_DEP_2)
	v_fma_f32 v4, -v4, v45, v26
	s_waitcnt_depctr 0xfff
	v_fma_f32 v44, -v1, v30, 1.0
	v_fmac_f32_e32 v54, v53, v43
	v_fmac_f32_e32 v30, v44, v30
	v_fma_f32 v44, -v31, v40, 1.0
	s_delay_alu instid0(VALU_DEP_3) | instskip(NEXT) | instid1(VALU_DEP_3)
	v_fma_f32 v26, -v37, v54, v39
	v_mul_f32_e32 v42, v22, v30
	s_delay_alu instid0(VALU_DEP_3) | instskip(SKIP_1) | instid1(VALU_DEP_3)
	v_fmac_f32_e32 v40, v44, v40
	v_mul_f32_e32 v44, v24, v33
	v_fma_f32 v49, -v1, v42, v22
	s_delay_alu instid0(VALU_DEP_3) | instskip(NEXT) | instid1(VALU_DEP_3)
	v_mul_f32_e32 v50, v32, v40
	v_fma_f32 v51, -v3, v44, v24
	s_delay_alu instid0(VALU_DEP_3) | instskip(NEXT) | instid1(VALU_DEP_3)
	v_fmac_f32_e32 v42, v49, v30
	v_fma_f32 v49, -v31, v50, v32
	s_delay_alu instid0(VALU_DEP_3) | instskip(SKIP_1) | instid1(VALU_DEP_4)
	v_fmac_f32_e32 v44, v51, v33
	v_fma_f32 v51, -v34, v52, v35
	v_fma_f32 v17, -v1, v42, v22
	s_delay_alu instid0(VALU_DEP_4)
	v_fmac_f32_e32 v50, v49, v40
	v_div_fmas_f32 v1, v16, v27, v47
	v_fma_f32 v16, -v28, v48, v29
	s_mov_b32 vcc_lo, s8
	v_fmac_f32_e32 v52, v51, v41
	v_fma_f32 v22, -v31, v50, v32
	v_div_fixup_f32 v1, v1, v2, 1.0
	v_div_fmas_f32 v2, v16, v38, v48
	s_mov_b32 vcc_lo, s5
	v_fma_f32 v3, -v3, v44, v24
	v_div_fmas_f32 v16, v17, v30, v42
	s_mov_b32 vcc_lo, s9
	v_fma_f32 v24, -v34, v52, v35
	v_div_fmas_f32 v17, v22, v40, v50
	s_mov_b32 vcc_lo, s6
	v_div_fixup_f32 v2, v2, v19, 1.0
	v_div_fmas_f32 v19, v3, v33, v44
	s_mov_b32 vcc_lo, s10
	v_div_fixup_f32 v3, v16, v6, 1.0
	;; [unrolled: 3-line block ×3, first 2 shown]
	v_mov_b32_e32 v15, 0
	v_div_fmas_f32 v22, v4, v36, v45
	s_mov_b32 vcc_lo, s11
	v_div_fixup_f32 v4, v17, v23, 1.0
	v_div_fmas_f32 v24, v26, v43, v54
	v_div_fixup_f32 v17, v6, v25, 1.0
	v_div_fixup_f32 v18, v22, v18, 1.0
	s_cselect_b32 s5, -1, 0
	s_cmp_lt_i32 s12, 1
	v_div_fixup_f32 v19, v24, v5, 1.0
	s_clause 0x1
	global_store_b128 v[20:21], v[1:4], off
	global_store_b128 v[20:21], v[16:19], off offset:16
	s_cbranch_scc1 .LBB135_8
; %bb.5:
	v_cndmask_b32_e64 v4, 0, 1, s2
	v_sub_f32_e32 v20, v14, v14
	s_load_b128 s[8:11], s[0:1], 0x20
	v_mul_lo_u32 v2, v11, s18
	v_ashrrev_i32_e32 v1, 31, v0
	v_cndmask_b32_e64 v4, v4, 2, s3
	v_mul_lo_u32 v15, v11, s12
	s_delay_alu instid0(VALU_DEP_3) | instskip(NEXT) | instid1(VALU_DEP_3)
	v_lshlrev_b64 v[5:6], 2, v[0:1]
	v_cndmask_b32_e64 v21, v4, 3, s4
	s_delay_alu instid0(VALU_DEP_3) | instskip(NEXT) | instid1(VALU_DEP_2)
	v_ashrrev_i32_e32 v16, 31, v15
	v_subrev_nc_u32_e32 v22, s13, v21
	v_mul_f32_e32 v3, 0x3fb8aa3b, v20
	v_add_co_u32 v5, vcc_lo, s16, v5
	v_add_co_ci_u32_e32 v6, vcc_lo, s17, v6, vcc_lo
	s_delay_alu instid0(VALU_DEP_3) | instskip(SKIP_3) | instid1(VALU_DEP_4)
	v_rndne_f32_e32 v17, v3
	v_cmp_le_i32_e32 vcc_lo, s13, v21
	v_cmp_gt_i32_e64 s0, s14, v21
	v_cmp_ne_u32_e64 s1, 3, v21
	v_sub_f32_e32 v19, v3, v17
	v_fma_f32 v18, 0x3fb8aa3b, v20, -v3
	v_ashrrev_i32_e32 v3, 31, v2
	s_and_b32 s0, vcc_lo, s0
	v_cndmask_b32_e64 v12, 0xff800000, v12, s1
	s_delay_alu instid0(VALU_DEP_3) | instskip(NEXT) | instid1(VALU_DEP_1)
	v_fmac_f32_e32 v18, 0x32a5705f, v20
	v_add_f32_e32 v1, v19, v18
	s_delay_alu instid0(VALU_DEP_1) | instskip(SKIP_4) | instid1(VALU_DEP_3)
	v_exp_f32_e32 v18, v1
	v_lshlrev_b64 v[1:2], 2, v[2:3]
	v_lshlrev_b64 v[3:4], 2, v[15:16]
	v_cvt_i32_f32_e32 v15, v17
	s_waitcnt lgkmcnt(0)
	v_add_co_u32 v16, vcc_lo, s8, v1
	s_delay_alu instid0(VALU_DEP_4) | instskip(SKIP_3) | instid1(VALU_DEP_2)
	v_add_co_ci_u32_e32 v17, vcc_lo, s9, v2, vcc_lo
	s_waitcnt_depctr 0xfff
	v_ldexp_f32 v15, v18, v15
	v_cmp_ngt_f32_e32 vcc_lo, 0xc2ce8ed0, v20
	v_cndmask_b32_e32 v15, 0, v15, vcc_lo
	v_add_co_u32 v18, vcc_lo, s10, v3
	v_add_co_ci_u32_e32 v19, vcc_lo, s11, v4, vcc_lo
	s_and_b32 vcc_lo, s21, s0
	s_cmp_eq_u32 s12, 1
	v_cndmask_b32_e32 v22, 4, v22, vcc_lo
	v_cmp_nlt_f32_e32 vcc_lo, 0x42b17218, v20
	v_cndmask_b32_e32 v15, 0x7f800000, v15, vcc_lo
	v_cmp_ne_u32_e32 vcc_lo, 2, v21
	global_store_b32 v[5:6], v15, off
	v_cndmask_b32_e32 v9, 0xff800000, v9, vcc_lo
	v_cmp_ne_u32_e32 vcc_lo, 1, v21
	global_store_b32 v[16:17], v22, off
	global_store_b32 v[18:19], v11, off
	v_cndmask_b32_e32 v13, 0xff800000, v13, vcc_lo
	v_cmp_ne_u32_e32 vcc_lo, 0, v21
	v_cndmask_b32_e32 v10, 0xff800000, v10, vcc_lo
	s_cbranch_scc1 .LBB135_8
; %bb.6:
	v_add_co_u32 v3, vcc_lo, v3, s10
	v_add_co_ci_u32_e32 v4, vcc_lo, s11, v4, vcc_lo
	v_add_co_u32 v11, vcc_lo, v1, s8
	v_add_co_ci_u32_e32 v16, vcc_lo, s9, v2, vcc_lo
	s_delay_alu instid0(VALU_DEP_4) | instskip(NEXT) | instid1(VALU_DEP_4)
	v_add_co_u32 v1, vcc_lo, v3, 4
	v_add_co_ci_u32_e32 v2, vcc_lo, 0, v4, vcc_lo
	s_delay_alu instid0(VALU_DEP_4) | instskip(NEXT) | instid1(VALU_DEP_4)
	v_add_co_u32 v3, vcc_lo, v11, 4
	v_add_co_ci_u32_e32 v4, vcc_lo, 0, v16, vcc_lo
	s_add_i32 s22, s22, s20
	v_add_co_u32 v5, vcc_lo, v5, 4
	v_add_co_ci_u32_e32 v6, vcc_lo, 0, v6, vcc_lo
	v_add3_u32 v7, s22, v8, v7
	s_add_i32 s2, s12, -1
.LBB135_7:                              ; =>This Inner Loop Header: Depth=1
	v_cmp_gt_f32_e32 vcc_lo, v13, v10
	s_add_i32 s2, s2, -1
	v_cndmask_b32_e32 v8, v10, v13, vcc_lo
	v_cndmask_b32_e64 v11, 0, 1, vcc_lo
	s_delay_alu instid0(VALU_DEP_2) | instskip(SKIP_1) | instid1(VALU_DEP_3)
	v_cmp_gt_f32_e32 vcc_lo, v9, v8
	v_cndmask_b32_e32 v8, v8, v9, vcc_lo
	v_cndmask_b32_e64 v11, v11, 2, vcc_lo
	s_delay_alu instid0(VALU_DEP_2) | instskip(NEXT) | instid1(VALU_DEP_2)
	v_cmp_gt_f32_e32 vcc_lo, v12, v8
	v_cndmask_b32_e64 v11, v11, 3, vcc_lo
	s_delay_alu instid0(VALU_DEP_1)
	v_cmp_gt_i32_e64 s0, s14, v11
	v_subrev_nc_u32_e32 v17, s13, v11
	v_cndmask_b32_e32 v8, v8, v12, vcc_lo
	v_cmp_le_i32_e32 vcc_lo, s13, v11
	v_cmp_ne_u32_e64 s1, 3, v11
	s_and_b32 s0, vcc_lo, s0
	s_delay_alu instid0(VALU_DEP_1)
	v_cndmask_b32_e64 v12, 0xff800000, v12, s1
	s_and_b32 vcc_lo, s21, s0
	v_cmp_ne_u32_e64 s1, 2, v11
	v_dual_cndmask_b32 v17, 4, v17 :: v_dual_sub_f32 v8, v8, v14
	global_store_b32 v[3:4], v17, off
	global_store_b32 v[1:2], v7, off
	v_mul_f32_e32 v16, 0x3fb8aa3b, v8
	v_cndmask_b32_e64 v9, 0xff800000, v9, s1
	v_cmp_ne_u32_e64 s1, 1, v11
	v_add_co_u32 v1, vcc_lo, v1, 4
	s_delay_alu instid0(VALU_DEP_4) | instskip(SKIP_1) | instid1(VALU_DEP_4)
	v_rndne_f32_e32 v18, v16
	v_add_co_ci_u32_e32 v2, vcc_lo, 0, v2, vcc_lo
	v_cndmask_b32_e64 v13, 0xff800000, v13, s1
	v_cmp_ne_u32_e64 s1, 0, v11
	v_fma_f32 v11, 0x3fb8aa3b, v8, -v16
	v_sub_f32_e32 v16, v16, v18
	v_cvt_i32_f32_e32 v18, v18
	v_add_co_u32 v3, vcc_lo, v3, 4
	s_delay_alu instid0(VALU_DEP_4) | instskip(SKIP_3) | instid1(VALU_DEP_4)
	v_fmac_f32_e32 v11, 0x32a5705f, v8
	v_add_co_ci_u32_e32 v4, vcc_lo, 0, v4, vcc_lo
	v_cmp_ngt_f32_e32 vcc_lo, 0xc2ce8ed0, v8
	v_cndmask_b32_e64 v10, 0xff800000, v10, s1
	v_add_f32_e32 v11, v16, v11
	v_add_nc_u32_e32 v7, s20, v7
	s_cmp_eq_u32 s2, 0
	s_delay_alu instid0(VALU_DEP_2) | instskip(SKIP_2) | instid1(VALU_DEP_1)
	v_exp_f32_e32 v11, v11
	s_waitcnt_depctr 0xfff
	v_ldexp_f32 v11, v11, v18
	v_cndmask_b32_e32 v11, 0, v11, vcc_lo
	v_cmp_nlt_f32_e32 vcc_lo, 0x42b17218, v8
	s_delay_alu instid0(VALU_DEP_2)
	v_cndmask_b32_e32 v8, 0x7f800000, v11, vcc_lo
	global_store_b32 v[5:6], v8, off
	v_add_co_u32 v5, vcc_lo, v5, 4
	v_add_f32_e32 v15, v15, v8
	v_add_co_ci_u32_e32 v6, vcc_lo, 0, v6, vcc_lo
	s_cbranch_scc0 .LBB135_7
.LBB135_8:
	v_sub_f32_e32 v4, v12, v14
	s_delay_alu instid0(VALU_DEP_1) | instskip(NEXT) | instid1(VALU_DEP_1)
	v_dual_sub_f32 v1, v10, v14 :: v_dual_mul_f32 v8, 0x3fb8aa3b, v4
	v_dual_sub_f32 v2, v13, v14 :: v_dual_mul_f32 v5, 0x3fb8aa3b, v1
	v_cmp_ngt_f32_e32 vcc_lo, 0xc2ce8ed0, v1
	s_delay_alu instid0(VALU_DEP_3) | instskip(NEXT) | instid1(VALU_DEP_3)
	v_rndne_f32_e32 v17, v8
	v_mul_f32_e32 v6, 0x3fb8aa3b, v2
	s_delay_alu instid0(VALU_DEP_4) | instskip(NEXT) | instid1(VALU_DEP_2)
	v_rndne_f32_e32 v10, v5
	v_rndne_f32_e32 v12, v6
	v_sub_f32_e32 v3, v9, v14
	v_fma_f32 v9, 0x3fb8aa3b, v1, -v5
	s_delay_alu instid0(VALU_DEP_4) | instskip(NEXT) | instid1(VALU_DEP_2)
	v_sub_f32_e32 v5, v5, v10
	v_fmac_f32_e32 v9, 0x32a5705f, v1
	s_delay_alu instid0(VALU_DEP_1) | instskip(SKIP_3) | instid1(VALU_DEP_4)
	v_add_f32_e32 v5, v5, v9
	v_fma_f32 v11, 0x3fb8aa3b, v2, -v6
	v_dual_sub_f32 v6, v6, v12 :: v_dual_mul_f32 v7, 0x3fb8aa3b, v3
	v_fma_f32 v16, 0x3fb8aa3b, v4, -v8
	v_exp_f32_e32 v5, v5
	s_delay_alu instid0(VALU_DEP_3) | instskip(NEXT) | instid1(VALU_DEP_3)
	v_dual_fmac_f32 v11, 0x32a5705f, v2 :: v_dual_sub_f32 v8, v8, v17
	v_fma_f32 v13, 0x3fb8aa3b, v3, -v7
	v_rndne_f32_e32 v14, v7
	v_cvt_i32_f32_e32 v9, v10
	s_delay_alu instid0(VALU_DEP_4) | instskip(NEXT) | instid1(VALU_DEP_4)
	v_add_f32_e32 v6, v6, v11
	v_dual_fmac_f32 v16, 0x32a5705f, v4 :: v_dual_fmac_f32 v13, 0x32a5705f, v3
	s_delay_alu instid0(VALU_DEP_4) | instskip(SKIP_1) | instid1(VALU_DEP_4)
	v_sub_f32_e32 v7, v7, v14
	v_cvt_i32_f32_e32 v10, v12
	v_exp_f32_e32 v6, v6
	v_ldexp_f32 v5, v5, v9
	v_add_f32_e32 v8, v8, v16
	v_cvt_i32_f32_e32 v11, v14
	v_cvt_i32_f32_e32 v9, v17
	s_delay_alu instid0(VALU_DEP_4) | instskip(SKIP_2) | instid1(TRANS32_DEP_2)
	v_cndmask_b32_e32 v5, 0, v5, vcc_lo
	v_cmp_ngt_f32_e32 vcc_lo, 0xc2ce8ed0, v2
	v_exp_f32_e32 v8, v8
	v_ldexp_f32 v6, v6, v10
	s_delay_alu instid0(VALU_DEP_1) | instskip(NEXT) | instid1(VALU_DEP_1)
	v_dual_add_f32 v7, v7, v13 :: v_dual_cndmask_b32 v6, 0, v6
	v_exp_f32_e32 v7, v7
	v_cmp_nlt_f32_e32 vcc_lo, 0x42b17218, v1
	v_cndmask_b32_e32 v1, 0x7f800000, v5, vcc_lo
	v_cmp_nlt_f32_e32 vcc_lo, 0x42b17218, v2
	s_waitcnt_depctr 0xfff
	v_ldexp_f32 v7, v7, v11
	v_cndmask_b32_e32 v2, 0x7f800000, v6, vcc_lo
	v_cmp_ngt_f32_e32 vcc_lo, 0xc2ce8ed0, v3
	v_ldexp_f32 v6, v8, v9
	s_delay_alu instid0(VALU_DEP_3) | instskip(SKIP_2) | instid1(VALU_DEP_2)
	v_add_f32_e32 v1, v1, v2
	v_cndmask_b32_e32 v5, 0, v7, vcc_lo
	v_cmp_nlt_f32_e32 vcc_lo, 0x42b17218, v3
	v_cndmask_b32_e32 v2, 0x7f800000, v5, vcc_lo
	v_cmp_ngt_f32_e32 vcc_lo, 0xc2ce8ed0, v4
	s_delay_alu instid0(VALU_DEP_2) | instskip(SKIP_2) | instid1(VALU_DEP_2)
	v_add_f32_e32 v1, v1, v2
	v_cndmask_b32_e32 v3, 0, v6, vcc_lo
	v_cmp_nlt_f32_e32 vcc_lo, 0x42b17218, v4
	v_cndmask_b32_e32 v2, 0x7f800000, v3, vcc_lo
	s_delay_alu instid0(VALU_DEP_1) | instskip(NEXT) | instid1(VALU_DEP_1)
	v_add_f32_e32 v1, v1, v2
	v_add_f32_e32 v2, v15, v1
	s_delay_alu instid0(VALU_DEP_1)
	v_cmp_neq_f32_e32 vcc_lo, 0, v2
	s_and_b32 exec_lo, exec_lo, vcc_lo
	s_cbranch_execz .LBB135_12
; %bb.9:
	s_and_not1_b32 vcc_lo, exec_lo, s5
	s_cbranch_vccnz .LBB135_12
; %bb.10:
	v_div_scale_f32 v1, null, v2, v2, 1.0
	v_div_scale_f32 v5, vcc_lo, 1.0, v2, 1.0
	s_delay_alu instid0(VALU_DEP_2) | instskip(SKIP_2) | instid1(VALU_DEP_1)
	v_rcp_f32_e32 v3, v1
	s_waitcnt_depctr 0xfff
	v_fma_f32 v4, -v1, v3, 1.0
	v_fmac_f32_e32 v3, v4, v3
	s_delay_alu instid0(VALU_DEP_1) | instskip(NEXT) | instid1(VALU_DEP_1)
	v_mul_f32_e32 v4, v5, v3
	v_fma_f32 v6, -v1, v4, v5
	s_delay_alu instid0(VALU_DEP_1) | instskip(NEXT) | instid1(VALU_DEP_1)
	v_fmac_f32_e32 v4, v6, v3
	v_fma_f32 v5, -v1, v4, v5
	v_ashrrev_i32_e32 v1, 31, v0
	s_delay_alu instid0(VALU_DEP_2) | instskip(NEXT) | instid1(VALU_DEP_2)
	v_div_fmas_f32 v3, v5, v3, v4
	v_lshlrev_b64 v[0:1], 2, v[0:1]
	s_delay_alu instid0(VALU_DEP_2) | instskip(NEXT) | instid1(VALU_DEP_2)
	v_div_fixup_f32 v2, v3, v2, 1.0
	v_add_co_u32 v0, vcc_lo, s16, v0
	s_delay_alu instid0(VALU_DEP_3)
	v_add_co_ci_u32_e32 v1, vcc_lo, s17, v1, vcc_lo
.LBB135_11:                             ; =>This Inner Loop Header: Depth=1
	global_load_b32 v3, v[0:1], off
	s_add_i32 s12, s12, -1
	s_delay_alu instid0(SALU_CYCLE_1)
	s_cmp_lg_u32 s12, 0
	s_waitcnt vmcnt(0)
	v_mul_f32_e32 v3, v2, v3
	global_store_b32 v[0:1], v3, off
	v_add_co_u32 v0, vcc_lo, v0, 4
	v_add_co_ci_u32_e32 v1, vcc_lo, 0, v1, vcc_lo
	s_cbranch_scc1 .LBB135_11
.LBB135_12:
	s_nop 0
	s_sendmsg sendmsg(MSG_DEALLOC_VGPRS)
	s_endpgm
	.section	.rodata,"a",@progbits
	.p2align	6, 0x0
	.amdhsa_kernel _ZN4vllm3moe17topkGatingSoftmaxIDF16_Li4ELi4ELi8ELi8ELb0ELi8ELNS0_23SharedExpertScoringFuncE1EEEvPKT_PKbPfiPiS9_iiiiii
		.amdhsa_group_segment_fixed_size 0
		.amdhsa_private_segment_fixed_size 0
		.amdhsa_kernarg_size 72
		.amdhsa_user_sgpr_count 15
		.amdhsa_user_sgpr_dispatch_ptr 0
		.amdhsa_user_sgpr_queue_ptr 0
		.amdhsa_user_sgpr_kernarg_segment_ptr 1
		.amdhsa_user_sgpr_dispatch_id 0
		.amdhsa_user_sgpr_private_segment_size 0
		.amdhsa_wavefront_size32 1
		.amdhsa_uses_dynamic_stack 0
		.amdhsa_enable_private_segment 0
		.amdhsa_system_sgpr_workgroup_id_x 1
		.amdhsa_system_sgpr_workgroup_id_y 0
		.amdhsa_system_sgpr_workgroup_id_z 0
		.amdhsa_system_sgpr_workgroup_info 0
		.amdhsa_system_vgpr_workitem_id 1
		.amdhsa_next_free_vgpr 55
		.amdhsa_next_free_sgpr 23
		.amdhsa_reserve_vcc 1
		.amdhsa_float_round_mode_32 0
		.amdhsa_float_round_mode_16_64 0
		.amdhsa_float_denorm_mode_32 3
		.amdhsa_float_denorm_mode_16_64 3
		.amdhsa_dx10_clamp 1
		.amdhsa_ieee_mode 1
		.amdhsa_fp16_overflow 0
		.amdhsa_workgroup_processor_mode 1
		.amdhsa_memory_ordered 1
		.amdhsa_forward_progress 0
		.amdhsa_shared_vgpr_count 0
		.amdhsa_exception_fp_ieee_invalid_op 0
		.amdhsa_exception_fp_denorm_src 0
		.amdhsa_exception_fp_ieee_div_zero 0
		.amdhsa_exception_fp_ieee_overflow 0
		.amdhsa_exception_fp_ieee_underflow 0
		.amdhsa_exception_fp_ieee_inexact 0
		.amdhsa_exception_int_div_zero 0
	.end_amdhsa_kernel
	.section	.text._ZN4vllm3moe17topkGatingSoftmaxIDF16_Li4ELi4ELi8ELi8ELb0ELi8ELNS0_23SharedExpertScoringFuncE1EEEvPKT_PKbPfiPiS9_iiiiii,"axG",@progbits,_ZN4vllm3moe17topkGatingSoftmaxIDF16_Li4ELi4ELi8ELi8ELb0ELi8ELNS0_23SharedExpertScoringFuncE1EEEvPKT_PKbPfiPiS9_iiiiii,comdat
.Lfunc_end135:
	.size	_ZN4vllm3moe17topkGatingSoftmaxIDF16_Li4ELi4ELi8ELi8ELb0ELi8ELNS0_23SharedExpertScoringFuncE1EEEvPKT_PKbPfiPiS9_iiiiii, .Lfunc_end135-_ZN4vllm3moe17topkGatingSoftmaxIDF16_Li4ELi4ELi8ELi8ELb0ELi8ELNS0_23SharedExpertScoringFuncE1EEEvPKT_PKbPfiPiS9_iiiiii
                                        ; -- End function
	.section	.AMDGPU.csdata,"",@progbits
; Kernel info:
; codeLenInByte = 3308
; NumSgprs: 25
; NumVgprs: 55
; ScratchSize: 0
; MemoryBound: 0
; FloatMode: 240
; IeeeMode: 1
; LDSByteSize: 0 bytes/workgroup (compile time only)
; SGPRBlocks: 3
; VGPRBlocks: 6
; NumSGPRsForWavesPerEU: 25
; NumVGPRsForWavesPerEU: 55
; Occupancy: 16
; WaveLimiterHint : 0
; COMPUTE_PGM_RSRC2:SCRATCH_EN: 0
; COMPUTE_PGM_RSRC2:USER_SGPR: 15
; COMPUTE_PGM_RSRC2:TRAP_HANDLER: 0
; COMPUTE_PGM_RSRC2:TGID_X_EN: 1
; COMPUTE_PGM_RSRC2:TGID_Y_EN: 0
; COMPUTE_PGM_RSRC2:TGID_Z_EN: 0
; COMPUTE_PGM_RSRC2:TIDIG_COMP_CNT: 1
	.section	.text._ZN4vllm3moe17topkGatingSoftmaxIDF16_Li8ELi8ELi8ELi16ELb1ELi0ELNS0_23SharedExpertScoringFuncE0EEEvPKT_PKbPfiPiS9_iiiiii,"axG",@progbits,_ZN4vllm3moe17topkGatingSoftmaxIDF16_Li8ELi8ELi8ELi16ELb1ELi0ELNS0_23SharedExpertScoringFuncE0EEEvPKT_PKbPfiPiS9_iiiiii,comdat
	.protected	_ZN4vllm3moe17topkGatingSoftmaxIDF16_Li8ELi8ELi8ELi16ELb1ELi0ELNS0_23SharedExpertScoringFuncE0EEEvPKT_PKbPfiPiS9_iiiiii ; -- Begin function _ZN4vllm3moe17topkGatingSoftmaxIDF16_Li8ELi8ELi8ELi16ELb1ELi0ELNS0_23SharedExpertScoringFuncE0EEEvPKT_PKbPfiPiS9_iiiiii
	.globl	_ZN4vllm3moe17topkGatingSoftmaxIDF16_Li8ELi8ELi8ELi16ELb1ELi0ELNS0_23SharedExpertScoringFuncE0EEEvPKT_PKbPfiPiS9_iiiiii
	.p2align	8
	.type	_ZN4vllm3moe17topkGatingSoftmaxIDF16_Li8ELi8ELi8ELi16ELb1ELi0ELNS0_23SharedExpertScoringFuncE0EEEvPKT_PKbPfiPiS9_iiiiii,@function
_ZN4vllm3moe17topkGatingSoftmaxIDF16_Li8ELi8ELi8ELi16ELb1ELi0ELNS0_23SharedExpertScoringFuncE0EEEvPKT_PKbPfiPiS9_iiiiii: ; @_ZN4vllm3moe17topkGatingSoftmaxIDF16_Li8ELi8ELi8ELi16ELb1ELi0ELNS0_23SharedExpertScoringFuncE0EEEvPKT_PKbPfiPiS9_iiiiii
; %bb.0:
	s_load_b32 s16, s[0:1], 0x18
	v_bfe_u32 v1, v0, 10, 10
	v_and_b32_e32 v10, 0x3ff, v0
	s_lshl_b32 s19, s15, 8
	s_mov_b32 s2, exec_lo
	s_delay_alu instid0(VALU_DEP_2) | instskip(NEXT) | instid1(VALU_DEP_1)
	v_lshlrev_b32_e32 v9, 5, v1
	v_add3_u32 v6, v9, v10, s19
	s_waitcnt lgkmcnt(0)
	s_delay_alu instid0(VALU_DEP_1)
	v_cmpx_gt_i32_e64 s16, v6
	s_cbranch_execz .LBB136_13
; %bb.1:
	s_clause 0x1
	s_load_b128 s[12:15], s[0:1], 0x0
	s_load_b64 s[2:3], s[0:1], 0x10
	s_waitcnt lgkmcnt(0)
	s_cmp_eq_u64 s[14:15], 0
	s_cbranch_scc1 .LBB136_3
; %bb.2:
	v_ashrrev_i32_e32 v1, 31, v6
	v_add_co_u32 v0, vcc_lo, s14, v6
	s_delay_alu instid0(VALU_DEP_2) | instskip(SKIP_3) | instid1(VALU_DEP_1)
	v_add_co_ci_u32_e32 v1, vcc_lo, s15, v1, vcc_lo
	global_load_u8 v0, v[0:1], off
	s_waitcnt vmcnt(0)
	v_and_b32_e32 v0, 1, v0
	v_cmp_eq_u32_e32 vcc_lo, 1, v0
	s_xor_b32 s4, vcc_lo, -1
	s_delay_alu instid0(SALU_CYCLE_1)
	s_or_not1_b32 s18, s4, exec_lo
	s_branch .LBB136_4
.LBB136_3:
	s_mov_b32 s18, -1
.LBB136_4:
	s_load_b128 s[4:7], s[0:1], 0x30
	s_waitcnt lgkmcnt(0)
	s_cmp_gt_i32 s4, 0
	s_cselect_b32 s17, -1, 0
	s_cmp_lt_i32 s4, 1
	s_cbranch_scc1 .LBB136_9
; %bb.5:
	s_clause 0x1
	s_load_b64 s[14:15], s[0:1], 0x40
	s_load_b128 s[8:11], s[0:1], 0x20
	s_waitcnt lgkmcnt(0)
	v_mul_lo_u32 v0, v6, s15
	v_mul_lo_u32 v20, v6, s14
	s_delay_alu instid0(VALU_DEP_2) | instskip(NEXT) | instid1(VALU_DEP_1)
	v_ashrrev_i32_e32 v1, 31, v0
	v_lshlrev_b64 v[0:1], 1, v[0:1]
	s_delay_alu instid0(VALU_DEP_1) | instskip(NEXT) | instid1(VALU_DEP_2)
	v_add_co_u32 v0, vcc_lo, s12, v0
	v_add_co_ci_u32_e32 v1, vcc_lo, s13, v1, vcc_lo
	global_load_b128 v[0:3], v[0:1], off
	s_waitcnt vmcnt(0)
	v_lshrrev_b32_e32 v4, 16, v0
	v_cvt_f32_f16_e32 v18, v0
	v_cvt_f32_f16_e32 v16, v1
	v_lshrrev_b32_e32 v1, 16, v1
	v_cvt_f32_f16_e32 v14, v2
	v_cvt_f32_f16_e32 v17, v4
	v_cmp_lt_f16_e32 vcc_lo, v0, v4
	v_lshrrev_b32_e32 v2, 16, v2
	v_cvt_f32_f16_e32 v15, v1
	v_cvt_f32_f16_e32 v12, v3
	v_cndmask_b32_e32 v4, v18, v17, vcc_lo
	v_cndmask_b32_e64 v0, 0, 1, vcc_lo
	v_cvt_f32_f16_e32 v13, v2
	v_lshrrev_b32_e32 v2, 16, v3
	s_delay_alu instid0(VALU_DEP_4) | instskip(NEXT) | instid1(VALU_DEP_2)
	v_cmp_lt_f32_e32 vcc_lo, v4, v16
	v_cvt_f32_f16_e32 v11, v2
	v_mul_lo_u32 v2, v6, s4
	v_cndmask_b32_e32 v1, v4, v16, vcc_lo
	v_cndmask_b32_e64 v0, v0, 2, vcc_lo
	s_delay_alu instid0(VALU_DEP_2) | instskip(SKIP_1) | instid1(VALU_DEP_3)
	v_cmp_lt_f32_e32 vcc_lo, v1, v15
	v_cndmask_b32_e32 v1, v1, v15, vcc_lo
	v_cndmask_b32_e64 v0, v0, 3, vcc_lo
	s_delay_alu instid0(VALU_DEP_2) | instskip(SKIP_1) | instid1(VALU_DEP_3)
	v_cmp_lt_f32_e32 vcc_lo, v1, v14
	v_cndmask_b32_e32 v1, v1, v14, vcc_lo
	v_cndmask_b32_e64 v0, v0, 4, vcc_lo
	s_delay_alu instid0(VALU_DEP_2) | instskip(SKIP_1) | instid1(VALU_DEP_3)
	v_cmp_lt_f32_e32 vcc_lo, v1, v13
	v_cndmask_b32_e32 v1, v1, v13, vcc_lo
	v_cndmask_b32_e64 v0, v0, 5, vcc_lo
	s_delay_alu instid0(VALU_DEP_2) | instskip(SKIP_1) | instid1(VALU_DEP_3)
	v_cmp_lt_f32_e32 vcc_lo, v1, v12
	v_cndmask_b32_e32 v1, v1, v12, vcc_lo
	v_cndmask_b32_e64 v0, v0, 6, vcc_lo
	s_delay_alu instid0(VALU_DEP_2) | instskip(SKIP_1) | instid1(VALU_DEP_3)
	v_cmp_lt_f32_e32 vcc_lo, v1, v11
	v_cndmask_b32_e32 v7, v1, v11, vcc_lo
	v_cndmask_b32_e64 v19, v0, 7, vcc_lo
	v_mul_lo_u32 v0, v6, s7
	s_delay_alu instid0(VALU_DEP_3) | instskip(NEXT) | instid1(VALU_DEP_3)
	v_sub_f32_e32 v8, v7, v7
	v_cmp_le_i32_e32 vcc_lo, s5, v19
	v_cmp_gt_i32_e64 s0, s6, v19
	s_delay_alu instid0(VALU_DEP_3) | instskip(NEXT) | instid1(VALU_DEP_2)
	v_mul_f32_e32 v1, 0x3fb8aa3b, v8
	s_and_b32 s0, vcc_lo, s0
	v_cmp_ngt_f32_e32 vcc_lo, 0xc2ce8ed0, v8
	s_delay_alu instid0(VALU_DEP_2) | instskip(SKIP_1) | instid1(VALU_DEP_1)
	v_fma_f32 v3, 0x3fb8aa3b, v8, -v1
	v_rndne_f32_e32 v22, v1
	v_dual_fmac_f32 v3, 0x32a5705f, v8 :: v_dual_sub_f32 v4, v1, v22
	v_ashrrev_i32_e32 v1, 31, v0
	s_delay_alu instid0(VALU_DEP_2) | instskip(SKIP_1) | instid1(VALU_DEP_3)
	v_add_f32_e32 v21, v4, v3
	v_ashrrev_i32_e32 v3, 31, v2
	v_lshlrev_b64 v[4:5], 2, v[0:1]
	s_delay_alu instid0(VALU_DEP_3) | instskip(NEXT) | instid1(VALU_DEP_2)
	v_exp_f32_e32 v23, v21
	v_lshlrev_b64 v[0:1], 2, v[2:3]
	v_ashrrev_i32_e32 v21, 31, v20
	v_cvt_i32_f32_e32 v2, v22
	s_delay_alu instid0(VALU_DEP_4) | instskip(NEXT) | instid1(VALU_DEP_1)
	v_add_co_u32 v4, s1, s2, v4
	v_add_co_ci_u32_e64 v5, s1, s3, v5, s1
	s_waitcnt_depctr 0xfff
	v_ldexp_f32 v22, v23, v2
	v_lshlrev_b64 v[2:3], 2, v[20:21]
	v_subrev_nc_u32_e32 v23, s5, v19
	s_delay_alu instid0(VALU_DEP_3) | instskip(NEXT) | instid1(VALU_DEP_3)
	v_cndmask_b32_e32 v22, 0, v22, vcc_lo
	v_add_co_u32 v20, vcc_lo, s8, v2
	s_delay_alu instid0(VALU_DEP_4)
	v_add_co_ci_u32_e32 v21, vcc_lo, s9, v3, vcc_lo
	s_and_b32 vcc_lo, s18, s0
	s_cmp_eq_u32 s4, 1
	v_cndmask_b32_e32 v24, 8, v23, vcc_lo
	v_cmp_nlt_f32_e32 vcc_lo, 0x42b17218, v8
	v_cndmask_b32_e32 v8, 0x7f800000, v22, vcc_lo
	v_add_co_u32 v22, vcc_lo, s10, v0
	v_add_co_ci_u32_e32 v23, vcc_lo, s11, v1, vcc_lo
	global_store_b32 v[20:21], v24, off
	global_store_b32 v[4:5], v8, off
	;; [unrolled: 1-line block ×3, first 2 shown]
	s_cbranch_scc1 .LBB136_8
; %bb.6:
	v_cmp_ne_u32_e32 vcc_lo, 7, v19
	s_add_i32 s19, s19, s16
	s_delay_alu instid0(SALU_CYCLE_1)
	v_add3_u32 v9, s19, v10, v9
	v_cndmask_b32_e32 v11, 0xff800000, v11, vcc_lo
	v_cmp_ne_u32_e32 vcc_lo, 6, v19
	v_cndmask_b32_e32 v12, 0xff800000, v12, vcc_lo
	v_cmp_ne_u32_e32 vcc_lo, 5, v19
	;; [unrolled: 2-line block ×7, first 2 shown]
	v_cndmask_b32_e32 v18, 0xff800000, v18, vcc_lo
	v_add_co_u32 v0, vcc_lo, v0, s10
	v_add_co_ci_u32_e32 v1, vcc_lo, s11, v1, vcc_lo
	v_add_co_u32 v2, vcc_lo, v2, s8
	v_add_co_ci_u32_e32 v3, vcc_lo, s9, v3, vcc_lo
	s_delay_alu instid0(VALU_DEP_4) | instskip(NEXT) | instid1(VALU_DEP_4)
	v_add_co_u32 v0, vcc_lo, v0, 4
	v_add_co_ci_u32_e32 v1, vcc_lo, 0, v1, vcc_lo
	s_delay_alu instid0(VALU_DEP_4) | instskip(NEXT) | instid1(VALU_DEP_4)
	v_add_co_u32 v2, vcc_lo, v2, 4
	v_add_co_ci_u32_e32 v3, vcc_lo, 0, v3, vcc_lo
	v_add_co_u32 v4, vcc_lo, v4, 4
	v_add_co_ci_u32_e32 v5, vcc_lo, 0, v5, vcc_lo
	s_add_i32 s8, s4, -1
.LBB136_7:                              ; =>This Inner Loop Header: Depth=1
	v_cmp_gt_f32_e32 vcc_lo, v17, v18
	s_add_i32 s8, s8, -1
	v_cndmask_b32_e32 v10, v18, v17, vcc_lo
	v_cndmask_b32_e64 v19, 0, 1, vcc_lo
	s_delay_alu instid0(VALU_DEP_2) | instskip(SKIP_1) | instid1(VALU_DEP_3)
	v_cmp_gt_f32_e32 vcc_lo, v16, v10
	v_cndmask_b32_e32 v10, v10, v16, vcc_lo
	v_cndmask_b32_e64 v19, v19, 2, vcc_lo
	s_delay_alu instid0(VALU_DEP_2) | instskip(SKIP_1) | instid1(VALU_DEP_3)
	v_cmp_gt_f32_e32 vcc_lo, v15, v10
	;; [unrolled: 4-line block ×5, first 2 shown]
	v_cndmask_b32_e32 v10, v10, v12, vcc_lo
	v_cndmask_b32_e64 v19, v19, 6, vcc_lo
	s_delay_alu instid0(VALU_DEP_2) | instskip(NEXT) | instid1(VALU_DEP_2)
	v_cmp_gt_f32_e32 vcc_lo, v11, v10
	v_cndmask_b32_e64 v19, v19, 7, vcc_lo
	v_cndmask_b32_e32 v10, v10, v11, vcc_lo
	s_delay_alu instid0(VALU_DEP_2) | instskip(NEXT) | instid1(VALU_DEP_2)
	v_cmp_ne_u32_e64 s1, 7, v19
	v_sub_f32_e32 v10, v10, v7
	v_cmp_le_i32_e32 vcc_lo, s5, v19
	v_cmp_gt_i32_e64 s0, s6, v19
	v_subrev_nc_u32_e32 v21, s5, v19
	v_cndmask_b32_e64 v11, 0xff800000, v11, s1
	v_cmp_ne_u32_e64 s1, 6, v19
	v_mul_f32_e32 v20, 0x3fb8aa3b, v10
	s_and_b32 s0, vcc_lo, s0
	s_delay_alu instid0(SALU_CYCLE_1) | instskip(NEXT) | instid1(VALU_DEP_2)
	s_and_b32 vcc_lo, s18, s0
	v_cndmask_b32_e64 v12, 0xff800000, v12, s1
	v_cmp_ne_u32_e64 s1, 5, v19
	v_rndne_f32_e32 v22, v20
	v_cndmask_b32_e32 v21, 8, v21, vcc_lo
	global_store_b32 v[2:3], v21, off
	global_store_b32 v[0:1], v9, off
	v_cndmask_b32_e64 v13, 0xff800000, v13, s1
	v_cmp_ne_u32_e64 s1, 4, v19
	v_add_co_u32 v0, vcc_lo, v0, 4
	v_add_co_ci_u32_e32 v1, vcc_lo, 0, v1, vcc_lo
	s_delay_alu instid0(VALU_DEP_3) | instskip(SKIP_3) | instid1(VALU_DEP_3)
	v_cndmask_b32_e64 v14, 0xff800000, v14, s1
	v_cmp_ne_u32_e64 s1, 3, v19
	v_add_co_u32 v2, vcc_lo, v2, 4
	v_add_co_ci_u32_e32 v3, vcc_lo, 0, v3, vcc_lo
	v_cndmask_b32_e64 v15, 0xff800000, v15, s1
	v_cmp_ne_u32_e64 s1, 2, v19
	v_cmp_ngt_f32_e32 vcc_lo, 0xc2ce8ed0, v10
	v_add_nc_u32_e32 v9, s16, v9
	s_cmp_eq_u32 s8, 0
	s_delay_alu instid0(VALU_DEP_3) | instskip(SKIP_1) | instid1(VALU_DEP_1)
	v_cndmask_b32_e64 v16, 0xff800000, v16, s1
	v_cmp_ne_u32_e64 s1, 1, v19
	v_cndmask_b32_e64 v17, 0xff800000, v17, s1
	v_cmp_ne_u32_e64 s1, 0, v19
	v_fma_f32 v19, 0x3fb8aa3b, v10, -v20
	v_sub_f32_e32 v20, v20, v22
	v_cvt_i32_f32_e32 v22, v22
	s_delay_alu instid0(VALU_DEP_4) | instskip(NEXT) | instid1(VALU_DEP_4)
	v_cndmask_b32_e64 v18, 0xff800000, v18, s1
	v_fmac_f32_e32 v19, 0x32a5705f, v10
	s_delay_alu instid0(VALU_DEP_1) | instskip(NEXT) | instid1(VALU_DEP_1)
	v_add_f32_e32 v19, v20, v19
	v_exp_f32_e32 v19, v19
	s_waitcnt_depctr 0xfff
	v_ldexp_f32 v19, v19, v22
	s_delay_alu instid0(VALU_DEP_1) | instskip(SKIP_1) | instid1(VALU_DEP_2)
	v_cndmask_b32_e32 v19, 0, v19, vcc_lo
	v_cmp_nlt_f32_e32 vcc_lo, 0x42b17218, v10
	v_cndmask_b32_e32 v10, 0x7f800000, v19, vcc_lo
	global_store_b32 v[4:5], v10, off
	v_add_co_u32 v4, vcc_lo, v4, 4
	v_add_f32_e32 v8, v8, v10
	v_add_co_ci_u32_e32 v5, vcc_lo, 0, v5, vcc_lo
	s_cbranch_scc0 .LBB136_7
.LBB136_8:
	s_delay_alu instid0(VALU_DEP_2)
	v_cmp_neq_f32_e32 vcc_lo, 0, v8
	s_and_b32 exec_lo, exec_lo, vcc_lo
	s_cbranch_execnz .LBB136_10
	s_branch .LBB136_13
.LBB136_9:
	v_mov_b32_e32 v8, 0
	s_delay_alu instid0(VALU_DEP_1)
	v_cmp_neq_f32_e32 vcc_lo, 0, v8
	s_and_b32 exec_lo, exec_lo, vcc_lo
	s_cbranch_execz .LBB136_13
.LBB136_10:
	s_and_not1_b32 vcc_lo, exec_lo, s17
	s_cbranch_vccnz .LBB136_13
; %bb.11:
	v_div_scale_f32 v1, null, v8, v8, 1.0
	v_div_scale_f32 v3, vcc_lo, 1.0, v8, 1.0
	s_delay_alu instid0(VALU_DEP_2) | instskip(SKIP_2) | instid1(VALU_DEP_1)
	v_rcp_f32_e32 v2, v1
	s_waitcnt_depctr 0xfff
	v_fma_f32 v0, -v1, v2, 1.0
	v_fmac_f32_e32 v2, v0, v2
	v_mul_lo_u32 v0, v6, s7
	s_delay_alu instid0(VALU_DEP_2) | instskip(NEXT) | instid1(VALU_DEP_1)
	v_mul_f32_e32 v4, v3, v2
	v_fma_f32 v5, -v1, v4, v3
	s_delay_alu instid0(VALU_DEP_1) | instskip(NEXT) | instid1(VALU_DEP_1)
	v_fmac_f32_e32 v4, v5, v2
	v_fma_f32 v3, -v1, v4, v3
	v_ashrrev_i32_e32 v1, 31, v0
	s_delay_alu instid0(VALU_DEP_2) | instskip(NEXT) | instid1(VALU_DEP_2)
	v_div_fmas_f32 v2, v3, v2, v4
	v_lshlrev_b64 v[0:1], 2, v[0:1]
	s_delay_alu instid0(VALU_DEP_2) | instskip(NEXT) | instid1(VALU_DEP_2)
	v_div_fixup_f32 v2, v2, v8, 1.0
	v_add_co_u32 v0, vcc_lo, s2, v0
	s_delay_alu instid0(VALU_DEP_3)
	v_add_co_ci_u32_e32 v1, vcc_lo, s3, v1, vcc_lo
.LBB136_12:                             ; =>This Inner Loop Header: Depth=1
	global_load_b32 v3, v[0:1], off
	s_add_i32 s4, s4, -1
	s_delay_alu instid0(SALU_CYCLE_1)
	s_cmp_lg_u32 s4, 0
	s_waitcnt vmcnt(0)
	v_mul_f32_e32 v3, v2, v3
	global_store_b32 v[0:1], v3, off
	v_add_co_u32 v0, vcc_lo, v0, 4
	v_add_co_ci_u32_e32 v1, vcc_lo, 0, v1, vcc_lo
	s_cbranch_scc1 .LBB136_12
.LBB136_13:
	s_nop 0
	s_sendmsg sendmsg(MSG_DEALLOC_VGPRS)
	s_endpgm
	.section	.rodata,"a",@progbits
	.p2align	6, 0x0
	.amdhsa_kernel _ZN4vllm3moe17topkGatingSoftmaxIDF16_Li8ELi8ELi8ELi16ELb1ELi0ELNS0_23SharedExpertScoringFuncE0EEEvPKT_PKbPfiPiS9_iiiiii
		.amdhsa_group_segment_fixed_size 0
		.amdhsa_private_segment_fixed_size 0
		.amdhsa_kernarg_size 72
		.amdhsa_user_sgpr_count 15
		.amdhsa_user_sgpr_dispatch_ptr 0
		.amdhsa_user_sgpr_queue_ptr 0
		.amdhsa_user_sgpr_kernarg_segment_ptr 1
		.amdhsa_user_sgpr_dispatch_id 0
		.amdhsa_user_sgpr_private_segment_size 0
		.amdhsa_wavefront_size32 1
		.amdhsa_uses_dynamic_stack 0
		.amdhsa_enable_private_segment 0
		.amdhsa_system_sgpr_workgroup_id_x 1
		.amdhsa_system_sgpr_workgroup_id_y 0
		.amdhsa_system_sgpr_workgroup_id_z 0
		.amdhsa_system_sgpr_workgroup_info 0
		.amdhsa_system_vgpr_workitem_id 1
		.amdhsa_next_free_vgpr 25
		.amdhsa_next_free_sgpr 20
		.amdhsa_reserve_vcc 1
		.amdhsa_float_round_mode_32 0
		.amdhsa_float_round_mode_16_64 0
		.amdhsa_float_denorm_mode_32 3
		.amdhsa_float_denorm_mode_16_64 3
		.amdhsa_dx10_clamp 1
		.amdhsa_ieee_mode 1
		.amdhsa_fp16_overflow 0
		.amdhsa_workgroup_processor_mode 1
		.amdhsa_memory_ordered 1
		.amdhsa_forward_progress 0
		.amdhsa_shared_vgpr_count 0
		.amdhsa_exception_fp_ieee_invalid_op 0
		.amdhsa_exception_fp_denorm_src 0
		.amdhsa_exception_fp_ieee_div_zero 0
		.amdhsa_exception_fp_ieee_overflow 0
		.amdhsa_exception_fp_ieee_underflow 0
		.amdhsa_exception_fp_ieee_inexact 0
		.amdhsa_exception_int_div_zero 0
	.end_amdhsa_kernel
	.section	.text._ZN4vllm3moe17topkGatingSoftmaxIDF16_Li8ELi8ELi8ELi16ELb1ELi0ELNS0_23SharedExpertScoringFuncE0EEEvPKT_PKbPfiPiS9_iiiiii,"axG",@progbits,_ZN4vllm3moe17topkGatingSoftmaxIDF16_Li8ELi8ELi8ELi16ELb1ELi0ELNS0_23SharedExpertScoringFuncE0EEEvPKT_PKbPfiPiS9_iiiiii,comdat
.Lfunc_end136:
	.size	_ZN4vllm3moe17topkGatingSoftmaxIDF16_Li8ELi8ELi8ELi16ELb1ELi0ELNS0_23SharedExpertScoringFuncE0EEEvPKT_PKbPfiPiS9_iiiiii, .Lfunc_end136-_ZN4vllm3moe17topkGatingSoftmaxIDF16_Li8ELi8ELi8ELi16ELb1ELi0ELNS0_23SharedExpertScoringFuncE0EEEvPKT_PKbPfiPiS9_iiiiii
                                        ; -- End function
	.section	.AMDGPU.csdata,"",@progbits
; Kernel info:
; codeLenInByte = 1684
; NumSgprs: 22
; NumVgprs: 25
; ScratchSize: 0
; MemoryBound: 0
; FloatMode: 240
; IeeeMode: 1
; LDSByteSize: 0 bytes/workgroup (compile time only)
; SGPRBlocks: 2
; VGPRBlocks: 3
; NumSGPRsForWavesPerEU: 22
; NumVGPRsForWavesPerEU: 25
; Occupancy: 16
; WaveLimiterHint : 0
; COMPUTE_PGM_RSRC2:SCRATCH_EN: 0
; COMPUTE_PGM_RSRC2:USER_SGPR: 15
; COMPUTE_PGM_RSRC2:TRAP_HANDLER: 0
; COMPUTE_PGM_RSRC2:TGID_X_EN: 1
; COMPUTE_PGM_RSRC2:TGID_Y_EN: 0
; COMPUTE_PGM_RSRC2:TGID_Z_EN: 0
; COMPUTE_PGM_RSRC2:TIDIG_COMP_CNT: 1
	.section	.text._ZN4vllm3moe17topkGatingSoftmaxIDF16_Li8ELi8ELi8ELi16ELb0ELi0ELNS0_23SharedExpertScoringFuncE0EEEvPKT_PKbPfiPiS9_iiiiii,"axG",@progbits,_ZN4vllm3moe17topkGatingSoftmaxIDF16_Li8ELi8ELi8ELi16ELb0ELi0ELNS0_23SharedExpertScoringFuncE0EEEvPKT_PKbPfiPiS9_iiiiii,comdat
	.protected	_ZN4vllm3moe17topkGatingSoftmaxIDF16_Li8ELi8ELi8ELi16ELb0ELi0ELNS0_23SharedExpertScoringFuncE0EEEvPKT_PKbPfiPiS9_iiiiii ; -- Begin function _ZN4vllm3moe17topkGatingSoftmaxIDF16_Li8ELi8ELi8ELi16ELb0ELi0ELNS0_23SharedExpertScoringFuncE0EEEvPKT_PKbPfiPiS9_iiiiii
	.globl	_ZN4vllm3moe17topkGatingSoftmaxIDF16_Li8ELi8ELi8ELi16ELb0ELi0ELNS0_23SharedExpertScoringFuncE0EEEvPKT_PKbPfiPiS9_iiiiii
	.p2align	8
	.type	_ZN4vllm3moe17topkGatingSoftmaxIDF16_Li8ELi8ELi8ELi16ELb0ELi0ELNS0_23SharedExpertScoringFuncE0EEEvPKT_PKbPfiPiS9_iiiiii,@function
_ZN4vllm3moe17topkGatingSoftmaxIDF16_Li8ELi8ELi8ELi16ELb0ELi0ELNS0_23SharedExpertScoringFuncE0EEEvPKT_PKbPfiPiS9_iiiiii: ; @_ZN4vllm3moe17topkGatingSoftmaxIDF16_Li8ELi8ELi8ELi16ELb0ELi0ELNS0_23SharedExpertScoringFuncE0EEEvPKT_PKbPfiPiS9_iiiiii
; %bb.0:
	s_load_b32 s16, s[0:1], 0x18
	v_bfe_u32 v1, v0, 10, 10
	v_and_b32_e32 v18, 0x3ff, v0
	s_lshl_b32 s18, s15, 8
	s_mov_b32 s2, exec_lo
	s_delay_alu instid0(VALU_DEP_2) | instskip(NEXT) | instid1(VALU_DEP_1)
	v_lshlrev_b32_e32 v17, 5, v1
	v_add3_u32 v6, v17, v18, s18
	s_waitcnt lgkmcnt(0)
	s_delay_alu instid0(VALU_DEP_1)
	v_cmpx_gt_i32_e64 s16, v6
	s_cbranch_execz .LBB137_13
; %bb.1:
	s_clause 0x1
	s_load_b128 s[4:7], s[0:1], 0x0
	s_load_b64 s[12:13], s[0:1], 0x10
	s_waitcnt lgkmcnt(0)
	s_cmp_eq_u64 s[6:7], 0
	s_cbranch_scc1 .LBB137_3
; %bb.2:
	v_ashrrev_i32_e32 v1, 31, v6
	v_add_co_u32 v0, vcc_lo, s6, v6
	s_delay_alu instid0(VALU_DEP_2) | instskip(SKIP_3) | instid1(VALU_DEP_1)
	v_add_co_ci_u32_e32 v1, vcc_lo, s7, v1, vcc_lo
	global_load_u8 v0, v[0:1], off
	s_waitcnt vmcnt(0)
	v_and_b32_e32 v0, 1, v0
	v_cmp_eq_u32_e32 vcc_lo, 1, v0
	s_xor_b32 s2, vcc_lo, -1
	s_delay_alu instid0(SALU_CYCLE_1)
	s_or_not1_b32 s17, s2, exec_lo
	s_branch .LBB137_4
.LBB137_3:
	s_mov_b32 s17, -1
.LBB137_4:
	s_clause 0x1
	s_load_b64 s[14:15], s[0:1], 0x40
	s_load_b128 s[8:11], s[0:1], 0x30
	s_waitcnt lgkmcnt(0)
	v_mul_lo_u32 v0, v6, s15
	s_cmp_gt_i32 s8, 0
	s_cselect_b32 s15, -1, 0
	s_cmp_lt_i32 s8, 1
	s_delay_alu instid0(VALU_DEP_1) | instskip(NEXT) | instid1(VALU_DEP_1)
	v_ashrrev_i32_e32 v1, 31, v0
	v_lshlrev_b64 v[0:1], 1, v[0:1]
	s_delay_alu instid0(VALU_DEP_1) | instskip(NEXT) | instid1(VALU_DEP_2)
	v_add_co_u32 v0, vcc_lo, s4, v0
	v_add_co_ci_u32_e32 v1, vcc_lo, s5, v1, vcc_lo
	global_load_b128 v[0:3], v[0:1], off
	s_waitcnt vmcnt(0)
	v_lshrrev_b32_e32 v4, 16, v0
	v_cvt_f32_f16_e32 v16, v0
	v_cvt_f32_f16_e32 v14, v1
	v_lshrrev_b32_e32 v1, 16, v1
	v_cvt_f32_f16_e32 v11, v2
	v_cvt_f32_f16_e32 v15, v4
	v_cmp_lt_f16_e64 s7, v0, v4
	v_cvt_f32_f16_e32 v9, v3
	v_cvt_f32_f16_e32 v13, v1
	v_lshrrev_b32_e32 v1, 16, v2
	s_delay_alu instid0(VALU_DEP_4) | instskip(NEXT) | instid1(VALU_DEP_2)
	v_cndmask_b32_e64 v0, v16, v15, s7
	v_cvt_f32_f16_e32 v10, v1
	v_lshrrev_b32_e32 v1, 16, v3
	s_delay_alu instid0(VALU_DEP_3) | instskip(NEXT) | instid1(VALU_DEP_2)
	v_cmp_lt_f32_e64 s3, v0, v14
	v_cvt_f32_f16_e32 v7, v1
	s_delay_alu instid0(VALU_DEP_2) | instskip(NEXT) | instid1(VALU_DEP_1)
	v_cndmask_b32_e64 v0, v0, v14, s3
	v_cmp_lt_f32_e64 s5, v0, v13
	s_delay_alu instid0(VALU_DEP_1) | instskip(NEXT) | instid1(VALU_DEP_1)
	v_cndmask_b32_e64 v0, v0, v13, s5
	v_cmp_lt_f32_e64 s6, v0, v11
	s_delay_alu instid0(VALU_DEP_1) | instskip(NEXT) | instid1(VALU_DEP_1)
	;; [unrolled: 3-line block ×4, first 2 shown]
	v_cndmask_b32_e64 v0, v0, v9, s2
	v_cmp_lt_f32_e32 vcc_lo, v0, v7
	v_cndmask_b32_e32 v8, v0, v7, vcc_lo
	s_cbranch_scc1 .LBB137_8
; %bb.5:
	v_cndmask_b32_e64 v0, 0, 1, s7
	s_delay_alu instid0(VALU_DEP_2) | instskip(SKIP_1) | instid1(VALU_DEP_3)
	v_sub_f32_e32 v12, v8, v8
	v_mul_lo_u32 v2, v6, s14
	v_cndmask_b32_e64 v0, v0, 2, s3
	s_delay_alu instid0(VALU_DEP_3) | instskip(NEXT) | instid1(VALU_DEP_2)
	v_mul_f32_e32 v1, 0x3fb8aa3b, v12
	v_cndmask_b32_e64 v0, v0, 3, s5
	s_delay_alu instid0(VALU_DEP_2) | instskip(SKIP_1) | instid1(VALU_DEP_3)
	v_rndne_f32_e32 v21, v1
	v_fma_f32 v3, 0x3fb8aa3b, v12, -v1
	v_cndmask_b32_e64 v4, v0, 4, s6
	s_delay_alu instid0(VALU_DEP_3) | instskip(NEXT) | instid1(VALU_DEP_3)
	v_sub_f32_e32 v1, v1, v21
	v_fmac_f32_e32 v3, 0x32a5705f, v12
	v_mul_lo_u32 v0, v6, s11
	v_cvt_i32_f32_e32 v21, v21
	v_cndmask_b32_e64 v5, v4, 5, s4
	s_load_b128 s[4:7], s[0:1], 0x20
	v_add_f32_e32 v3, v1, v3
	v_mul_lo_u32 v4, v6, s8
	s_delay_alu instid0(VALU_DEP_3) | instskip(SKIP_1) | instid1(VALU_DEP_4)
	v_cndmask_b32_e64 v19, v5, 6, s2
	v_ashrrev_i32_e32 v1, 31, v0
	v_exp_f32_e32 v22, v3
	v_ashrrev_i32_e32 v3, 31, v2
	s_delay_alu instid0(VALU_DEP_3) | instskip(NEXT) | instid1(VALU_DEP_3)
	v_cndmask_b32_e64 v23, v19, 7, vcc_lo
	v_lshlrev_b64 v[19:20], 2, v[0:1]
	v_ashrrev_i32_e32 v5, 31, v4
	s_delay_alu instid0(VALU_DEP_4) | instskip(NEXT) | instid1(VALU_DEP_4)
	v_lshlrev_b64 v[0:1], 2, v[2:3]
	v_cmp_le_i32_e32 vcc_lo, s9, v23
	v_cmp_gt_i32_e64 s0, s10, v23
	s_delay_alu instid0(TRANS32_DEP_1) | instskip(SKIP_2) | instid1(VALU_DEP_4)
	v_ldexp_f32 v21, v22, v21
	v_lshlrev_b64 v[2:3], 2, v[4:5]
	v_add_co_u32 v4, s1, s12, v19
	s_and_b32 s0, vcc_lo, s0
	v_cmp_ngt_f32_e32 vcc_lo, 0xc2ce8ed0, v12
	v_subrev_nc_u32_e32 v22, s9, v23
	v_add_co_ci_u32_e64 v5, s1, s13, v20, s1
	v_cndmask_b32_e32 v21, 0, v21, vcc_lo
	s_waitcnt lgkmcnt(0)
	v_add_co_u32 v19, vcc_lo, s4, v0
	v_add_co_ci_u32_e32 v20, vcc_lo, s5, v1, vcc_lo
	s_and_b32 vcc_lo, s17, s0
	s_cmp_eq_u32 s8, 1
	v_cndmask_b32_e32 v24, 8, v22, vcc_lo
	v_cmp_nlt_f32_e32 vcc_lo, 0x42b17218, v12
	v_cndmask_b32_e32 v12, 0x7f800000, v21, vcc_lo
	v_add_co_u32 v21, vcc_lo, s6, v2
	v_add_co_ci_u32_e32 v22, vcc_lo, s7, v3, vcc_lo
	v_cmp_ne_u32_e32 vcc_lo, 7, v23
	global_store_b32 v[4:5], v12, off
	global_store_b32 v[19:20], v24, off
	;; [unrolled: 1-line block ×3, first 2 shown]
	v_cndmask_b32_e32 v7, 0xff800000, v7, vcc_lo
	v_cmp_ne_u32_e32 vcc_lo, 6, v23
	v_cndmask_b32_e32 v9, 0xff800000, v9, vcc_lo
	v_cmp_ne_u32_e32 vcc_lo, 5, v23
	;; [unrolled: 2-line block ×7, first 2 shown]
	v_cndmask_b32_e32 v16, 0xff800000, v16, vcc_lo
	s_cbranch_scc1 .LBB137_9
; %bb.6:
	v_add_co_u32 v2, vcc_lo, v2, s6
	v_add_co_ci_u32_e32 v3, vcc_lo, s7, v3, vcc_lo
	v_add_co_u32 v19, vcc_lo, v0, s4
	v_add_co_ci_u32_e32 v20, vcc_lo, s5, v1, vcc_lo
	s_delay_alu instid0(VALU_DEP_4) | instskip(NEXT) | instid1(VALU_DEP_4)
	v_add_co_u32 v0, vcc_lo, v2, 4
	v_add_co_ci_u32_e32 v1, vcc_lo, 0, v3, vcc_lo
	s_delay_alu instid0(VALU_DEP_4) | instskip(NEXT) | instid1(VALU_DEP_4)
	v_add_co_u32 v2, vcc_lo, v19, 4
	v_add_co_ci_u32_e32 v3, vcc_lo, 0, v20, vcc_lo
	s_add_i32 s18, s18, s16
	v_add_co_u32 v4, vcc_lo, v4, 4
	v_add_co_ci_u32_e32 v5, vcc_lo, 0, v5, vcc_lo
	v_add3_u32 v17, s18, v18, v17
	s_add_i32 s2, s8, -1
.LBB137_7:                              ; =>This Inner Loop Header: Depth=1
	v_cmp_gt_f32_e32 vcc_lo, v15, v16
	s_add_i32 s2, s2, -1
	v_cndmask_b32_e32 v18, v16, v15, vcc_lo
	v_cndmask_b32_e64 v19, 0, 1, vcc_lo
	s_delay_alu instid0(VALU_DEP_2) | instskip(SKIP_1) | instid1(VALU_DEP_3)
	v_cmp_gt_f32_e32 vcc_lo, v14, v18
	v_cndmask_b32_e32 v18, v18, v14, vcc_lo
	v_cndmask_b32_e64 v19, v19, 2, vcc_lo
	s_delay_alu instid0(VALU_DEP_2) | instskip(SKIP_1) | instid1(VALU_DEP_3)
	v_cmp_gt_f32_e32 vcc_lo, v13, v18
	v_cndmask_b32_e32 v18, v18, v13, vcc_lo
	v_cndmask_b32_e64 v19, v19, 3, vcc_lo
	s_delay_alu instid0(VALU_DEP_2) | instskip(SKIP_1) | instid1(VALU_DEP_3)
	v_cmp_gt_f32_e32 vcc_lo, v11, v18
	v_cndmask_b32_e32 v18, v18, v11, vcc_lo
	v_cndmask_b32_e64 v19, v19, 4, vcc_lo
	s_delay_alu instid0(VALU_DEP_2) | instskip(SKIP_1) | instid1(VALU_DEP_3)
	v_cmp_gt_f32_e32 vcc_lo, v10, v18
	v_cndmask_b32_e32 v18, v18, v10, vcc_lo
	v_cndmask_b32_e64 v19, v19, 5, vcc_lo
	s_delay_alu instid0(VALU_DEP_2) | instskip(SKIP_1) | instid1(VALU_DEP_3)
	v_cmp_gt_f32_e32 vcc_lo, v9, v18
	v_cndmask_b32_e32 v18, v18, v9, vcc_lo
	v_cndmask_b32_e64 v19, v19, 6, vcc_lo
	s_delay_alu instid0(VALU_DEP_2) | instskip(NEXT) | instid1(VALU_DEP_2)
	v_cmp_gt_f32_e32 vcc_lo, v7, v18
	v_cndmask_b32_e64 v19, v19, 7, vcc_lo
	v_cndmask_b32_e32 v18, v18, v7, vcc_lo
	s_delay_alu instid0(VALU_DEP_2) | instskip(NEXT) | instid1(VALU_DEP_2)
	v_cmp_ne_u32_e64 s1, 7, v19
	v_sub_f32_e32 v18, v18, v8
	v_cmp_le_i32_e32 vcc_lo, s9, v19
	v_cmp_gt_i32_e64 s0, s10, v19
	v_subrev_nc_u32_e32 v21, s9, v19
	v_cndmask_b32_e64 v7, 0xff800000, v7, s1
	v_cmp_ne_u32_e64 s1, 6, v19
	v_mul_f32_e32 v20, 0x3fb8aa3b, v18
	s_and_b32 s0, vcc_lo, s0
	s_delay_alu instid0(SALU_CYCLE_1) | instskip(NEXT) | instid1(VALU_DEP_2)
	s_and_b32 vcc_lo, s17, s0
	v_cndmask_b32_e64 v9, 0xff800000, v9, s1
	v_cmp_ne_u32_e64 s1, 5, v19
	v_rndne_f32_e32 v22, v20
	v_cndmask_b32_e32 v21, 8, v21, vcc_lo
	global_store_b32 v[2:3], v21, off
	global_store_b32 v[0:1], v17, off
	v_add_nc_u32_e32 v17, s16, v17
	v_cndmask_b32_e64 v10, 0xff800000, v10, s1
	v_cmp_ne_u32_e64 s1, 4, v19
	v_add_co_u32 v0, vcc_lo, v0, 4
	v_add_co_ci_u32_e32 v1, vcc_lo, 0, v1, vcc_lo
	s_delay_alu instid0(VALU_DEP_3) | instskip(SKIP_3) | instid1(VALU_DEP_3)
	v_cndmask_b32_e64 v11, 0xff800000, v11, s1
	v_cmp_ne_u32_e64 s1, 3, v19
	v_add_co_u32 v2, vcc_lo, v2, 4
	v_add_co_ci_u32_e32 v3, vcc_lo, 0, v3, vcc_lo
	v_cndmask_b32_e64 v13, 0xff800000, v13, s1
	v_cmp_ne_u32_e64 s1, 2, v19
	v_cmp_ngt_f32_e32 vcc_lo, 0xc2ce8ed0, v18
	s_cmp_eq_u32 s2, 0
	s_delay_alu instid0(VALU_DEP_2) | instskip(SKIP_1) | instid1(VALU_DEP_1)
	v_cndmask_b32_e64 v14, 0xff800000, v14, s1
	v_cmp_ne_u32_e64 s1, 1, v19
	v_cndmask_b32_e64 v15, 0xff800000, v15, s1
	v_cmp_ne_u32_e64 s1, 0, v19
	v_fma_f32 v19, 0x3fb8aa3b, v18, -v20
	v_sub_f32_e32 v20, v20, v22
	v_cvt_i32_f32_e32 v22, v22
	s_delay_alu instid0(VALU_DEP_4) | instskip(NEXT) | instid1(VALU_DEP_4)
	v_cndmask_b32_e64 v16, 0xff800000, v16, s1
	v_fmac_f32_e32 v19, 0x32a5705f, v18
	s_delay_alu instid0(VALU_DEP_1) | instskip(NEXT) | instid1(VALU_DEP_1)
	v_add_f32_e32 v19, v20, v19
	v_exp_f32_e32 v19, v19
	s_waitcnt_depctr 0xfff
	v_ldexp_f32 v19, v19, v22
	s_delay_alu instid0(VALU_DEP_1) | instskip(SKIP_1) | instid1(VALU_DEP_2)
	v_cndmask_b32_e32 v19, 0, v19, vcc_lo
	v_cmp_nlt_f32_e32 vcc_lo, 0x42b17218, v18
	v_cndmask_b32_e32 v18, 0x7f800000, v19, vcc_lo
	global_store_b32 v[4:5], v18, off
	v_add_co_u32 v4, vcc_lo, v4, 4
	v_add_f32_e32 v12, v12, v18
	v_add_co_ci_u32_e32 v5, vcc_lo, 0, v5, vcc_lo
	s_cbranch_scc0 .LBB137_7
	s_branch .LBB137_9
.LBB137_8:
	v_mov_b32_e32 v12, 0
.LBB137_9:
	s_delay_alu instid0(VALU_DEP_2) | instskip(SKIP_3) | instid1(VALU_DEP_4)
	v_sub_f32_e32 v3, v13, v8
	v_sub_f32_e32 v1, v15, v8
	;; [unrolled: 1-line block ×4, first 2 shown]
	v_dual_sub_f32 v9, v9, v8 :: v_dual_mul_f32 v14, 0x3fb8aa3b, v3
	s_delay_alu instid0(VALU_DEP_4) | instskip(NEXT) | instid1(VALU_DEP_2)
	v_dual_sub_f32 v0, v16, v8 :: v_dual_mul_f32 v5, 0x3fb8aa3b, v1
	v_rndne_f32_e32 v22, v14
	s_delay_alu instid0(VALU_DEP_2) | instskip(NEXT) | instid1(VALU_DEP_3)
	v_cmp_ngt_f32_e32 vcc_lo, 0xc2ce8ed0, v0
	v_fma_f32 v17, 0x3fb8aa3b, v1, -v5
	v_rndne_f32_e32 v18, v5
	s_delay_alu instid0(VALU_DEP_2) | instskip(SKIP_1) | instid1(VALU_DEP_3)
	v_fmac_f32_e32 v17, 0x32a5705f, v1
	v_dual_mul_f32 v4, 0x3fb8aa3b, v0 :: v_dual_mul_f32 v13, 0x3fb8aa3b, v2
	v_sub_f32_e32 v5, v5, v18
	s_delay_alu instid0(VALU_DEP_2) | instskip(SKIP_1) | instid1(VALU_DEP_4)
	v_fma_f32 v15, 0x3fb8aa3b, v0, -v4
	v_rndne_f32_e32 v16, v4
	v_fma_f32 v19, 0x3fb8aa3b, v2, -v13
	v_rndne_f32_e32 v20, v13
	s_delay_alu instid0(VALU_DEP_4) | instskip(NEXT) | instid1(VALU_DEP_4)
	v_fmac_f32_e32 v15, 0x32a5705f, v0
	v_sub_f32_e32 v4, v4, v16
	s_delay_alu instid0(VALU_DEP_1)
	v_add_f32_e32 v4, v4, v15
	v_cvt_i32_f32_e32 v15, v16
	v_cvt_i32_f32_e32 v16, v18
	v_fma_f32 v21, 0x3fb8aa3b, v3, -v14
	v_sub_f32_e32 v14, v14, v22
	v_exp_f32_e32 v4, v4
	s_waitcnt_depctr 0xfff
	v_ldexp_f32 v4, v4, v15
	v_add_f32_e32 v5, v5, v17
	v_cvt_i32_f32_e32 v15, v20
	s_delay_alu instid0(VALU_DEP_3) | instskip(NEXT) | instid1(VALU_DEP_3)
	v_cndmask_b32_e32 v4, 0, v4, vcc_lo
	v_exp_f32_e32 v5, v5
	v_cmp_ngt_f32_e32 vcc_lo, 0xc2ce8ed0, v1
	s_waitcnt_depctr 0xfff
	v_ldexp_f32 v5, v5, v16
	s_delay_alu instid0(VALU_DEP_1) | instskip(SKIP_3) | instid1(VALU_DEP_4)
	v_cndmask_b32_e32 v5, 0, v5, vcc_lo
	v_cmp_nlt_f32_e32 vcc_lo, 0x42b17218, v0
	v_cndmask_b32_e32 v0, 0x7f800000, v4, vcc_lo
	v_cmp_nlt_f32_e32 vcc_lo, 0x42b17218, v1
	v_cndmask_b32_e32 v1, 0x7f800000, v5, vcc_lo
	v_sub_f32_e32 v13, v13, v20
	v_cmp_ngt_f32_e32 vcc_lo, 0xc2ce8ed0, v2
	v_fmac_f32_e32 v21, 0x32a5705f, v3
	s_delay_alu instid0(VALU_DEP_4) | instskip(SKIP_2) | instid1(VALU_DEP_3)
	v_dual_fmac_f32 v19, 0x32a5705f, v2 :: v_dual_add_f32 v0, v0, v1
	v_sub_f32_e32 v5, v11, v8
	v_cvt_i32_f32_e32 v11, v22
	v_dual_add_f32 v14, v14, v21 :: v_dual_add_f32 v13, v13, v19
	s_delay_alu instid0(VALU_DEP_1) | instskip(NEXT) | instid1(VALU_DEP_1)
	v_exp_f32_e32 v14, v14
	v_exp_f32_e32 v13, v13
	s_waitcnt_depctr 0xfff
	v_ldexp_f32 v13, v13, v15
	s_delay_alu instid0(VALU_DEP_1) | instskip(SKIP_1) | instid1(VALU_DEP_2)
	v_cndmask_b32_e32 v4, 0, v13, vcc_lo
	v_cmp_nlt_f32_e32 vcc_lo, 0x42b17218, v2
	v_cndmask_b32_e32 v1, 0x7f800000, v4, vcc_lo
	v_ldexp_f32 v4, v14, v11
	v_cmp_ngt_f32_e32 vcc_lo, 0xc2ce8ed0, v3
	s_delay_alu instid0(VALU_DEP_3) | instskip(SKIP_1) | instid1(VALU_DEP_4)
	v_add_f32_e32 v0, v0, v1
	v_mul_f32_e32 v2, 0x3fb8aa3b, v5
	v_cndmask_b32_e32 v4, 0, v4, vcc_lo
	v_cmp_nlt_f32_e32 vcc_lo, 0x42b17218, v3
	s_delay_alu instid0(VALU_DEP_3) | instskip(SKIP_1) | instid1(VALU_DEP_4)
	v_fma_f32 v1, 0x3fb8aa3b, v5, -v2
	v_rndne_f32_e32 v11, v2
	v_cndmask_b32_e32 v3, 0x7f800000, v4, vcc_lo
	v_mul_f32_e32 v4, 0x3fb8aa3b, v10
	v_cmp_ngt_f32_e32 vcc_lo, 0xc2ce8ed0, v5
	s_delay_alu instid0(VALU_DEP_4) | instskip(NEXT) | instid1(VALU_DEP_4)
	v_dual_fmac_f32 v1, 0x32a5705f, v5 :: v_dual_sub_f32 v2, v2, v11
	v_add_f32_e32 v0, v0, v3
	s_delay_alu instid0(VALU_DEP_4)
	v_rndne_f32_e32 v3, v4
	v_mul_f32_e32 v13, 0x3fb8aa3b, v9
	v_cvt_i32_f32_e32 v11, v11
	v_add_f32_e32 v1, v2, v1
	v_fma_f32 v2, 0x3fb8aa3b, v10, -v4
	v_dual_sub_f32 v4, v4, v3 :: v_dual_sub_f32 v7, v7, v8
	v_fma_f32 v8, 0x3fb8aa3b, v9, -v13
	s_delay_alu instid0(VALU_DEP_4) | instskip(NEXT) | instid1(VALU_DEP_3)
	v_exp_f32_e32 v1, v1
	v_fmac_f32_e32 v2, 0x32a5705f, v10
	v_rndne_f32_e32 v14, v13
	v_mul_f32_e32 v15, 0x3fb8aa3b, v7
	v_cvt_i32_f32_e32 v3, v3
	s_delay_alu instid0(VALU_DEP_4) | instskip(NEXT) | instid1(VALU_DEP_4)
	v_add_f32_e32 v2, v4, v2
	v_sub_f32_e32 v4, v13, v14
	s_delay_alu instid0(VALU_DEP_4) | instskip(SKIP_1) | instid1(TRANS32_DEP_1)
	v_fma_f32 v13, 0x3fb8aa3b, v7, -v15
	v_fmac_f32_e32 v8, 0x32a5705f, v9
	v_ldexp_f32 v1, v1, v11
	v_exp_f32_e32 v2, v2
	v_rndne_f32_e32 v16, v15
	s_delay_alu instid0(VALU_DEP_3) | instskip(NEXT) | instid1(VALU_DEP_3)
	v_dual_fmac_f32 v13, 0x32a5705f, v7 :: v_dual_add_f32 v4, v4, v8
	v_cndmask_b32_e32 v1, 0, v1, vcc_lo
	v_cmp_nlt_f32_e32 vcc_lo, 0x42b17218, v5
	s_delay_alu instid0(VALU_DEP_4) | instskip(NEXT) | instid1(VALU_DEP_4)
	v_sub_f32_e32 v8, v15, v16
	v_exp_f32_e32 v4, v4
	s_delay_alu instid0(VALU_DEP_3) | instskip(NEXT) | instid1(TRANS32_DEP_2)
	v_cndmask_b32_e32 v1, 0x7f800000, v1, vcc_lo
	v_ldexp_f32 v2, v2, v3
	v_cvt_i32_f32_e32 v3, v14
	v_cmp_ngt_f32_e32 vcc_lo, 0xc2ce8ed0, v10
	v_add_f32_e32 v8, v8, v13
	v_add_f32_e32 v0, v0, v1
	s_delay_alu instid0(TRANS32_DEP_1) | instid1(VALU_DEP_4)
	v_ldexp_f32 v1, v4, v3
	v_cndmask_b32_e32 v2, 0, v2, vcc_lo
	v_cmp_nlt_f32_e32 vcc_lo, 0x42b17218, v10
	v_exp_f32_e32 v5, v8
	v_cvt_i32_f32_e32 v3, v16
	s_delay_alu instid0(VALU_DEP_3)
	v_cndmask_b32_e32 v2, 0x7f800000, v2, vcc_lo
	v_cmp_ngt_f32_e32 vcc_lo, 0xc2ce8ed0, v9
	v_cndmask_b32_e32 v1, 0, v1, vcc_lo
	v_cmp_nlt_f32_e32 vcc_lo, 0x42b17218, v9
	s_waitcnt_depctr 0xfff
	v_ldexp_f32 v3, v5, v3
	v_dual_add_f32 v0, v0, v2 :: v_dual_cndmask_b32 v1, 0x7f800000, v1
	v_cmp_ngt_f32_e32 vcc_lo, 0xc2ce8ed0, v7
	s_delay_alu instid0(VALU_DEP_2) | instskip(NEXT) | instid1(VALU_DEP_4)
	v_add_f32_e32 v0, v0, v1
	v_cndmask_b32_e32 v2, 0, v3, vcc_lo
	v_cmp_nlt_f32_e32 vcc_lo, 0x42b17218, v7
	s_delay_alu instid0(VALU_DEP_2) | instskip(NEXT) | instid1(VALU_DEP_1)
	v_cndmask_b32_e32 v1, 0x7f800000, v2, vcc_lo
	v_add_f32_e32 v0, v0, v1
	s_delay_alu instid0(VALU_DEP_1) | instskip(NEXT) | instid1(VALU_DEP_1)
	v_add_f32_e32 v0, v12, v0
	v_cmp_neq_f32_e32 vcc_lo, 0, v0
	s_and_b32 exec_lo, exec_lo, vcc_lo
	s_cbranch_execz .LBB137_13
; %bb.10:
	s_and_not1_b32 vcc_lo, exec_lo, s15
	s_cbranch_vccnz .LBB137_13
; %bb.11:
	v_div_scale_f32 v2, null, v0, v0, 1.0
	v_div_scale_f32 v4, vcc_lo, 1.0, v0, 1.0
	s_delay_alu instid0(VALU_DEP_2) | instskip(SKIP_2) | instid1(VALU_DEP_1)
	v_rcp_f32_e32 v3, v2
	s_waitcnt_depctr 0xfff
	v_fma_f32 v1, -v2, v3, 1.0
	v_fmac_f32_e32 v3, v1, v3
	v_mul_lo_u32 v1, v6, s11
	s_delay_alu instid0(VALU_DEP_2) | instskip(NEXT) | instid1(VALU_DEP_1)
	v_mul_f32_e32 v5, v4, v3
	v_fma_f32 v7, -v2, v5, v4
	s_delay_alu instid0(VALU_DEP_1) | instskip(NEXT) | instid1(VALU_DEP_1)
	v_fmac_f32_e32 v5, v7, v3
	v_fma_f32 v4, -v2, v5, v4
	v_ashrrev_i32_e32 v2, 31, v1
	s_delay_alu instid0(VALU_DEP_2) | instskip(NEXT) | instid1(VALU_DEP_2)
	v_div_fmas_f32 v5, v4, v3, v5
	v_lshlrev_b64 v[3:4], 2, v[1:2]
	s_delay_alu instid0(VALU_DEP_2) | instskip(NEXT) | instid1(VALU_DEP_2)
	v_div_fixup_f32 v2, v5, v0, 1.0
	v_add_co_u32 v0, vcc_lo, s12, v3
	s_delay_alu instid0(VALU_DEP_3)
	v_add_co_ci_u32_e32 v1, vcc_lo, s13, v4, vcc_lo
.LBB137_12:                             ; =>This Inner Loop Header: Depth=1
	global_load_b32 v3, v[0:1], off
	s_add_i32 s8, s8, -1
	s_delay_alu instid0(SALU_CYCLE_1)
	s_cmp_lg_u32 s8, 0
	s_waitcnt vmcnt(0)
	v_mul_f32_e32 v3, v2, v3
	global_store_b32 v[0:1], v3, off
	v_add_co_u32 v0, vcc_lo, v0, 4
	v_add_co_ci_u32_e32 v1, vcc_lo, 0, v1, vcc_lo
	s_cbranch_scc1 .LBB137_12
.LBB137_13:
	s_nop 0
	s_sendmsg sendmsg(MSG_DEALLOC_VGPRS)
	s_endpgm
	.section	.rodata,"a",@progbits
	.p2align	6, 0x0
	.amdhsa_kernel _ZN4vllm3moe17topkGatingSoftmaxIDF16_Li8ELi8ELi8ELi16ELb0ELi0ELNS0_23SharedExpertScoringFuncE0EEEvPKT_PKbPfiPiS9_iiiiii
		.amdhsa_group_segment_fixed_size 0
		.amdhsa_private_segment_fixed_size 0
		.amdhsa_kernarg_size 72
		.amdhsa_user_sgpr_count 15
		.amdhsa_user_sgpr_dispatch_ptr 0
		.amdhsa_user_sgpr_queue_ptr 0
		.amdhsa_user_sgpr_kernarg_segment_ptr 1
		.amdhsa_user_sgpr_dispatch_id 0
		.amdhsa_user_sgpr_private_segment_size 0
		.amdhsa_wavefront_size32 1
		.amdhsa_uses_dynamic_stack 0
		.amdhsa_enable_private_segment 0
		.amdhsa_system_sgpr_workgroup_id_x 1
		.amdhsa_system_sgpr_workgroup_id_y 0
		.amdhsa_system_sgpr_workgroup_id_z 0
		.amdhsa_system_sgpr_workgroup_info 0
		.amdhsa_system_vgpr_workitem_id 1
		.amdhsa_next_free_vgpr 25
		.amdhsa_next_free_sgpr 19
		.amdhsa_reserve_vcc 1
		.amdhsa_float_round_mode_32 0
		.amdhsa_float_round_mode_16_64 0
		.amdhsa_float_denorm_mode_32 3
		.amdhsa_float_denorm_mode_16_64 3
		.amdhsa_dx10_clamp 1
		.amdhsa_ieee_mode 1
		.amdhsa_fp16_overflow 0
		.amdhsa_workgroup_processor_mode 1
		.amdhsa_memory_ordered 1
		.amdhsa_forward_progress 0
		.amdhsa_shared_vgpr_count 0
		.amdhsa_exception_fp_ieee_invalid_op 0
		.amdhsa_exception_fp_denorm_src 0
		.amdhsa_exception_fp_ieee_div_zero 0
		.amdhsa_exception_fp_ieee_overflow 0
		.amdhsa_exception_fp_ieee_underflow 0
		.amdhsa_exception_fp_ieee_inexact 0
		.amdhsa_exception_int_div_zero 0
	.end_amdhsa_kernel
	.section	.text._ZN4vllm3moe17topkGatingSoftmaxIDF16_Li8ELi8ELi8ELi16ELb0ELi0ELNS0_23SharedExpertScoringFuncE0EEEvPKT_PKbPfiPiS9_iiiiii,"axG",@progbits,_ZN4vllm3moe17topkGatingSoftmaxIDF16_Li8ELi8ELi8ELi16ELb0ELi0ELNS0_23SharedExpertScoringFuncE0EEEvPKT_PKbPfiPiS9_iiiiii,comdat
.Lfunc_end137:
	.size	_ZN4vllm3moe17topkGatingSoftmaxIDF16_Li8ELi8ELi8ELi16ELb0ELi0ELNS0_23SharedExpertScoringFuncE0EEEvPKT_PKbPfiPiS9_iiiiii, .Lfunc_end137-_ZN4vllm3moe17topkGatingSoftmaxIDF16_Li8ELi8ELi8ELi16ELb0ELi0ELNS0_23SharedExpertScoringFuncE0EEEvPKT_PKbPfiPiS9_iiiiii
                                        ; -- End function
	.section	.AMDGPU.csdata,"",@progbits
; Kernel info:
; codeLenInByte = 2564
; NumSgprs: 21
; NumVgprs: 25
; ScratchSize: 0
; MemoryBound: 0
; FloatMode: 240
; IeeeMode: 1
; LDSByteSize: 0 bytes/workgroup (compile time only)
; SGPRBlocks: 2
; VGPRBlocks: 3
; NumSGPRsForWavesPerEU: 21
; NumVGPRsForWavesPerEU: 25
; Occupancy: 16
; WaveLimiterHint : 0
; COMPUTE_PGM_RSRC2:SCRATCH_EN: 0
; COMPUTE_PGM_RSRC2:USER_SGPR: 15
; COMPUTE_PGM_RSRC2:TRAP_HANDLER: 0
; COMPUTE_PGM_RSRC2:TGID_X_EN: 1
; COMPUTE_PGM_RSRC2:TGID_Y_EN: 0
; COMPUTE_PGM_RSRC2:TGID_Z_EN: 0
; COMPUTE_PGM_RSRC2:TIDIG_COMP_CNT: 1
	.section	.text._ZN4vllm3moe17topkGatingSoftmaxIDF16_Li8ELi8ELi8ELi16ELb1ELi1ELNS0_23SharedExpertScoringFuncE1EEEvPKT_PKbPfiPiS9_iiiiii,"axG",@progbits,_ZN4vllm3moe17topkGatingSoftmaxIDF16_Li8ELi8ELi8ELi16ELb1ELi1ELNS0_23SharedExpertScoringFuncE1EEEvPKT_PKbPfiPiS9_iiiiii,comdat
	.protected	_ZN4vllm3moe17topkGatingSoftmaxIDF16_Li8ELi8ELi8ELi16ELb1ELi1ELNS0_23SharedExpertScoringFuncE1EEEvPKT_PKbPfiPiS9_iiiiii ; -- Begin function _ZN4vllm3moe17topkGatingSoftmaxIDF16_Li8ELi8ELi8ELi16ELb1ELi1ELNS0_23SharedExpertScoringFuncE1EEEvPKT_PKbPfiPiS9_iiiiii
	.globl	_ZN4vllm3moe17topkGatingSoftmaxIDF16_Li8ELi8ELi8ELi16ELb1ELi1ELNS0_23SharedExpertScoringFuncE1EEEvPKT_PKbPfiPiS9_iiiiii
	.p2align	8
	.type	_ZN4vllm3moe17topkGatingSoftmaxIDF16_Li8ELi8ELi8ELi16ELb1ELi1ELNS0_23SharedExpertScoringFuncE1EEEvPKT_PKbPfiPiS9_iiiiii,@function
_ZN4vllm3moe17topkGatingSoftmaxIDF16_Li8ELi8ELi8ELi16ELb1ELi1ELNS0_23SharedExpertScoringFuncE1EEEvPKT_PKbPfiPiS9_iiiiii: ; @_ZN4vllm3moe17topkGatingSoftmaxIDF16_Li8ELi8ELi8ELi16ELb1ELi1ELNS0_23SharedExpertScoringFuncE1EEEvPKT_PKbPfiPiS9_iiiiii
; %bb.0:
	s_load_b32 s12, s[0:1], 0x18
	v_bfe_u32 v1, v0, 10, 10
	v_and_b32_e32 v9, 0x3ff, v0
	s_lshl_b32 s14, s15, 8
	s_mov_b32 s2, exec_lo
	s_delay_alu instid0(VALU_DEP_2) | instskip(NEXT) | instid1(VALU_DEP_1)
	v_lshlrev_b32_e32 v8, 5, v1
	v_add3_u32 v11, v8, v9, s14
	s_waitcnt lgkmcnt(0)
	s_delay_alu instid0(VALU_DEP_1)
	v_cmpx_gt_i32_e64 s12, v11
	s_cbranch_execz .LBB138_12
; %bb.1:
	s_clause 0x1
	s_load_b128 s[4:7], s[0:1], 0x0
	s_load_b64 s[2:3], s[0:1], 0x10
	s_waitcnt lgkmcnt(0)
	s_cmp_eq_u64 s[6:7], 0
	s_cbranch_scc1 .LBB138_3
; %bb.2:
	v_ashrrev_i32_e32 v1, 31, v11
	v_add_co_u32 v0, vcc_lo, s6, v11
	s_delay_alu instid0(VALU_DEP_2) | instskip(SKIP_3) | instid1(VALU_DEP_1)
	v_add_co_ci_u32_e32 v1, vcc_lo, s7, v1, vcc_lo
	global_load_u8 v0, v[0:1], off
	s_waitcnt vmcnt(0)
	v_and_b32_e32 v0, 1, v0
	v_cmp_eq_u32_e32 vcc_lo, 1, v0
	s_xor_b32 s6, vcc_lo, -1
	s_delay_alu instid0(SALU_CYCLE_1)
	s_or_not1_b32 s13, s6, exec_lo
	s_branch .LBB138_4
.LBB138_3:
	s_mov_b32 s13, -1
.LBB138_4:
	s_load_b64 s[8:9], s[0:1], 0x40
	s_waitcnt lgkmcnt(0)
	v_mul_lo_u32 v0, v11, s9
	s_delay_alu instid0(VALU_DEP_1) | instskip(NEXT) | instid1(VALU_DEP_1)
	v_ashrrev_i32_e32 v1, 31, v0
	v_lshlrev_b64 v[0:1], 1, v[0:1]
	s_delay_alu instid0(VALU_DEP_1) | instskip(NEXT) | instid1(VALU_DEP_2)
	v_add_co_u32 v0, vcc_lo, s4, v0
	v_add_co_ci_u32_e32 v1, vcc_lo, s5, v1, vcc_lo
	s_mov_b32 s4, 0x3fb8aa3b
	s_clause 0x1
	global_load_u16 v4, v[0:1], off offset:16
	global_load_b128 v[0:3], v[0:1], off
	s_waitcnt vmcnt(1)
	v_cvt_f32_f16_e64 v5, -v4
	s_delay_alu instid0(VALU_DEP_1) | instskip(SKIP_1) | instid1(VALU_DEP_2)
	v_mul_f32_e32 v6, 0x3fb8aa3b, v5
	v_cmp_ngt_f32_e32 vcc_lo, 0xc2ce8ed0, v5
	v_fma_mix_f32 v7, -v4, s4, -v6 op_sel_hi:[1,0,0]
	v_rndne_f32_e32 v10, v6
	s_mov_b32 s4, 0x32a5705f
	s_delay_alu instid0(VALU_DEP_2) | instid1(SALU_CYCLE_1)
	v_fma_mix_f32 v4, -v4, s4, v7 op_sel_hi:[1,0,0]
	s_load_b128 s[4:7], s[0:1], 0x30
	s_delay_alu instid0(VALU_DEP_2) | instskip(NEXT) | instid1(VALU_DEP_1)
	v_sub_f32_e32 v6, v6, v10
	v_add_f32_e32 v4, v6, v4
	v_cvt_i32_f32_e32 v6, v10
	s_delay_alu instid0(VALU_DEP_2) | instskip(SKIP_4) | instid1(VALU_DEP_1)
	v_exp_f32_e32 v4, v4
	s_waitcnt lgkmcnt(0)
	s_cmp_gt_i32 s4, 0
	s_waitcnt_depctr 0xfff
	v_ldexp_f32 v4, v4, v6
	v_cndmask_b32_e32 v4, 0, v4, vcc_lo
	v_cmp_nlt_f32_e32 vcc_lo, 0x42b17218, v5
	s_delay_alu instid0(VALU_DEP_2) | instskip(NEXT) | instid1(VALU_DEP_1)
	v_cndmask_b32_e32 v4, 0x7f800000, v4, vcc_lo
	v_add_f32_e32 v7, 1.0, v4
	s_delay_alu instid0(VALU_DEP_1) | instskip(SKIP_1) | instid1(VALU_DEP_2)
	v_div_scale_f32 v10, null, v7, v7, 1.0
	v_div_scale_f32 v13, vcc_lo, 1.0, v7, 1.0
	v_rcp_f32_e32 v12, v10
	s_waitcnt_depctr 0xfff
	v_fma_f32 v4, -v10, v12, 1.0
	s_delay_alu instid0(VALU_DEP_1) | instskip(SKIP_3) | instid1(VALU_DEP_2)
	v_fmac_f32_e32 v12, v4, v12
	v_mul_lo_u32 v4, v11, s7
	s_cselect_b32 s7, -1, 0
	s_cmp_lt_i32 s4, 1
	v_mul_f32_e32 v14, v13, v12
	s_delay_alu instid0(VALU_DEP_2) | instskip(NEXT) | instid1(VALU_DEP_2)
	v_add_nc_u32_e32 v5, s4, v4
	v_fma_f32 v6, -v10, v14, v13
	s_delay_alu instid0(VALU_DEP_1) | instskip(NEXT) | instid1(VALU_DEP_3)
	v_fmac_f32_e32 v14, v6, v12
	v_ashrrev_i32_e32 v6, 31, v5
	s_delay_alu instid0(VALU_DEP_2) | instskip(NEXT) | instid1(VALU_DEP_2)
	v_fma_f32 v10, -v10, v14, v13
	v_lshlrev_b64 v[5:6], 2, v[5:6]
	s_delay_alu instid0(VALU_DEP_2) | instskip(NEXT) | instid1(VALU_DEP_2)
	v_div_fmas_f32 v10, v10, v12, v14
	v_add_co_u32 v5, vcc_lo, s2, v5
	s_delay_alu instid0(VALU_DEP_3) | instskip(NEXT) | instid1(VALU_DEP_3)
	v_add_co_ci_u32_e32 v6, vcc_lo, s3, v6, vcc_lo
	v_div_fixup_f32 v7, v10, v7, 1.0
	v_mov_b32_e32 v10, 0
	global_store_b32 v[5:6], v7, off
	s_cbranch_scc1 .LBB138_8
; %bb.5:
	s_waitcnt vmcnt(0)
	v_lshrrev_b32_e32 v5, 16, v0
	v_cvt_f32_f16_e32 v18, v0
	v_cvt_f32_f16_e32 v16, v1
	v_lshrrev_b32_e32 v1, 16, v1
	v_cvt_f32_f16_e32 v14, v2
	v_cvt_f32_f16_e32 v17, v5
	v_cmp_lt_f16_e32 vcc_lo, v0, v5
	v_lshrrev_b32_e32 v2, 16, v2
	v_cvt_f32_f16_e32 v15, v1
	v_cvt_f32_f16_e32 v12, v3
	v_cndmask_b32_e32 v5, v18, v17, vcc_lo
	v_cndmask_b32_e64 v0, 0, 1, vcc_lo
	v_cvt_f32_f16_e32 v13, v2
	v_lshrrev_b32_e32 v2, 16, v3
	s_delay_alu instid0(VALU_DEP_4) | instskip(NEXT) | instid1(VALU_DEP_2)
	v_cmp_lt_f32_e32 vcc_lo, v5, v16
	v_cvt_f32_f16_e32 v20, v2
	v_mul_lo_u32 v2, v11, s4
	v_cndmask_b32_e32 v1, v5, v16, vcc_lo
	v_cndmask_b32_e64 v0, v0, 2, vcc_lo
	v_ashrrev_i32_e32 v5, 31, v4
	s_delay_alu instid0(VALU_DEP_3) | instskip(NEXT) | instid1(VALU_DEP_2)
	v_cmp_lt_f32_e32 vcc_lo, v1, v15
	v_lshlrev_b64 v[5:6], 2, v[4:5]
	v_cndmask_b32_e32 v1, v1, v15, vcc_lo
	v_cndmask_b32_e64 v0, v0, 3, vcc_lo
	s_delay_alu instid0(VALU_DEP_2) | instskip(SKIP_1) | instid1(VALU_DEP_3)
	v_cmp_lt_f32_e32 vcc_lo, v1, v14
	v_cndmask_b32_e32 v1, v1, v14, vcc_lo
	v_cndmask_b32_e64 v0, v0, 4, vcc_lo
	s_delay_alu instid0(VALU_DEP_2) | instskip(SKIP_1) | instid1(VALU_DEP_3)
	v_cmp_lt_f32_e32 vcc_lo, v1, v13
	;; [unrolled: 4-line block ×4, first 2 shown]
	v_cndmask_b32_e32 v7, v1, v20, vcc_lo
	v_cndmask_b32_e64 v19, v0, 7, vcc_lo
	v_add_co_u32 v5, vcc_lo, s2, v5
	v_add_co_ci_u32_e32 v6, vcc_lo, s3, v6, vcc_lo
	s_delay_alu instid0(VALU_DEP_4) | instskip(NEXT) | instid1(VALU_DEP_4)
	v_sub_f32_e32 v10, v7, v7
	v_cmp_le_i32_e32 vcc_lo, s5, v19
	v_subrev_nc_u32_e32 v23, s5, v19
	s_delay_alu instid0(VALU_DEP_3) | instskip(NEXT) | instid1(VALU_DEP_1)
	v_mul_f32_e32 v0, 0x3fb8aa3b, v10
	v_fma_f32 v1, 0x3fb8aa3b, v10, -v0
	v_rndne_f32_e32 v21, v0
	s_delay_alu instid0(VALU_DEP_2) | instskip(NEXT) | instid1(VALU_DEP_2)
	v_fmac_f32_e32 v1, 0x32a5705f, v10
	v_sub_f32_e32 v3, v0, v21
	v_mul_lo_u32 v0, v11, s8
	s_load_b128 s[8:11], s[0:1], 0x20
	v_cvt_i32_f32_e32 v21, v21
	v_cmp_gt_i32_e64 s0, s6, v19
	v_add_f32_e32 v3, v3, v1
	s_delay_alu instid0(VALU_DEP_4) | instskip(NEXT) | instid1(VALU_DEP_2)
	v_ashrrev_i32_e32 v1, 31, v0
	v_exp_f32_e32 v22, v3
	s_delay_alu instid0(VALU_DEP_3) | instskip(SKIP_3) | instid1(VALU_DEP_2)
	s_and_b32 s0, vcc_lo, s0
	v_cmp_ngt_f32_e32 vcc_lo, 0xc2ce8ed0, v10
	v_ashrrev_i32_e32 v3, 31, v2
	v_lshlrev_b64 v[0:1], 2, v[0:1]
	v_lshlrev_b64 v[2:3], 2, v[2:3]
	s_waitcnt_depctr 0xfff
	v_ldexp_f32 v21, v22, v21
	s_delay_alu instid0(VALU_DEP_1)
	v_cndmask_b32_e32 v24, 0, v21, vcc_lo
	s_waitcnt lgkmcnt(0)
	v_add_co_u32 v21, vcc_lo, s8, v0
	v_add_co_ci_u32_e32 v22, vcc_lo, s9, v1, vcc_lo
	s_and_b32 vcc_lo, s13, s0
	s_cmp_eq_u32 s4, 1
	v_cndmask_b32_e32 v25, 8, v23, vcc_lo
	v_cmp_nlt_f32_e32 vcc_lo, 0x42b17218, v10
	v_cndmask_b32_e32 v10, 0x7f800000, v24, vcc_lo
	v_add_co_u32 v23, vcc_lo, s10, v2
	v_add_co_ci_u32_e32 v24, vcc_lo, s11, v3, vcc_lo
	global_store_b32 v[21:22], v25, off
	global_store_b32 v[5:6], v10, off
	;; [unrolled: 1-line block ×3, first 2 shown]
	s_cbranch_scc1 .LBB138_8
; %bb.6:
	v_cmp_ne_u32_e32 vcc_lo, 7, v19
	s_add_i32 s14, s14, s12
	s_delay_alu instid0(SALU_CYCLE_1)
	v_add3_u32 v8, s14, v9, v8
	v_cndmask_b32_e32 v11, 0xff800000, v20, vcc_lo
	v_cmp_ne_u32_e32 vcc_lo, 6, v19
	v_cndmask_b32_e32 v12, 0xff800000, v12, vcc_lo
	v_cmp_ne_u32_e32 vcc_lo, 5, v19
	;; [unrolled: 2-line block ×7, first 2 shown]
	v_cndmask_b32_e32 v18, 0xff800000, v18, vcc_lo
	v_add_co_u32 v2, vcc_lo, v2, s10
	v_add_co_ci_u32_e32 v3, vcc_lo, s11, v3, vcc_lo
	v_add_co_u32 v19, vcc_lo, v0, s8
	v_add_co_ci_u32_e32 v20, vcc_lo, s9, v1, vcc_lo
	s_delay_alu instid0(VALU_DEP_4) | instskip(NEXT) | instid1(VALU_DEP_4)
	v_add_co_u32 v0, vcc_lo, v2, 4
	v_add_co_ci_u32_e32 v1, vcc_lo, 0, v3, vcc_lo
	s_delay_alu instid0(VALU_DEP_4) | instskip(NEXT) | instid1(VALU_DEP_4)
	v_add_co_u32 v2, vcc_lo, v19, 4
	v_add_co_ci_u32_e32 v3, vcc_lo, 0, v20, vcc_lo
	v_add_co_u32 v5, vcc_lo, v5, 4
	v_add_co_ci_u32_e32 v6, vcc_lo, 0, v6, vcc_lo
	s_add_i32 s8, s4, -1
.LBB138_7:                              ; =>This Inner Loop Header: Depth=1
	v_cmp_gt_f32_e32 vcc_lo, v17, v18
	s_add_i32 s8, s8, -1
	v_cndmask_b32_e32 v9, v18, v17, vcc_lo
	v_cndmask_b32_e64 v19, 0, 1, vcc_lo
	s_delay_alu instid0(VALU_DEP_2) | instskip(SKIP_1) | instid1(VALU_DEP_3)
	v_cmp_gt_f32_e32 vcc_lo, v16, v9
	v_cndmask_b32_e32 v9, v9, v16, vcc_lo
	v_cndmask_b32_e64 v19, v19, 2, vcc_lo
	s_delay_alu instid0(VALU_DEP_2) | instskip(SKIP_1) | instid1(VALU_DEP_3)
	v_cmp_gt_f32_e32 vcc_lo, v15, v9
	;; [unrolled: 4-line block ×5, first 2 shown]
	v_cndmask_b32_e32 v9, v9, v12, vcc_lo
	v_cndmask_b32_e64 v19, v19, 6, vcc_lo
	s_delay_alu instid0(VALU_DEP_2) | instskip(NEXT) | instid1(VALU_DEP_2)
	v_cmp_gt_f32_e32 vcc_lo, v11, v9
	v_cndmask_b32_e64 v19, v19, 7, vcc_lo
	v_cndmask_b32_e32 v9, v9, v11, vcc_lo
	s_delay_alu instid0(VALU_DEP_2)
	v_cmp_ne_u32_e64 s1, 7, v19
	v_cmp_le_i32_e32 vcc_lo, s5, v19
	v_cmp_gt_i32_e64 s0, s6, v19
	v_subrev_nc_u32_e32 v21, s5, v19
	v_sub_f32_e32 v9, v9, v7
	v_cndmask_b32_e64 v11, 0xff800000, v11, s1
	v_cmp_ne_u32_e64 s1, 6, v19
	s_and_b32 s0, vcc_lo, s0
	s_delay_alu instid0(SALU_CYCLE_1) | instskip(SKIP_1) | instid1(VALU_DEP_1)
	s_and_b32 vcc_lo, s13, s0
	s_cmp_eq_u32 s8, 0
	v_cndmask_b32_e64 v12, 0xff800000, v12, s1
	v_cmp_ne_u32_e64 s1, 5, v19
	v_cndmask_b32_e32 v21, 8, v21, vcc_lo
	global_store_b32 v[2:3], v21, off
	global_store_b32 v[0:1], v8, off
	v_add_nc_u32_e32 v8, s12, v8
	v_cndmask_b32_e64 v13, 0xff800000, v13, s1
	v_cmp_ne_u32_e64 s1, 4, v19
	v_add_co_u32 v0, vcc_lo, v0, 4
	v_add_co_ci_u32_e32 v1, vcc_lo, 0, v1, vcc_lo
	s_delay_alu instid0(VALU_DEP_3) | instskip(SKIP_3) | instid1(VALU_DEP_3)
	v_cndmask_b32_e64 v14, 0xff800000, v14, s1
	v_cmp_ne_u32_e64 s1, 3, v19
	v_add_co_u32 v2, vcc_lo, v2, 4
	v_add_co_ci_u32_e32 v3, vcc_lo, 0, v3, vcc_lo
	v_cndmask_b32_e64 v15, 0xff800000, v15, s1
	v_cmp_ne_u32_e64 s1, 2, v19
	v_cmp_ngt_f32_e32 vcc_lo, 0xc2ce8ed0, v9
	v_mul_f32_e32 v20, 0x3fb8aa3b, v9
	s_delay_alu instid0(VALU_DEP_3) | instskip(SKIP_1) | instid1(VALU_DEP_3)
	v_cndmask_b32_e64 v16, 0xff800000, v16, s1
	v_cmp_ne_u32_e64 s1, 1, v19
	v_rndne_f32_e32 v22, v20
	s_delay_alu instid0(VALU_DEP_2) | instskip(SKIP_2) | instid1(VALU_DEP_4)
	v_cndmask_b32_e64 v17, 0xff800000, v17, s1
	v_cmp_ne_u32_e64 s1, 0, v19
	v_fma_f32 v19, 0x3fb8aa3b, v9, -v20
	v_sub_f32_e32 v20, v20, v22
	v_cvt_i32_f32_e32 v22, v22
	s_delay_alu instid0(VALU_DEP_4) | instskip(NEXT) | instid1(VALU_DEP_4)
	v_cndmask_b32_e64 v18, 0xff800000, v18, s1
	v_fmac_f32_e32 v19, 0x32a5705f, v9
	s_delay_alu instid0(VALU_DEP_1) | instskip(NEXT) | instid1(VALU_DEP_1)
	v_add_f32_e32 v19, v20, v19
	v_exp_f32_e32 v19, v19
	s_waitcnt_depctr 0xfff
	v_ldexp_f32 v19, v19, v22
	s_delay_alu instid0(VALU_DEP_1) | instskip(SKIP_1) | instid1(VALU_DEP_2)
	v_cndmask_b32_e32 v19, 0, v19, vcc_lo
	v_cmp_nlt_f32_e32 vcc_lo, 0x42b17218, v9
	v_cndmask_b32_e32 v9, 0x7f800000, v19, vcc_lo
	s_delay_alu instid0(VALU_DEP_1)
	v_add_f32_e32 v10, v10, v9
	global_store_b32 v[5:6], v9, off
	v_add_co_u32 v5, vcc_lo, v5, 4
	v_add_co_ci_u32_e32 v6, vcc_lo, 0, v6, vcc_lo
	s_cbranch_scc0 .LBB138_7
.LBB138_8:
	v_cmp_neq_f32_e32 vcc_lo, 0, v10
	s_and_b32 exec_lo, exec_lo, vcc_lo
	s_cbranch_execz .LBB138_12
; %bb.9:
	s_and_not1_b32 vcc_lo, exec_lo, s7
	s_cbranch_vccnz .LBB138_12
; %bb.10:
	s_waitcnt vmcnt(0)
	v_div_scale_f32 v0, null, v10, v10, 1.0
	v_div_scale_f32 v3, vcc_lo, 1.0, v10, 1.0
	s_delay_alu instid0(VALU_DEP_2) | instskip(SKIP_2) | instid1(VALU_DEP_1)
	v_rcp_f32_e32 v1, v0
	s_waitcnt_depctr 0xfff
	v_fma_f32 v2, -v0, v1, 1.0
	v_fmac_f32_e32 v1, v2, v1
	s_delay_alu instid0(VALU_DEP_1) | instskip(NEXT) | instid1(VALU_DEP_1)
	v_mul_f32_e32 v2, v3, v1
	v_fma_f32 v5, -v0, v2, v3
	s_delay_alu instid0(VALU_DEP_1) | instskip(SKIP_1) | instid1(VALU_DEP_2)
	v_fmac_f32_e32 v2, v5, v1
	v_ashrrev_i32_e32 v5, 31, v4
	v_fma_f32 v0, -v0, v2, v3
	s_delay_alu instid0(VALU_DEP_1) | instskip(NEXT) | instid1(VALU_DEP_3)
	v_div_fmas_f32 v2, v0, v1, v2
	v_lshlrev_b64 v[0:1], 2, v[4:5]
	s_delay_alu instid0(VALU_DEP_2) | instskip(NEXT) | instid1(VALU_DEP_2)
	v_div_fixup_f32 v2, v2, v10, 1.0
	v_add_co_u32 v0, vcc_lo, s2, v0
	s_delay_alu instid0(VALU_DEP_3)
	v_add_co_ci_u32_e32 v1, vcc_lo, s3, v1, vcc_lo
.LBB138_11:                             ; =>This Inner Loop Header: Depth=1
	global_load_b32 v3, v[0:1], off
	s_add_i32 s4, s4, -1
	s_delay_alu instid0(SALU_CYCLE_1)
	s_cmp_lg_u32 s4, 0
	s_waitcnt vmcnt(0)
	v_mul_f32_e32 v3, v2, v3
	global_store_b32 v[0:1], v3, off
	v_add_co_u32 v0, vcc_lo, v0, 4
	v_add_co_ci_u32_e32 v1, vcc_lo, 0, v1, vcc_lo
	s_cbranch_scc1 .LBB138_11
.LBB138_12:
	s_nop 0
	s_sendmsg sendmsg(MSG_DEALLOC_VGPRS)
	s_endpgm
	.section	.rodata,"a",@progbits
	.p2align	6, 0x0
	.amdhsa_kernel _ZN4vllm3moe17topkGatingSoftmaxIDF16_Li8ELi8ELi8ELi16ELb1ELi1ELNS0_23SharedExpertScoringFuncE1EEEvPKT_PKbPfiPiS9_iiiiii
		.amdhsa_group_segment_fixed_size 0
		.amdhsa_private_segment_fixed_size 0
		.amdhsa_kernarg_size 72
		.amdhsa_user_sgpr_count 15
		.amdhsa_user_sgpr_dispatch_ptr 0
		.amdhsa_user_sgpr_queue_ptr 0
		.amdhsa_user_sgpr_kernarg_segment_ptr 1
		.amdhsa_user_sgpr_dispatch_id 0
		.amdhsa_user_sgpr_private_segment_size 0
		.amdhsa_wavefront_size32 1
		.amdhsa_uses_dynamic_stack 0
		.amdhsa_enable_private_segment 0
		.amdhsa_system_sgpr_workgroup_id_x 1
		.amdhsa_system_sgpr_workgroup_id_y 0
		.amdhsa_system_sgpr_workgroup_id_z 0
		.amdhsa_system_sgpr_workgroup_info 0
		.amdhsa_system_vgpr_workitem_id 1
		.amdhsa_next_free_vgpr 26
		.amdhsa_next_free_sgpr 16
		.amdhsa_reserve_vcc 1
		.amdhsa_float_round_mode_32 0
		.amdhsa_float_round_mode_16_64 0
		.amdhsa_float_denorm_mode_32 3
		.amdhsa_float_denorm_mode_16_64 3
		.amdhsa_dx10_clamp 1
		.amdhsa_ieee_mode 1
		.amdhsa_fp16_overflow 0
		.amdhsa_workgroup_processor_mode 1
		.amdhsa_memory_ordered 1
		.amdhsa_forward_progress 0
		.amdhsa_shared_vgpr_count 0
		.amdhsa_exception_fp_ieee_invalid_op 0
		.amdhsa_exception_fp_denorm_src 0
		.amdhsa_exception_fp_ieee_div_zero 0
		.amdhsa_exception_fp_ieee_overflow 0
		.amdhsa_exception_fp_ieee_underflow 0
		.amdhsa_exception_fp_ieee_inexact 0
		.amdhsa_exception_int_div_zero 0
	.end_amdhsa_kernel
	.section	.text._ZN4vllm3moe17topkGatingSoftmaxIDF16_Li8ELi8ELi8ELi16ELb1ELi1ELNS0_23SharedExpertScoringFuncE1EEEvPKT_PKbPfiPiS9_iiiiii,"axG",@progbits,_ZN4vllm3moe17topkGatingSoftmaxIDF16_Li8ELi8ELi8ELi16ELb1ELi1ELNS0_23SharedExpertScoringFuncE1EEEvPKT_PKbPfiPiS9_iiiiii,comdat
.Lfunc_end138:
	.size	_ZN4vllm3moe17topkGatingSoftmaxIDF16_Li8ELi8ELi8ELi16ELb1ELi1ELNS0_23SharedExpertScoringFuncE1EEEvPKT_PKbPfiPiS9_iiiiii, .Lfunc_end138-_ZN4vllm3moe17topkGatingSoftmaxIDF16_Li8ELi8ELi8ELi16ELb1ELi1ELNS0_23SharedExpertScoringFuncE1EEEvPKT_PKbPfiPiS9_iiiiii
                                        ; -- End function
	.section	.AMDGPU.csdata,"",@progbits
; Kernel info:
; codeLenInByte = 1940
; NumSgprs: 18
; NumVgprs: 26
; ScratchSize: 0
; MemoryBound: 0
; FloatMode: 240
; IeeeMode: 1
; LDSByteSize: 0 bytes/workgroup (compile time only)
; SGPRBlocks: 2
; VGPRBlocks: 3
; NumSGPRsForWavesPerEU: 18
; NumVGPRsForWavesPerEU: 26
; Occupancy: 16
; WaveLimiterHint : 0
; COMPUTE_PGM_RSRC2:SCRATCH_EN: 0
; COMPUTE_PGM_RSRC2:USER_SGPR: 15
; COMPUTE_PGM_RSRC2:TRAP_HANDLER: 0
; COMPUTE_PGM_RSRC2:TGID_X_EN: 1
; COMPUTE_PGM_RSRC2:TGID_Y_EN: 0
; COMPUTE_PGM_RSRC2:TGID_Z_EN: 0
; COMPUTE_PGM_RSRC2:TIDIG_COMP_CNT: 1
	.section	.text._ZN4vllm3moe17topkGatingSoftmaxIDF16_Li8ELi8ELi8ELi16ELb0ELi1ELNS0_23SharedExpertScoringFuncE1EEEvPKT_PKbPfiPiS9_iiiiii,"axG",@progbits,_ZN4vllm3moe17topkGatingSoftmaxIDF16_Li8ELi8ELi8ELi16ELb0ELi1ELNS0_23SharedExpertScoringFuncE1EEEvPKT_PKbPfiPiS9_iiiiii,comdat
	.protected	_ZN4vllm3moe17topkGatingSoftmaxIDF16_Li8ELi8ELi8ELi16ELb0ELi1ELNS0_23SharedExpertScoringFuncE1EEEvPKT_PKbPfiPiS9_iiiiii ; -- Begin function _ZN4vllm3moe17topkGatingSoftmaxIDF16_Li8ELi8ELi8ELi16ELb0ELi1ELNS0_23SharedExpertScoringFuncE1EEEvPKT_PKbPfiPiS9_iiiiii
	.globl	_ZN4vllm3moe17topkGatingSoftmaxIDF16_Li8ELi8ELi8ELi16ELb0ELi1ELNS0_23SharedExpertScoringFuncE1EEEvPKT_PKbPfiPiS9_iiiiii
	.p2align	8
	.type	_ZN4vllm3moe17topkGatingSoftmaxIDF16_Li8ELi8ELi8ELi16ELb0ELi1ELNS0_23SharedExpertScoringFuncE1EEEvPKT_PKbPfiPiS9_iiiiii,@function
_ZN4vllm3moe17topkGatingSoftmaxIDF16_Li8ELi8ELi8ELi16ELb0ELi1ELNS0_23SharedExpertScoringFuncE1EEEvPKT_PKbPfiPiS9_iiiiii: ; @_ZN4vllm3moe17topkGatingSoftmaxIDF16_Li8ELi8ELi8ELi16ELb0ELi1ELNS0_23SharedExpertScoringFuncE1EEEvPKT_PKbPfiPiS9_iiiiii
; %bb.0:
	s_load_b32 s16, s[0:1], 0x18
	v_bfe_u32 v1, v0, 10, 10
	v_and_b32_e32 v18, 0x3ff, v0
	s_lshl_b32 s18, s15, 8
	s_mov_b32 s2, exec_lo
	s_delay_alu instid0(VALU_DEP_2) | instskip(NEXT) | instid1(VALU_DEP_1)
	v_lshlrev_b32_e32 v17, 5, v1
	v_add3_u32 v19, v17, v18, s18
	s_waitcnt lgkmcnt(0)
	s_delay_alu instid0(VALU_DEP_1)
	v_cmpx_gt_i32_e64 s16, v19
	s_cbranch_execz .LBB139_12
; %bb.1:
	s_clause 0x1
	s_load_b128 s[4:7], s[0:1], 0x0
	s_load_b64 s[12:13], s[0:1], 0x10
	s_waitcnt lgkmcnt(0)
	s_cmp_eq_u64 s[6:7], 0
	s_cbranch_scc1 .LBB139_3
; %bb.2:
	v_ashrrev_i32_e32 v1, 31, v19
	v_add_co_u32 v0, vcc_lo, s6, v19
	s_delay_alu instid0(VALU_DEP_2) | instskip(SKIP_3) | instid1(VALU_DEP_1)
	v_add_co_ci_u32_e32 v1, vcc_lo, s7, v1, vcc_lo
	global_load_u8 v0, v[0:1], off
	s_waitcnt vmcnt(0)
	v_and_b32_e32 v0, 1, v0
	v_cmp_eq_u32_e32 vcc_lo, 1, v0
	s_xor_b32 s2, vcc_lo, -1
	s_delay_alu instid0(SALU_CYCLE_1)
	s_or_not1_b32 s17, s2, exec_lo
	s_branch .LBB139_4
.LBB139_3:
	s_mov_b32 s17, -1
.LBB139_4:
	s_clause 0x1
	s_load_b64 s[14:15], s[0:1], 0x40
	s_load_b128 s[8:11], s[0:1], 0x30
	s_mov_b32 s2, 0x3fb8aa3b
	s_waitcnt lgkmcnt(0)
	v_mul_lo_u32 v0, v19, s15
	s_cmp_gt_i32 s8, 0
	s_delay_alu instid0(VALU_DEP_1) | instskip(NEXT) | instid1(VALU_DEP_1)
	v_ashrrev_i32_e32 v1, 31, v0
	v_lshlrev_b64 v[0:1], 1, v[0:1]
	s_delay_alu instid0(VALU_DEP_1) | instskip(NEXT) | instid1(VALU_DEP_2)
	v_add_co_u32 v0, vcc_lo, s4, v0
	v_add_co_ci_u32_e32 v1, vcc_lo, s5, v1, vcc_lo
	s_clause 0x1
	global_load_u16 v5, v[0:1], off offset:16
	global_load_b128 v[1:4], v[0:1], off
	s_waitcnt vmcnt(1)
	v_cvt_f32_f16_e64 v0, -v5
	s_waitcnt vmcnt(0)
	v_cvt_f32_f16_e32 v16, v1
	v_cvt_f32_f16_e32 v14, v2
	v_lshrrev_b32_e32 v9, 16, v2
	v_cvt_f32_f16_e32 v11, v3
	v_cmp_ngt_f32_e32 vcc_lo, 0xc2ce8ed0, v0
	v_mul_f32_e32 v6, 0x3fb8aa3b, v0
	s_delay_alu instid0(VALU_DEP_4) | instskip(SKIP_2) | instid1(VALU_DEP_4)
	v_cvt_f32_f16_e32 v13, v9
	v_cvt_f32_f16_e32 v9, v4
	v_lshrrev_b32_e32 v4, 16, v4
	v_fma_mix_f32 v7, -v5, s2, -v6 op_sel_hi:[1,0,0]
	v_rndne_f32_e32 v8, v6
	s_mov_b32 s2, 0x32a5705f
	s_delay_alu instid0(VALU_DEP_2) | instid1(SALU_CYCLE_1)
	v_fma_mix_f32 v5, -v5, s2, v7 op_sel_hi:[1,0,0]
	s_delay_alu instid0(VALU_DEP_2) | instskip(SKIP_1) | instid1(VALU_DEP_2)
	v_sub_f32_e32 v6, v6, v8
	v_lshrrev_b32_e32 v7, 16, v1
	v_add_f32_e32 v5, v6, v5
	v_cvt_i32_f32_e32 v6, v8
	s_delay_alu instid0(VALU_DEP_3) | instskip(SKIP_1) | instid1(VALU_DEP_4)
	v_cvt_f32_f16_e32 v15, v7
	v_cmp_lt_f16_e64 s7, v1, v7
	v_exp_f32_e32 v5, v5
	s_delay_alu instid0(VALU_DEP_1) | instskip(NEXT) | instid1(VALU_DEP_1)
	v_cndmask_b32_e64 v1, v16, v15, s7
	v_cmp_lt_f32_e64 s4, v1, v14
	s_waitcnt_depctr 0xfff
	v_ldexp_f32 v5, v5, v6
	v_cndmask_b32_e64 v1, v1, v14, s4
	s_delay_alu instid0(VALU_DEP_2) | instskip(SKIP_1) | instid1(VALU_DEP_3)
	v_cndmask_b32_e32 v5, 0, v5, vcc_lo
	v_cmp_nlt_f32_e32 vcc_lo, 0x42b17218, v0
	v_cmp_lt_f32_e64 s5, v1, v13
	s_delay_alu instid0(VALU_DEP_3) | instskip(NEXT) | instid1(VALU_DEP_2)
	v_cndmask_b32_e32 v0, 0x7f800000, v5, vcc_lo
	v_cndmask_b32_e64 v7, v1, v13, s5
	s_delay_alu instid0(VALU_DEP_2) | instskip(SKIP_1) | instid1(VALU_DEP_3)
	v_add_f32_e32 v5, 1.0, v0
	v_mul_lo_u32 v0, v19, s11
	v_cmp_lt_f32_e64 s6, v7, v11
	s_cselect_b32 s11, -1, 0
	s_cmp_lt_i32 s8, 1
	v_div_scale_f32 v6, null, v5, v5, 1.0
	v_div_scale_f32 v12, vcc_lo, 1.0, v5, 1.0
	v_cndmask_b32_e64 v7, v7, v11, s6
	s_delay_alu instid0(VALU_DEP_3) | instskip(SKIP_3) | instid1(VALU_DEP_1)
	v_rcp_f32_e32 v8, v6
	v_add_nc_u32_e32 v1, s8, v0
	s_waitcnt_depctr 0xfff
	v_fma_f32 v2, -v6, v8, 1.0
	v_fmac_f32_e32 v8, v2, v8
	v_lshrrev_b32_e32 v2, 16, v3
	s_delay_alu instid0(VALU_DEP_2) | instskip(NEXT) | instid1(VALU_DEP_2)
	v_mul_f32_e32 v3, v12, v8
	v_cvt_f32_f16_e32 v10, v2
	v_ashrrev_i32_e32 v2, 31, v1
	s_delay_alu instid0(VALU_DEP_3) | instskip(NEXT) | instid1(VALU_DEP_3)
	v_fma_f32 v20, -v6, v3, v12
	v_cmp_lt_f32_e64 s3, v7, v10
	s_delay_alu instid0(VALU_DEP_3) | instskip(NEXT) | instid1(VALU_DEP_3)
	v_lshlrev_b64 v[1:2], 2, v[1:2]
	v_fmac_f32_e32 v3, v20, v8
	s_delay_alu instid0(VALU_DEP_3) | instskip(SKIP_1) | instid1(VALU_DEP_3)
	v_cndmask_b32_e64 v20, v7, v10, s3
	v_cvt_f32_f16_e32 v7, v4
	v_fma_f32 v4, -v6, v3, v12
	s_delay_alu instid0(VALU_DEP_3) | instskip(SKIP_1) | instid1(VALU_DEP_3)
	v_cmp_lt_f32_e64 s2, v20, v9
	v_mov_b32_e32 v12, 0
	v_div_fmas_f32 v3, v4, v8, v3
	s_delay_alu instid0(VALU_DEP_3) | instskip(SKIP_2) | instid1(VALU_DEP_3)
	v_cndmask_b32_e64 v6, v20, v9, s2
	v_add_co_u32 v1, vcc_lo, s12, v1
	v_add_co_ci_u32_e32 v2, vcc_lo, s13, v2, vcc_lo
	v_cmp_lt_f32_e32 vcc_lo, v6, v7
	v_cndmask_b32_e32 v8, v6, v7, vcc_lo
	v_div_fixup_f32 v3, v3, v5, 1.0
	global_store_b32 v[1:2], v3, off
	s_cbranch_scc1 .LBB139_8
; %bb.5:
	v_cndmask_b32_e64 v1, 0, 1, s7
	v_sub_f32_e32 v12, v8, v8
	v_mul_lo_u32 v2, v19, s14
	v_mul_lo_u32 v20, v19, s8
	s_delay_alu instid0(VALU_DEP_4) | instskip(NEXT) | instid1(VALU_DEP_4)
	v_cndmask_b32_e64 v1, v1, 2, s4
	v_mul_f32_e32 v3, 0x3fb8aa3b, v12
	s_delay_alu instid0(VALU_DEP_2) | instskip(NEXT) | instid1(VALU_DEP_2)
	v_cndmask_b32_e64 v1, v1, 3, s5
	v_rndne_f32_e32 v4, v3
	v_fma_f32 v5, 0x3fb8aa3b, v12, -v3
	s_delay_alu instid0(VALU_DEP_3) | instskip(NEXT) | instid1(VALU_DEP_3)
	v_cndmask_b32_e64 v6, v1, 4, s6
	v_sub_f32_e32 v3, v3, v4
	s_delay_alu instid0(VALU_DEP_3)
	v_fmac_f32_e32 v5, 0x32a5705f, v12
	v_ashrrev_i32_e32 v1, 31, v0
	s_load_b128 s[4:7], s[0:1], 0x20
	v_cndmask_b32_e64 v21, v6, 5, s3
	v_cvt_i32_f32_e32 v4, v4
	v_add_f32_e32 v22, v3, v5
	v_lshlrev_b64 v[5:6], 2, v[0:1]
	v_ashrrev_i32_e32 v3, 31, v2
	v_cndmask_b32_e64 v1, v21, 6, s2
	v_ashrrev_i32_e32 v21, 31, v20
	v_exp_f32_e32 v22, v22
	s_delay_alu instid0(VALU_DEP_2) | instskip(SKIP_2) | instid1(VALU_DEP_3)
	v_cndmask_b32_e64 v24, v1, 7, vcc_lo
	v_add_co_u32 v5, vcc_lo, s12, v5
	v_add_co_ci_u32_e32 v6, vcc_lo, s13, v6, vcc_lo
	v_cmp_le_i32_e32 vcc_lo, s9, v24
	v_cmp_gt_i32_e64 s0, s10, v24
	v_lshlrev_b64 v[1:2], 2, v[2:3]
	s_delay_alu instid0(TRANS32_DEP_1)
	v_ldexp_f32 v22, v22, v4
	v_lshlrev_b64 v[3:4], 2, v[20:21]
	v_subrev_nc_u32_e32 v23, s9, v24
	s_and_b32 s0, vcc_lo, s0
	v_cmp_ngt_f32_e32 vcc_lo, 0xc2ce8ed0, v12
	v_cndmask_b32_e32 v22, 0, v22, vcc_lo
	s_waitcnt lgkmcnt(0)
	v_add_co_u32 v20, vcc_lo, s4, v1
	v_add_co_ci_u32_e32 v21, vcc_lo, s5, v2, vcc_lo
	s_and_b32 vcc_lo, s17, s0
	s_cmp_eq_u32 s8, 1
	v_cndmask_b32_e32 v25, 8, v23, vcc_lo
	v_cmp_nlt_f32_e32 vcc_lo, 0x42b17218, v12
	v_cndmask_b32_e32 v12, 0x7f800000, v22, vcc_lo
	v_add_co_u32 v22, vcc_lo, s6, v3
	v_add_co_ci_u32_e32 v23, vcc_lo, s7, v4, vcc_lo
	v_cmp_ne_u32_e32 vcc_lo, 7, v24
	global_store_b32 v[5:6], v12, off
	global_store_b32 v[20:21], v25, off
	;; [unrolled: 1-line block ×3, first 2 shown]
	v_cndmask_b32_e32 v7, 0xff800000, v7, vcc_lo
	v_cmp_ne_u32_e32 vcc_lo, 6, v24
	v_cndmask_b32_e32 v9, 0xff800000, v9, vcc_lo
	v_cmp_ne_u32_e32 vcc_lo, 5, v24
	;; [unrolled: 2-line block ×7, first 2 shown]
	v_cndmask_b32_e32 v16, 0xff800000, v16, vcc_lo
	s_cbranch_scc1 .LBB139_8
; %bb.6:
	v_add_co_u32 v3, vcc_lo, v3, s6
	v_add_co_ci_u32_e32 v4, vcc_lo, s7, v4, vcc_lo
	v_add_co_u32 v19, vcc_lo, v1, s4
	v_add_co_ci_u32_e32 v20, vcc_lo, s5, v2, vcc_lo
	s_delay_alu instid0(VALU_DEP_4) | instskip(NEXT) | instid1(VALU_DEP_4)
	v_add_co_u32 v1, vcc_lo, v3, 4
	v_add_co_ci_u32_e32 v2, vcc_lo, 0, v4, vcc_lo
	s_delay_alu instid0(VALU_DEP_4) | instskip(NEXT) | instid1(VALU_DEP_4)
	v_add_co_u32 v3, vcc_lo, v19, 4
	v_add_co_ci_u32_e32 v4, vcc_lo, 0, v20, vcc_lo
	s_add_i32 s18, s18, s16
	v_add_co_u32 v5, vcc_lo, v5, 4
	v_add_co_ci_u32_e32 v6, vcc_lo, 0, v6, vcc_lo
	v_add3_u32 v17, s18, v18, v17
	s_add_i32 s2, s8, -1
.LBB139_7:                              ; =>This Inner Loop Header: Depth=1
	v_cmp_gt_f32_e32 vcc_lo, v15, v16
	s_add_i32 s2, s2, -1
	v_cndmask_b32_e32 v18, v16, v15, vcc_lo
	v_cndmask_b32_e64 v19, 0, 1, vcc_lo
	s_delay_alu instid0(VALU_DEP_2) | instskip(SKIP_1) | instid1(VALU_DEP_3)
	v_cmp_gt_f32_e32 vcc_lo, v14, v18
	v_cndmask_b32_e32 v18, v18, v14, vcc_lo
	v_cndmask_b32_e64 v19, v19, 2, vcc_lo
	s_delay_alu instid0(VALU_DEP_2) | instskip(SKIP_1) | instid1(VALU_DEP_3)
	v_cmp_gt_f32_e32 vcc_lo, v13, v18
	;; [unrolled: 4-line block ×5, first 2 shown]
	v_cndmask_b32_e32 v18, v18, v9, vcc_lo
	v_cndmask_b32_e64 v19, v19, 6, vcc_lo
	s_delay_alu instid0(VALU_DEP_2) | instskip(NEXT) | instid1(VALU_DEP_2)
	v_cmp_gt_f32_e32 vcc_lo, v7, v18
	v_cndmask_b32_e64 v19, v19, 7, vcc_lo
	v_cndmask_b32_e32 v18, v18, v7, vcc_lo
	s_delay_alu instid0(VALU_DEP_2) | instskip(NEXT) | instid1(VALU_DEP_2)
	v_cmp_ne_u32_e64 s1, 7, v19
	v_sub_f32_e32 v18, v18, v8
	v_cmp_le_i32_e32 vcc_lo, s9, v19
	v_cmp_gt_i32_e64 s0, s10, v19
	v_subrev_nc_u32_e32 v21, s9, v19
	v_cndmask_b32_e64 v7, 0xff800000, v7, s1
	v_cmp_ne_u32_e64 s1, 6, v19
	v_mul_f32_e32 v20, 0x3fb8aa3b, v18
	s_and_b32 s0, vcc_lo, s0
	s_delay_alu instid0(SALU_CYCLE_1) | instskip(NEXT) | instid1(VALU_DEP_2)
	s_and_b32 vcc_lo, s17, s0
	v_cndmask_b32_e64 v9, 0xff800000, v9, s1
	v_cmp_ne_u32_e64 s1, 5, v19
	v_rndne_f32_e32 v22, v20
	v_cndmask_b32_e32 v21, 8, v21, vcc_lo
	global_store_b32 v[3:4], v21, off
	global_store_b32 v[1:2], v17, off
	v_add_nc_u32_e32 v17, s16, v17
	v_cndmask_b32_e64 v10, 0xff800000, v10, s1
	v_cmp_ne_u32_e64 s1, 4, v19
	v_add_co_u32 v1, vcc_lo, v1, 4
	v_add_co_ci_u32_e32 v2, vcc_lo, 0, v2, vcc_lo
	s_delay_alu instid0(VALU_DEP_3) | instskip(SKIP_3) | instid1(VALU_DEP_3)
	v_cndmask_b32_e64 v11, 0xff800000, v11, s1
	v_cmp_ne_u32_e64 s1, 3, v19
	v_add_co_u32 v3, vcc_lo, v3, 4
	v_add_co_ci_u32_e32 v4, vcc_lo, 0, v4, vcc_lo
	v_cndmask_b32_e64 v13, 0xff800000, v13, s1
	v_cmp_ne_u32_e64 s1, 2, v19
	v_cmp_ngt_f32_e32 vcc_lo, 0xc2ce8ed0, v18
	s_cmp_eq_u32 s2, 0
	s_delay_alu instid0(VALU_DEP_2) | instskip(SKIP_1) | instid1(VALU_DEP_1)
	v_cndmask_b32_e64 v14, 0xff800000, v14, s1
	v_cmp_ne_u32_e64 s1, 1, v19
	v_cndmask_b32_e64 v15, 0xff800000, v15, s1
	v_cmp_ne_u32_e64 s1, 0, v19
	v_fma_f32 v19, 0x3fb8aa3b, v18, -v20
	v_sub_f32_e32 v20, v20, v22
	v_cvt_i32_f32_e32 v22, v22
	s_delay_alu instid0(VALU_DEP_4) | instskip(NEXT) | instid1(VALU_DEP_4)
	v_cndmask_b32_e64 v16, 0xff800000, v16, s1
	v_fmac_f32_e32 v19, 0x32a5705f, v18
	s_delay_alu instid0(VALU_DEP_1) | instskip(NEXT) | instid1(VALU_DEP_1)
	v_add_f32_e32 v19, v20, v19
	v_exp_f32_e32 v19, v19
	s_waitcnt_depctr 0xfff
	v_ldexp_f32 v19, v19, v22
	s_delay_alu instid0(VALU_DEP_1) | instskip(SKIP_1) | instid1(VALU_DEP_2)
	v_cndmask_b32_e32 v19, 0, v19, vcc_lo
	v_cmp_nlt_f32_e32 vcc_lo, 0x42b17218, v18
	v_cndmask_b32_e32 v18, 0x7f800000, v19, vcc_lo
	global_store_b32 v[5:6], v18, off
	v_add_co_u32 v5, vcc_lo, v5, 4
	v_add_f32_e32 v12, v12, v18
	v_add_co_ci_u32_e32 v6, vcc_lo, 0, v6, vcc_lo
	s_cbranch_scc0 .LBB139_7
.LBB139_8:
	s_delay_alu instid0(VALU_DEP_3) | instskip(NEXT) | instid1(VALU_DEP_2)
	v_sub_f32_e32 v2, v15, v8
	v_sub_f32_e32 v1, v16, v8
	;; [unrolled: 1-line block ×5, first 2 shown]
	s_delay_alu instid0(VALU_DEP_4) | instskip(SKIP_1) | instid1(VALU_DEP_2)
	v_dual_mul_f32 v6, 0x3fb8aa3b, v2 :: v_dual_mul_f32 v5, 0x3fb8aa3b, v1
	v_cmp_ngt_f32_e32 vcc_lo, 0xc2ce8ed0, v1
	v_fma_f32 v17, 0x3fb8aa3b, v2, -v6
	s_delay_alu instid0(VALU_DEP_3) | instskip(SKIP_2) | instid1(VALU_DEP_4)
	v_fma_f32 v15, 0x3fb8aa3b, v1, -v5
	v_rndne_f32_e32 v16, v5
	v_rndne_f32_e32 v18, v6
	v_fmac_f32_e32 v17, 0x32a5705f, v2
	s_delay_alu instid0(VALU_DEP_2) | instskip(NEXT) | instid1(VALU_DEP_1)
	v_dual_fmac_f32 v15, 0x32a5705f, v1 :: v_dual_sub_f32 v6, v6, v18
	v_dual_sub_f32 v5, v5, v16 :: v_dual_add_f32 v6, v6, v17
	s_delay_alu instid0(VALU_DEP_1) | instskip(SKIP_2) | instid1(VALU_DEP_4)
	v_add_f32_e32 v5, v5, v15
	v_cvt_i32_f32_e32 v15, v16
	v_cvt_i32_f32_e32 v16, v18
	v_exp_f32_e32 v6, v6
	s_delay_alu instid0(VALU_DEP_3) | instskip(SKIP_3) | instid1(VALU_DEP_1)
	v_exp_f32_e32 v5, v5
	s_waitcnt_depctr 0xfff
	v_ldexp_f32 v6, v6, v16
	v_ldexp_f32 v5, v5, v15
	v_cndmask_b32_e32 v5, 0, v5, vcc_lo
	v_cmp_ngt_f32_e32 vcc_lo, 0xc2ce8ed0, v2
	s_delay_alu instid0(VALU_DEP_4) | instskip(NEXT) | instid1(VALU_DEP_1)
	v_dual_sub_f32 v3, v14, v8 :: v_dual_cndmask_b32 v6, 0, v6
	v_dual_sub_f32 v4, v13, v8 :: v_dual_mul_f32 v13, 0x3fb8aa3b, v3
	v_cmp_nlt_f32_e32 vcc_lo, 0x42b17218, v1
	s_delay_alu instid0(VALU_DEP_2) | instskip(SKIP_3) | instid1(VALU_DEP_4)
	v_fma_f32 v19, 0x3fb8aa3b, v3, -v13
	v_rndne_f32_e32 v20, v13
	v_cndmask_b32_e32 v1, 0x7f800000, v5, vcc_lo
	v_cmp_nlt_f32_e32 vcc_lo, 0x42b17218, v2
	v_fmac_f32_e32 v19, 0x32a5705f, v3
	s_delay_alu instid0(VALU_DEP_4) | instskip(SKIP_3) | instid1(VALU_DEP_4)
	v_sub_f32_e32 v13, v13, v20
	v_cvt_i32_f32_e32 v15, v20
	v_cndmask_b32_e32 v2, 0x7f800000, v6, vcc_lo
	v_sub_f32_e32 v6, v11, v8
	v_dual_mul_f32 v14, 0x3fb8aa3b, v4 :: v_dual_add_f32 v13, v13, v19
	v_cmp_ngt_f32_e32 vcc_lo, 0xc2ce8ed0, v3
	s_delay_alu instid0(VALU_DEP_2) | instskip(NEXT) | instid1(VALU_DEP_3)
	v_fma_f32 v21, 0x3fb8aa3b, v4, -v14
	v_exp_f32_e32 v13, v13
	v_rndne_f32_e32 v22, v14
	s_delay_alu instid0(VALU_DEP_1) | instskip(SKIP_4) | instid1(VALU_DEP_1)
	v_sub_f32_e32 v14, v14, v22
	v_cvt_i32_f32_e32 v11, v22
	s_waitcnt_depctr 0xfff
	v_ldexp_f32 v13, v13, v15
	v_mul_f32_e32 v15, 0x3fb8aa3b, v7
	v_rndne_f32_e32 v16, v15
	s_delay_alu instid0(VALU_DEP_3)
	v_cndmask_b32_e32 v5, 0, v13, vcc_lo
	v_cmp_nlt_f32_e32 vcc_lo, 0x42b17218, v3
	v_add_f32_e32 v1, v1, v2
	v_mul_f32_e32 v3, 0x3fb8aa3b, v6
	v_mul_f32_e32 v13, 0x3fb8aa3b, v9
	v_cndmask_b32_e32 v2, 0x7f800000, v5, vcc_lo
	v_cmp_ngt_f32_e32 vcc_lo, 0xc2ce8ed0, v4
	s_delay_alu instid0(VALU_DEP_3) | instskip(NEXT) | instid1(VALU_DEP_3)
	v_fma_f32 v8, 0x3fb8aa3b, v9, -v13
	v_add_f32_e32 v1, v1, v2
	v_fma_f32 v2, 0x3fb8aa3b, v6, -v3
	s_delay_alu instid0(VALU_DEP_3) | instskip(NEXT) | instid1(VALU_DEP_2)
	v_dual_fmac_f32 v21, 0x32a5705f, v4 :: v_dual_fmac_f32 v8, 0x32a5705f, v9
	v_fmac_f32_e32 v2, 0x32a5705f, v6
	s_delay_alu instid0(VALU_DEP_2) | instskip(NEXT) | instid1(VALU_DEP_1)
	v_add_f32_e32 v14, v14, v21
	v_exp_f32_e32 v14, v14
	s_waitcnt_depctr 0xfff
	v_ldexp_f32 v5, v14, v11
	v_rndne_f32_e32 v11, v3
	v_rndne_f32_e32 v14, v13
	s_delay_alu instid0(VALU_DEP_2) | instskip(SKIP_1) | instid1(VALU_DEP_2)
	v_sub_f32_e32 v3, v3, v11
	v_cvt_i32_f32_e32 v11, v11
	v_add_f32_e32 v2, v3, v2
	s_delay_alu instid0(VALU_DEP_1) | instskip(SKIP_4) | instid1(VALU_DEP_2)
	v_exp_f32_e32 v2, v2
	s_waitcnt_depctr 0xfff
	v_ldexp_f32 v2, v2, v11
	v_cndmask_b32_e32 v5, 0, v5, vcc_lo
	v_cmp_nlt_f32_e32 vcc_lo, 0x42b17218, v4
	v_cndmask_b32_e32 v4, 0x7f800000, v5, vcc_lo
	v_mul_f32_e32 v5, 0x3fb8aa3b, v10
	v_cmp_ngt_f32_e32 vcc_lo, 0xc2ce8ed0, v6
	s_delay_alu instid0(VALU_DEP_3) | instskip(NEXT) | instid1(VALU_DEP_3)
	v_add_f32_e32 v1, v1, v4
	v_fma_f32 v3, 0x3fb8aa3b, v10, -v5
	v_rndne_f32_e32 v4, v5
	v_cndmask_b32_e32 v2, 0, v2, vcc_lo
	v_cmp_nlt_f32_e32 vcc_lo, 0x42b17218, v6
	s_delay_alu instid0(VALU_DEP_4) | instskip(NEXT) | instid1(VALU_DEP_4)
	v_fmac_f32_e32 v3, 0x32a5705f, v10
	v_sub_f32_e32 v5, v5, v4
	v_cvt_i32_f32_e32 v4, v4
	v_cndmask_b32_e32 v2, 0x7f800000, v2, vcc_lo
	v_cmp_ngt_f32_e32 vcc_lo, 0xc2ce8ed0, v10
	s_delay_alu instid0(VALU_DEP_4) | instskip(SKIP_1) | instid1(VALU_DEP_4)
	v_add_f32_e32 v3, v5, v3
	v_sub_f32_e32 v5, v13, v14
	v_add_f32_e32 v1, v1, v2
	s_delay_alu instid0(VALU_DEP_3) | instskip(NEXT) | instid1(VALU_DEP_2)
	v_exp_f32_e32 v3, v3
	v_add_f32_e32 v5, v5, v8
	v_sub_f32_e32 v8, v15, v16
	s_delay_alu instid0(VALU_DEP_2) | instskip(SKIP_3) | instid1(VALU_DEP_2)
	v_exp_f32_e32 v5, v5
	s_waitcnt_depctr 0xfff
	v_ldexp_f32 v3, v3, v4
	v_cvt_i32_f32_e32 v4, v14
	v_cndmask_b32_e32 v3, 0, v3, vcc_lo
	v_cmp_nlt_f32_e32 vcc_lo, 0x42b17218, v10
	s_delay_alu instid0(VALU_DEP_3) | instskip(SKIP_1) | instid1(VALU_DEP_4)
	v_ldexp_f32 v2, v5, v4
	v_cvt_i32_f32_e32 v4, v16
	v_cndmask_b32_e32 v3, 0x7f800000, v3, vcc_lo
	v_cmp_ngt_f32_e32 vcc_lo, 0xc2ce8ed0, v9
	s_delay_alu instid0(VALU_DEP_2) | instskip(SKIP_1) | instid1(VALU_DEP_2)
	v_dual_add_f32 v1, v1, v3 :: v_dual_cndmask_b32 v2, 0, v2
	v_cmp_nlt_f32_e32 vcc_lo, 0x42b17218, v9
	v_cndmask_b32_e32 v2, 0x7f800000, v2, vcc_lo
	v_fma_f32 v13, 0x3fb8aa3b, v7, -v15
	v_cmp_ngt_f32_e32 vcc_lo, 0xc2ce8ed0, v7
	s_delay_alu instid0(VALU_DEP_3) | instskip(NEXT) | instid1(VALU_DEP_3)
	v_add_f32_e32 v1, v1, v2
	v_fmac_f32_e32 v13, 0x32a5705f, v7
	s_delay_alu instid0(VALU_DEP_1) | instskip(NEXT) | instid1(VALU_DEP_1)
	v_add_f32_e32 v8, v8, v13
	v_exp_f32_e32 v6, v8
	s_waitcnt_depctr 0xfff
	v_ldexp_f32 v4, v6, v4
	s_delay_alu instid0(VALU_DEP_1) | instskip(SKIP_1) | instid1(VALU_DEP_2)
	v_cndmask_b32_e32 v3, 0, v4, vcc_lo
	v_cmp_nlt_f32_e32 vcc_lo, 0x42b17218, v7
	v_cndmask_b32_e32 v2, 0x7f800000, v3, vcc_lo
	s_delay_alu instid0(VALU_DEP_1) | instskip(NEXT) | instid1(VALU_DEP_1)
	v_add_f32_e32 v1, v1, v2
	v_add_f32_e32 v2, v12, v1
	s_delay_alu instid0(VALU_DEP_1)
	v_cmp_neq_f32_e32 vcc_lo, 0, v2
	s_and_b32 exec_lo, exec_lo, vcc_lo
	s_cbranch_execz .LBB139_12
; %bb.9:
	s_and_not1_b32 vcc_lo, exec_lo, s11
	s_cbranch_vccnz .LBB139_12
; %bb.10:
	v_div_scale_f32 v1, null, v2, v2, 1.0
	v_div_scale_f32 v5, vcc_lo, 1.0, v2, 1.0
	s_delay_alu instid0(VALU_DEP_2) | instskip(SKIP_2) | instid1(VALU_DEP_1)
	v_rcp_f32_e32 v3, v1
	s_waitcnt_depctr 0xfff
	v_fma_f32 v4, -v1, v3, 1.0
	v_fmac_f32_e32 v3, v4, v3
	s_delay_alu instid0(VALU_DEP_1) | instskip(NEXT) | instid1(VALU_DEP_1)
	v_mul_f32_e32 v4, v5, v3
	v_fma_f32 v6, -v1, v4, v5
	s_delay_alu instid0(VALU_DEP_1) | instskip(NEXT) | instid1(VALU_DEP_1)
	v_fmac_f32_e32 v4, v6, v3
	v_fma_f32 v5, -v1, v4, v5
	v_ashrrev_i32_e32 v1, 31, v0
	s_delay_alu instid0(VALU_DEP_2) | instskip(NEXT) | instid1(VALU_DEP_2)
	v_div_fmas_f32 v3, v5, v3, v4
	v_lshlrev_b64 v[0:1], 2, v[0:1]
	s_delay_alu instid0(VALU_DEP_2) | instskip(NEXT) | instid1(VALU_DEP_2)
	v_div_fixup_f32 v2, v3, v2, 1.0
	v_add_co_u32 v0, vcc_lo, s12, v0
	s_delay_alu instid0(VALU_DEP_3)
	v_add_co_ci_u32_e32 v1, vcc_lo, s13, v1, vcc_lo
.LBB139_11:                             ; =>This Inner Loop Header: Depth=1
	global_load_b32 v3, v[0:1], off
	s_add_i32 s8, s8, -1
	s_delay_alu instid0(SALU_CYCLE_1)
	s_cmp_lg_u32 s8, 0
	s_waitcnt vmcnt(0)
	v_mul_f32_e32 v3, v2, v3
	global_store_b32 v[0:1], v3, off
	v_add_co_u32 v0, vcc_lo, v0, 4
	v_add_co_ci_u32_e32 v1, vcc_lo, 0, v1, vcc_lo
	s_cbranch_scc1 .LBB139_11
.LBB139_12:
	s_nop 0
	s_sendmsg sendmsg(MSG_DEALLOC_VGPRS)
	s_endpgm
	.section	.rodata,"a",@progbits
	.p2align	6, 0x0
	.amdhsa_kernel _ZN4vllm3moe17topkGatingSoftmaxIDF16_Li8ELi8ELi8ELi16ELb0ELi1ELNS0_23SharedExpertScoringFuncE1EEEvPKT_PKbPfiPiS9_iiiiii
		.amdhsa_group_segment_fixed_size 0
		.amdhsa_private_segment_fixed_size 0
		.amdhsa_kernarg_size 72
		.amdhsa_user_sgpr_count 15
		.amdhsa_user_sgpr_dispatch_ptr 0
		.amdhsa_user_sgpr_queue_ptr 0
		.amdhsa_user_sgpr_kernarg_segment_ptr 1
		.amdhsa_user_sgpr_dispatch_id 0
		.amdhsa_user_sgpr_private_segment_size 0
		.amdhsa_wavefront_size32 1
		.amdhsa_uses_dynamic_stack 0
		.amdhsa_enable_private_segment 0
		.amdhsa_system_sgpr_workgroup_id_x 1
		.amdhsa_system_sgpr_workgroup_id_y 0
		.amdhsa_system_sgpr_workgroup_id_z 0
		.amdhsa_system_sgpr_workgroup_info 0
		.amdhsa_system_vgpr_workitem_id 1
		.amdhsa_next_free_vgpr 26
		.amdhsa_next_free_sgpr 19
		.amdhsa_reserve_vcc 1
		.amdhsa_float_round_mode_32 0
		.amdhsa_float_round_mode_16_64 0
		.amdhsa_float_denorm_mode_32 3
		.amdhsa_float_denorm_mode_16_64 3
		.amdhsa_dx10_clamp 1
		.amdhsa_ieee_mode 1
		.amdhsa_fp16_overflow 0
		.amdhsa_workgroup_processor_mode 1
		.amdhsa_memory_ordered 1
		.amdhsa_forward_progress 0
		.amdhsa_shared_vgpr_count 0
		.amdhsa_exception_fp_ieee_invalid_op 0
		.amdhsa_exception_fp_denorm_src 0
		.amdhsa_exception_fp_ieee_div_zero 0
		.amdhsa_exception_fp_ieee_overflow 0
		.amdhsa_exception_fp_ieee_underflow 0
		.amdhsa_exception_fp_ieee_inexact 0
		.amdhsa_exception_int_div_zero 0
	.end_amdhsa_kernel
	.section	.text._ZN4vllm3moe17topkGatingSoftmaxIDF16_Li8ELi8ELi8ELi16ELb0ELi1ELNS0_23SharedExpertScoringFuncE1EEEvPKT_PKbPfiPiS9_iiiiii,"axG",@progbits,_ZN4vllm3moe17topkGatingSoftmaxIDF16_Li8ELi8ELi8ELi16ELb0ELi1ELNS0_23SharedExpertScoringFuncE1EEEvPKT_PKbPfiPiS9_iiiiii,comdat
.Lfunc_end139:
	.size	_ZN4vllm3moe17topkGatingSoftmaxIDF16_Li8ELi8ELi8ELi16ELb0ELi1ELNS0_23SharedExpertScoringFuncE1EEEvPKT_PKbPfiPiS9_iiiiii, .Lfunc_end139-_ZN4vllm3moe17topkGatingSoftmaxIDF16_Li8ELi8ELi8ELi16ELb0ELi1ELNS0_23SharedExpertScoringFuncE1EEEvPKT_PKbPfiPiS9_iiiiii
                                        ; -- End function
	.section	.AMDGPU.csdata,"",@progbits
; Kernel info:
; codeLenInByte = 2824
; NumSgprs: 21
; NumVgprs: 26
; ScratchSize: 0
; MemoryBound: 0
; FloatMode: 240
; IeeeMode: 1
; LDSByteSize: 0 bytes/workgroup (compile time only)
; SGPRBlocks: 2
; VGPRBlocks: 3
; NumSGPRsForWavesPerEU: 21
; NumVGPRsForWavesPerEU: 26
; Occupancy: 16
; WaveLimiterHint : 0
; COMPUTE_PGM_RSRC2:SCRATCH_EN: 0
; COMPUTE_PGM_RSRC2:USER_SGPR: 15
; COMPUTE_PGM_RSRC2:TRAP_HANDLER: 0
; COMPUTE_PGM_RSRC2:TGID_X_EN: 1
; COMPUTE_PGM_RSRC2:TGID_Y_EN: 0
; COMPUTE_PGM_RSRC2:TGID_Z_EN: 0
; COMPUTE_PGM_RSRC2:TIDIG_COMP_CNT: 1
	.section	.text._ZN4vllm3moe17topkGatingSoftmaxIDF16_Li8ELi8ELi8ELi16ELb1ELi2ELNS0_23SharedExpertScoringFuncE1EEEvPKT_PKbPfiPiS9_iiiiii,"axG",@progbits,_ZN4vllm3moe17topkGatingSoftmaxIDF16_Li8ELi8ELi8ELi16ELb1ELi2ELNS0_23SharedExpertScoringFuncE1EEEvPKT_PKbPfiPiS9_iiiiii,comdat
	.protected	_ZN4vllm3moe17topkGatingSoftmaxIDF16_Li8ELi8ELi8ELi16ELb1ELi2ELNS0_23SharedExpertScoringFuncE1EEEvPKT_PKbPfiPiS9_iiiiii ; -- Begin function _ZN4vllm3moe17topkGatingSoftmaxIDF16_Li8ELi8ELi8ELi16ELb1ELi2ELNS0_23SharedExpertScoringFuncE1EEEvPKT_PKbPfiPiS9_iiiiii
	.globl	_ZN4vllm3moe17topkGatingSoftmaxIDF16_Li8ELi8ELi8ELi16ELb1ELi2ELNS0_23SharedExpertScoringFuncE1EEEvPKT_PKbPfiPiS9_iiiiii
	.p2align	8
	.type	_ZN4vllm3moe17topkGatingSoftmaxIDF16_Li8ELi8ELi8ELi16ELb1ELi2ELNS0_23SharedExpertScoringFuncE1EEEvPKT_PKbPfiPiS9_iiiiii,@function
_ZN4vllm3moe17topkGatingSoftmaxIDF16_Li8ELi8ELi8ELi16ELb1ELi2ELNS0_23SharedExpertScoringFuncE1EEEvPKT_PKbPfiPiS9_iiiiii: ; @_ZN4vllm3moe17topkGatingSoftmaxIDF16_Li8ELi8ELi8ELi16ELb1ELi2ELNS0_23SharedExpertScoringFuncE1EEEvPKT_PKbPfiPiS9_iiiiii
; %bb.0:
	s_load_b32 s3, s[0:1], 0x18
	v_bfe_u32 v1, v0, 10, 10
	v_and_b32_e32 v8, 0x3ff, v0
	s_lshl_b32 s15, s15, 8
	s_mov_b32 s2, exec_lo
	s_delay_alu instid0(VALU_DEP_2) | instskip(NEXT) | instid1(VALU_DEP_1)
	v_lshlrev_b32_e32 v7, 5, v1
	v_add3_u32 v10, v7, v8, s15
	s_waitcnt lgkmcnt(0)
	s_delay_alu instid0(VALU_DEP_1)
	v_cmpx_gt_i32_e64 s3, v10
	s_cbranch_execz .LBB140_12
; %bb.1:
	s_clause 0x1
	s_load_b128 s[4:7], s[0:1], 0x0
	s_load_b64 s[12:13], s[0:1], 0x10
	s_waitcnt lgkmcnt(0)
	s_cmp_eq_u64 s[6:7], 0
	s_cbranch_scc1 .LBB140_3
; %bb.2:
	v_ashrrev_i32_e32 v1, 31, v10
	v_add_co_u32 v0, vcc_lo, s6, v10
	s_delay_alu instid0(VALU_DEP_2) | instskip(SKIP_3) | instid1(VALU_DEP_1)
	v_add_co_ci_u32_e32 v1, vcc_lo, s7, v1, vcc_lo
	global_load_u8 v0, v[0:1], off
	s_waitcnt vmcnt(0)
	v_and_b32_e32 v0, 1, v0
	v_cmp_eq_u32_e32 vcc_lo, 1, v0
	s_xor_b32 s2, vcc_lo, -1
	s_delay_alu instid0(SALU_CYCLE_1)
	s_or_not1_b32 s14, s2, exec_lo
	s_branch .LBB140_4
.LBB140_3:
	s_mov_b32 s14, -1
.LBB140_4:
	s_load_b64 s[8:9], s[0:1], 0x40
	s_mov_b32 s2, 0x3fb8aa3b
	s_waitcnt lgkmcnt(0)
	v_mul_lo_u32 v0, v10, s9
	s_delay_alu instid0(VALU_DEP_1) | instskip(NEXT) | instid1(VALU_DEP_1)
	v_ashrrev_i32_e32 v1, 31, v0
	v_lshlrev_b64 v[0:1], 1, v[0:1]
	s_delay_alu instid0(VALU_DEP_1) | instskip(NEXT) | instid1(VALU_DEP_2)
	v_add_co_u32 v0, vcc_lo, s4, v0
	v_add_co_ci_u32_e32 v1, vcc_lo, s5, v1, vcc_lo
	s_mov_b32 s4, 0x32a5705f
	s_clause 0x1
	global_load_b32 v4, v[0:1], off offset:16
	global_load_b128 v[0:3], v[0:1], off
	s_waitcnt vmcnt(1)
	v_lshrrev_b32_e32 v5, 16, v4
	v_cvt_f32_f16_e64 v6, -v4
	s_delay_alu instid0(VALU_DEP_2) | instskip(NEXT) | instid1(VALU_DEP_2)
	v_cvt_f32_f16_e64 v5, -v5
	v_cmp_ngt_f32_e32 vcc_lo, 0xc2ce8ed0, v6
	s_delay_alu instid0(VALU_DEP_2) | instskip(NEXT) | instid1(VALU_DEP_1)
	v_mul_f32_e32 v11, 0x3fb8aa3b, v5
	v_rndne_f32_e32 v15, v11
	v_fma_mix_f32 v14, -v4, s2, -v11 op_sel:[1,0,0] op_sel_hi:[1,0,0]
	s_delay_alu instid0(VALU_DEP_2) | instskip(SKIP_1) | instid1(VALU_DEP_1)
	v_sub_f32_e32 v11, v11, v15
	v_mul_f32_e32 v9, 0x3fb8aa3b, v6
	v_fma_mix_f32 v12, -v4, s2, -v9 op_sel_hi:[1,0,0]
	s_delay_alu instid0(VALU_DEP_1) | instskip(SKIP_2) | instid1(VALU_DEP_1)
	v_fma_mix_f32 v12, -v4, s4, v12 op_sel_hi:[1,0,0]
	v_fma_mix_f32 v4, -v4, s4, v14 op_sel:[1,0,0] op_sel_hi:[1,0,0]
	s_load_b128 s[4:7], s[0:1], 0x30
	v_add_f32_e32 v4, v11, v4
	v_rndne_f32_e32 v13, v9
	s_delay_alu instid0(VALU_DEP_2) | instskip(NEXT) | instid1(VALU_DEP_1)
	v_exp_f32_e32 v4, v4
	v_sub_f32_e32 v9, v9, v13
	v_cvt_i32_f32_e32 v11, v13
	s_delay_alu instid0(VALU_DEP_2) | instskip(SKIP_1) | instid1(VALU_DEP_2)
	v_add_f32_e32 v9, v9, v12
	v_cvt_i32_f32_e32 v12, v15
	v_exp_f32_e32 v9, v9
	s_waitcnt_depctr 0xfff
	v_ldexp_f32 v4, v4, v12
	s_waitcnt lgkmcnt(0)
	s_cmp_gt_i32 s4, 0
	v_ldexp_f32 v9, v9, v11
	s_delay_alu instid0(VALU_DEP_1) | instskip(SKIP_3) | instid1(VALU_DEP_4)
	v_cndmask_b32_e32 v9, 0, v9, vcc_lo
	v_cmp_ngt_f32_e32 vcc_lo, 0xc2ce8ed0, v5
	v_cndmask_b32_e32 v4, 0, v4, vcc_lo
	v_cmp_nlt_f32_e32 vcc_lo, 0x42b17218, v6
	v_cndmask_b32_e32 v6, 0x7f800000, v9, vcc_lo
	v_cmp_nlt_f32_e32 vcc_lo, 0x42b17218, v5
	s_delay_alu instid0(VALU_DEP_2) | instskip(NEXT) | instid1(VALU_DEP_1)
	v_dual_add_f32 v9, 1.0, v6 :: v_dual_cndmask_b32 v4, 0x7f800000, v4
	v_div_scale_f32 v12, null, v9, v9, 1.0
	s_delay_alu instid0(VALU_DEP_2) | instskip(SKIP_1) | instid1(VALU_DEP_3)
	v_add_f32_e32 v11, 1.0, v4
	v_div_scale_f32 v16, vcc_lo, 1.0, v9, 1.0
	v_rcp_f32_e32 v14, v12
	s_waitcnt_depctr 0xfff
	v_fma_f32 v4, -v12, v14, 1.0
	s_delay_alu instid0(VALU_DEP_1) | instskip(SKIP_1) | instid1(VALU_DEP_2)
	v_fmac_f32_e32 v14, v4, v14
	v_mul_lo_u32 v4, v10, s7
	v_mul_f32_e32 v18, v16, v14
	s_delay_alu instid0(VALU_DEP_1) | instskip(NEXT) | instid1(VALU_DEP_1)
	v_fma_f32 v6, -v12, v18, v16
	v_fmac_f32_e32 v18, v6, v14
	v_div_scale_f32 v13, null, v11, v11, 1.0
	v_div_scale_f32 v17, s2, 1.0, v11, 1.0
	s_delay_alu instid0(VALU_DEP_3) | instskip(NEXT) | instid1(VALU_DEP_3)
	v_fma_f32 v12, -v12, v18, v16
	v_rcp_f32_e32 v15, v13
	s_delay_alu instid0(VALU_DEP_1) | instskip(SKIP_3) | instid1(VALU_DEP_1)
	v_div_fmas_f32 v12, v12, v14, v18
	s_mov_b32 vcc_lo, s2
	s_cselect_b32 s2, -1, 0
	s_cmp_lt_i32 s4, 1
	v_div_fixup_f32 v12, v12, v9, 1.0
	s_waitcnt_depctr 0xfff
	v_fma_f32 v5, -v13, v15, 1.0
	s_delay_alu instid0(VALU_DEP_1) | instskip(SKIP_1) | instid1(VALU_DEP_2)
	v_fmac_f32_e32 v15, v5, v15
	v_add_nc_u32_e32 v5, s4, v4
	v_mul_f32_e32 v19, v17, v15
	s_delay_alu instid0(VALU_DEP_2) | instskip(NEXT) | instid1(VALU_DEP_2)
	v_ashrrev_i32_e32 v6, 31, v5
	v_fma_f32 v20, -v13, v19, v17
	s_delay_alu instid0(VALU_DEP_2) | instskip(NEXT) | instid1(VALU_DEP_2)
	v_lshlrev_b64 v[5:6], 2, v[5:6]
	v_fmac_f32_e32 v19, v20, v15
	s_delay_alu instid0(VALU_DEP_1) | instskip(NEXT) | instid1(VALU_DEP_1)
	v_fma_f32 v13, -v13, v19, v17
	v_div_fmas_f32 v13, v13, v15, v19
	s_delay_alu instid0(VALU_DEP_4) | instskip(SKIP_1) | instid1(VALU_DEP_3)
	v_add_co_u32 v5, vcc_lo, s12, v5
	v_add_co_ci_u32_e32 v6, vcc_lo, s13, v6, vcc_lo
	v_div_fixup_f32 v13, v13, v11, 1.0
	v_mov_b32_e32 v11, 0
	global_store_b64 v[5:6], v[12:13], off
	s_cbranch_scc1 .LBB140_8
; %bb.5:
	s_waitcnt vmcnt(0)
	v_lshrrev_b32_e32 v5, 16, v0
	v_cvt_f32_f16_e32 v18, v0
	v_cvt_f32_f16_e32 v16, v1
	v_lshrrev_b32_e32 v1, 16, v1
	v_cvt_f32_f16_e32 v14, v2
	v_cvt_f32_f16_e32 v17, v5
	v_cmp_lt_f16_e32 vcc_lo, v0, v5
	v_lshrrev_b32_e32 v2, 16, v2
	v_cvt_f32_f16_e32 v15, v1
	v_cvt_f32_f16_e32 v12, v3
	v_cndmask_b32_e32 v5, v18, v17, vcc_lo
	v_cndmask_b32_e64 v0, 0, 1, vcc_lo
	v_cvt_f32_f16_e32 v13, v2
	v_lshrrev_b32_e32 v2, 16, v3
	s_delay_alu instid0(VALU_DEP_4) | instskip(NEXT) | instid1(VALU_DEP_2)
	v_cmp_lt_f32_e32 vcc_lo, v5, v16
	v_cvt_f32_f16_e32 v20, v2
	v_mul_lo_u32 v2, v10, s4
	v_cndmask_b32_e32 v1, v5, v16, vcc_lo
	v_cndmask_b32_e64 v0, v0, 2, vcc_lo
	v_ashrrev_i32_e32 v5, 31, v4
	s_delay_alu instid0(VALU_DEP_3) | instskip(NEXT) | instid1(VALU_DEP_2)
	v_cmp_lt_f32_e32 vcc_lo, v1, v15
	v_lshlrev_b64 v[5:6], 2, v[4:5]
	v_cndmask_b32_e32 v1, v1, v15, vcc_lo
	v_cndmask_b32_e64 v0, v0, 3, vcc_lo
	s_delay_alu instid0(VALU_DEP_2) | instskip(SKIP_1) | instid1(VALU_DEP_3)
	v_cmp_lt_f32_e32 vcc_lo, v1, v14
	v_cndmask_b32_e32 v1, v1, v14, vcc_lo
	v_cndmask_b32_e64 v0, v0, 4, vcc_lo
	s_delay_alu instid0(VALU_DEP_2) | instskip(SKIP_1) | instid1(VALU_DEP_3)
	v_cmp_lt_f32_e32 vcc_lo, v1, v13
	;; [unrolled: 4-line block ×4, first 2 shown]
	v_cndmask_b32_e32 v9, v1, v20, vcc_lo
	v_cndmask_b32_e64 v19, v0, 7, vcc_lo
	v_add_co_u32 v5, vcc_lo, s12, v5
	v_add_co_ci_u32_e32 v6, vcc_lo, s13, v6, vcc_lo
	s_delay_alu instid0(VALU_DEP_4) | instskip(NEXT) | instid1(VALU_DEP_4)
	v_sub_f32_e32 v11, v9, v9
	v_cmp_le_i32_e32 vcc_lo, s5, v19
	v_subrev_nc_u32_e32 v23, s5, v19
	s_delay_alu instid0(VALU_DEP_3) | instskip(NEXT) | instid1(VALU_DEP_1)
	v_mul_f32_e32 v0, 0x3fb8aa3b, v11
	v_fma_f32 v1, 0x3fb8aa3b, v11, -v0
	v_rndne_f32_e32 v21, v0
	s_delay_alu instid0(VALU_DEP_2) | instskip(NEXT) | instid1(VALU_DEP_2)
	v_fmac_f32_e32 v1, 0x32a5705f, v11
	v_sub_f32_e32 v3, v0, v21
	v_mul_lo_u32 v0, v10, s8
	s_load_b128 s[8:11], s[0:1], 0x20
	v_cvt_i32_f32_e32 v21, v21
	v_cmp_gt_i32_e64 s0, s6, v19
	v_add_f32_e32 v3, v3, v1
	s_delay_alu instid0(VALU_DEP_4) | instskip(NEXT) | instid1(VALU_DEP_2)
	v_ashrrev_i32_e32 v1, 31, v0
	v_exp_f32_e32 v22, v3
	s_delay_alu instid0(VALU_DEP_3) | instskip(SKIP_3) | instid1(VALU_DEP_2)
	s_and_b32 s0, vcc_lo, s0
	v_cmp_ngt_f32_e32 vcc_lo, 0xc2ce8ed0, v11
	v_ashrrev_i32_e32 v3, 31, v2
	v_lshlrev_b64 v[0:1], 2, v[0:1]
	v_lshlrev_b64 v[2:3], 2, v[2:3]
	s_waitcnt_depctr 0xfff
	v_ldexp_f32 v21, v22, v21
	s_delay_alu instid0(VALU_DEP_1)
	v_cndmask_b32_e32 v24, 0, v21, vcc_lo
	s_waitcnt lgkmcnt(0)
	v_add_co_u32 v21, vcc_lo, s8, v0
	v_add_co_ci_u32_e32 v22, vcc_lo, s9, v1, vcc_lo
	s_and_b32 vcc_lo, s14, s0
	s_cmp_eq_u32 s4, 1
	v_cndmask_b32_e32 v25, 8, v23, vcc_lo
	v_cmp_nlt_f32_e32 vcc_lo, 0x42b17218, v11
	v_cndmask_b32_e32 v11, 0x7f800000, v24, vcc_lo
	v_add_co_u32 v23, vcc_lo, s10, v2
	v_add_co_ci_u32_e32 v24, vcc_lo, s11, v3, vcc_lo
	global_store_b32 v[21:22], v25, off
	global_store_b32 v[5:6], v11, off
	;; [unrolled: 1-line block ×3, first 2 shown]
	s_cbranch_scc1 .LBB140_8
; %bb.6:
	v_cmp_ne_u32_e32 vcc_lo, 7, v19
	s_add_i32 s15, s15, s3
	s_add_i32 s7, s4, -1
	v_add3_u32 v7, s15, v8, v7
	v_cndmask_b32_e32 v10, 0xff800000, v20, vcc_lo
	v_cmp_ne_u32_e32 vcc_lo, 6, v19
	v_cndmask_b32_e32 v12, 0xff800000, v12, vcc_lo
	v_cmp_ne_u32_e32 vcc_lo, 5, v19
	;; [unrolled: 2-line block ×7, first 2 shown]
	v_cndmask_b32_e32 v18, 0xff800000, v18, vcc_lo
	v_add_co_u32 v2, vcc_lo, v2, s10
	v_add_co_ci_u32_e32 v3, vcc_lo, s11, v3, vcc_lo
	v_add_co_u32 v19, vcc_lo, v0, s8
	v_add_co_ci_u32_e32 v20, vcc_lo, s9, v1, vcc_lo
	s_delay_alu instid0(VALU_DEP_4) | instskip(NEXT) | instid1(VALU_DEP_4)
	v_add_co_u32 v0, vcc_lo, v2, 4
	v_add_co_ci_u32_e32 v1, vcc_lo, 0, v3, vcc_lo
	s_delay_alu instid0(VALU_DEP_4) | instskip(NEXT) | instid1(VALU_DEP_4)
	v_add_co_u32 v2, vcc_lo, v19, 4
	v_add_co_ci_u32_e32 v3, vcc_lo, 0, v20, vcc_lo
	v_add_co_u32 v5, vcc_lo, v5, 4
	v_add_co_ci_u32_e32 v6, vcc_lo, 0, v6, vcc_lo
.LBB140_7:                              ; =>This Inner Loop Header: Depth=1
	v_cmp_gt_f32_e32 vcc_lo, v17, v18
	s_add_i32 s7, s7, -1
	v_cndmask_b32_e32 v8, v18, v17, vcc_lo
	v_cndmask_b32_e64 v19, 0, 1, vcc_lo
	s_delay_alu instid0(VALU_DEP_2) | instskip(SKIP_1) | instid1(VALU_DEP_3)
	v_cmp_gt_f32_e32 vcc_lo, v16, v8
	v_cndmask_b32_e32 v8, v8, v16, vcc_lo
	v_cndmask_b32_e64 v19, v19, 2, vcc_lo
	s_delay_alu instid0(VALU_DEP_2) | instskip(SKIP_1) | instid1(VALU_DEP_3)
	v_cmp_gt_f32_e32 vcc_lo, v15, v8
	;; [unrolled: 4-line block ×5, first 2 shown]
	v_cndmask_b32_e32 v8, v8, v12, vcc_lo
	v_cndmask_b32_e64 v19, v19, 6, vcc_lo
	s_delay_alu instid0(VALU_DEP_2) | instskip(NEXT) | instid1(VALU_DEP_2)
	v_cmp_gt_f32_e32 vcc_lo, v10, v8
	v_cndmask_b32_e64 v19, v19, 7, vcc_lo
	v_cndmask_b32_e32 v8, v8, v10, vcc_lo
	s_delay_alu instid0(VALU_DEP_2) | instskip(NEXT) | instid1(VALU_DEP_2)
	v_cmp_ne_u32_e64 s1, 7, v19
	v_sub_f32_e32 v8, v8, v9
	v_cmp_le_i32_e32 vcc_lo, s5, v19
	v_cmp_gt_i32_e64 s0, s6, v19
	v_subrev_nc_u32_e32 v21, s5, v19
	v_cndmask_b32_e64 v10, 0xff800000, v10, s1
	v_cmp_ne_u32_e64 s1, 6, v19
	v_mul_f32_e32 v20, 0x3fb8aa3b, v8
	s_and_b32 s0, vcc_lo, s0
	s_delay_alu instid0(SALU_CYCLE_1) | instskip(NEXT) | instid1(VALU_DEP_2)
	s_and_b32 vcc_lo, s14, s0
	v_cndmask_b32_e64 v12, 0xff800000, v12, s1
	v_cmp_ne_u32_e64 s1, 5, v19
	v_rndne_f32_e32 v22, v20
	v_cndmask_b32_e32 v21, 8, v21, vcc_lo
	global_store_b32 v[2:3], v21, off
	global_store_b32 v[0:1], v7, off
	v_cndmask_b32_e64 v13, 0xff800000, v13, s1
	v_cmp_ne_u32_e64 s1, 4, v19
	v_add_co_u32 v0, vcc_lo, v0, 4
	v_add_co_ci_u32_e32 v1, vcc_lo, 0, v1, vcc_lo
	s_delay_alu instid0(VALU_DEP_3) | instskip(SKIP_3) | instid1(VALU_DEP_3)
	v_cndmask_b32_e64 v14, 0xff800000, v14, s1
	v_cmp_ne_u32_e64 s1, 3, v19
	v_add_co_u32 v2, vcc_lo, v2, 4
	v_add_co_ci_u32_e32 v3, vcc_lo, 0, v3, vcc_lo
	v_cndmask_b32_e64 v15, 0xff800000, v15, s1
	v_cmp_ne_u32_e64 s1, 2, v19
	v_cmp_ngt_f32_e32 vcc_lo, 0xc2ce8ed0, v8
	v_add_nc_u32_e32 v7, s3, v7
	s_cmp_eq_u32 s7, 0
	s_delay_alu instid0(VALU_DEP_3) | instskip(SKIP_1) | instid1(VALU_DEP_1)
	v_cndmask_b32_e64 v16, 0xff800000, v16, s1
	v_cmp_ne_u32_e64 s1, 1, v19
	v_cndmask_b32_e64 v17, 0xff800000, v17, s1
	v_cmp_ne_u32_e64 s1, 0, v19
	v_fma_f32 v19, 0x3fb8aa3b, v8, -v20
	v_sub_f32_e32 v20, v20, v22
	v_cvt_i32_f32_e32 v22, v22
	s_delay_alu instid0(VALU_DEP_4) | instskip(NEXT) | instid1(VALU_DEP_4)
	v_cndmask_b32_e64 v18, 0xff800000, v18, s1
	v_fmac_f32_e32 v19, 0x32a5705f, v8
	s_delay_alu instid0(VALU_DEP_1) | instskip(NEXT) | instid1(VALU_DEP_1)
	v_add_f32_e32 v19, v20, v19
	v_exp_f32_e32 v19, v19
	s_waitcnt_depctr 0xfff
	v_ldexp_f32 v19, v19, v22
	s_delay_alu instid0(VALU_DEP_1) | instskip(SKIP_1) | instid1(VALU_DEP_2)
	v_cndmask_b32_e32 v19, 0, v19, vcc_lo
	v_cmp_nlt_f32_e32 vcc_lo, 0x42b17218, v8
	v_cndmask_b32_e32 v8, 0x7f800000, v19, vcc_lo
	global_store_b32 v[5:6], v8, off
	v_add_co_u32 v5, vcc_lo, v5, 4
	v_add_f32_e32 v11, v11, v8
	v_add_co_ci_u32_e32 v6, vcc_lo, 0, v6, vcc_lo
	s_cbranch_scc0 .LBB140_7
.LBB140_8:
	s_delay_alu instid0(VALU_DEP_2)
	v_cmp_neq_f32_e32 vcc_lo, 0, v11
	s_and_b32 exec_lo, exec_lo, vcc_lo
	s_cbranch_execz .LBB140_12
; %bb.9:
	s_and_not1_b32 vcc_lo, exec_lo, s2
	s_cbranch_vccnz .LBB140_12
; %bb.10:
	s_waitcnt vmcnt(0)
	v_div_scale_f32 v0, null, v11, v11, 1.0
	v_div_scale_f32 v3, vcc_lo, 1.0, v11, 1.0
	s_delay_alu instid0(VALU_DEP_2) | instskip(SKIP_2) | instid1(VALU_DEP_1)
	v_rcp_f32_e32 v1, v0
	s_waitcnt_depctr 0xfff
	v_fma_f32 v2, -v0, v1, 1.0
	v_fmac_f32_e32 v1, v2, v1
	s_delay_alu instid0(VALU_DEP_1) | instskip(NEXT) | instid1(VALU_DEP_1)
	v_mul_f32_e32 v2, v3, v1
	v_fma_f32 v5, -v0, v2, v3
	s_delay_alu instid0(VALU_DEP_1) | instskip(SKIP_1) | instid1(VALU_DEP_2)
	v_fmac_f32_e32 v2, v5, v1
	v_ashrrev_i32_e32 v5, 31, v4
	v_fma_f32 v0, -v0, v2, v3
	s_delay_alu instid0(VALU_DEP_1) | instskip(NEXT) | instid1(VALU_DEP_3)
	v_div_fmas_f32 v2, v0, v1, v2
	v_lshlrev_b64 v[0:1], 2, v[4:5]
	s_delay_alu instid0(VALU_DEP_2) | instskip(NEXT) | instid1(VALU_DEP_2)
	v_div_fixup_f32 v2, v2, v11, 1.0
	v_add_co_u32 v0, vcc_lo, s12, v0
	s_delay_alu instid0(VALU_DEP_3)
	v_add_co_ci_u32_e32 v1, vcc_lo, s13, v1, vcc_lo
.LBB140_11:                             ; =>This Inner Loop Header: Depth=1
	global_load_b32 v3, v[0:1], off
	s_add_i32 s4, s4, -1
	s_delay_alu instid0(SALU_CYCLE_1)
	s_cmp_lg_u32 s4, 0
	s_waitcnt vmcnt(0)
	v_mul_f32_e32 v3, v2, v3
	global_store_b32 v[0:1], v3, off
	v_add_co_u32 v0, vcc_lo, v0, 4
	v_add_co_ci_u32_e32 v1, vcc_lo, 0, v1, vcc_lo
	s_cbranch_scc1 .LBB140_11
.LBB140_12:
	s_nop 0
	s_sendmsg sendmsg(MSG_DEALLOC_VGPRS)
	s_endpgm
	.section	.rodata,"a",@progbits
	.p2align	6, 0x0
	.amdhsa_kernel _ZN4vllm3moe17topkGatingSoftmaxIDF16_Li8ELi8ELi8ELi16ELb1ELi2ELNS0_23SharedExpertScoringFuncE1EEEvPKT_PKbPfiPiS9_iiiiii
		.amdhsa_group_segment_fixed_size 0
		.amdhsa_private_segment_fixed_size 0
		.amdhsa_kernarg_size 72
		.amdhsa_user_sgpr_count 15
		.amdhsa_user_sgpr_dispatch_ptr 0
		.amdhsa_user_sgpr_queue_ptr 0
		.amdhsa_user_sgpr_kernarg_segment_ptr 1
		.amdhsa_user_sgpr_dispatch_id 0
		.amdhsa_user_sgpr_private_segment_size 0
		.amdhsa_wavefront_size32 1
		.amdhsa_uses_dynamic_stack 0
		.amdhsa_enable_private_segment 0
		.amdhsa_system_sgpr_workgroup_id_x 1
		.amdhsa_system_sgpr_workgroup_id_y 0
		.amdhsa_system_sgpr_workgroup_id_z 0
		.amdhsa_system_sgpr_workgroup_info 0
		.amdhsa_system_vgpr_workitem_id 1
		.amdhsa_next_free_vgpr 26
		.amdhsa_next_free_sgpr 16
		.amdhsa_reserve_vcc 1
		.amdhsa_float_round_mode_32 0
		.amdhsa_float_round_mode_16_64 0
		.amdhsa_float_denorm_mode_32 3
		.amdhsa_float_denorm_mode_16_64 3
		.amdhsa_dx10_clamp 1
		.amdhsa_ieee_mode 1
		.amdhsa_fp16_overflow 0
		.amdhsa_workgroup_processor_mode 1
		.amdhsa_memory_ordered 1
		.amdhsa_forward_progress 0
		.amdhsa_shared_vgpr_count 0
		.amdhsa_exception_fp_ieee_invalid_op 0
		.amdhsa_exception_fp_denorm_src 0
		.amdhsa_exception_fp_ieee_div_zero 0
		.amdhsa_exception_fp_ieee_overflow 0
		.amdhsa_exception_fp_ieee_underflow 0
		.amdhsa_exception_fp_ieee_inexact 0
		.amdhsa_exception_int_div_zero 0
	.end_amdhsa_kernel
	.section	.text._ZN4vllm3moe17topkGatingSoftmaxIDF16_Li8ELi8ELi8ELi16ELb1ELi2ELNS0_23SharedExpertScoringFuncE1EEEvPKT_PKbPfiPiS9_iiiiii,"axG",@progbits,_ZN4vllm3moe17topkGatingSoftmaxIDF16_Li8ELi8ELi8ELi16ELb1ELi2ELNS0_23SharedExpertScoringFuncE1EEEvPKT_PKbPfiPiS9_iiiiii,comdat
.Lfunc_end140:
	.size	_ZN4vllm3moe17topkGatingSoftmaxIDF16_Li8ELi8ELi8ELi16ELb1ELi2ELNS0_23SharedExpertScoringFuncE1EEEvPKT_PKbPfiPiS9_iiiiii, .Lfunc_end140-_ZN4vllm3moe17topkGatingSoftmaxIDF16_Li8ELi8ELi8ELi16ELb1ELi2ELNS0_23SharedExpertScoringFuncE1EEEvPKT_PKbPfiPiS9_iiiiii
                                        ; -- End function
	.section	.AMDGPU.csdata,"",@progbits
; Kernel info:
; codeLenInByte = 2132
; NumSgprs: 18
; NumVgprs: 26
; ScratchSize: 0
; MemoryBound: 0
; FloatMode: 240
; IeeeMode: 1
; LDSByteSize: 0 bytes/workgroup (compile time only)
; SGPRBlocks: 2
; VGPRBlocks: 3
; NumSGPRsForWavesPerEU: 18
; NumVGPRsForWavesPerEU: 26
; Occupancy: 16
; WaveLimiterHint : 0
; COMPUTE_PGM_RSRC2:SCRATCH_EN: 0
; COMPUTE_PGM_RSRC2:USER_SGPR: 15
; COMPUTE_PGM_RSRC2:TRAP_HANDLER: 0
; COMPUTE_PGM_RSRC2:TGID_X_EN: 1
; COMPUTE_PGM_RSRC2:TGID_Y_EN: 0
; COMPUTE_PGM_RSRC2:TGID_Z_EN: 0
; COMPUTE_PGM_RSRC2:TIDIG_COMP_CNT: 1
	.section	.text._ZN4vllm3moe17topkGatingSoftmaxIDF16_Li8ELi8ELi8ELi16ELb0ELi2ELNS0_23SharedExpertScoringFuncE1EEEvPKT_PKbPfiPiS9_iiiiii,"axG",@progbits,_ZN4vllm3moe17topkGatingSoftmaxIDF16_Li8ELi8ELi8ELi16ELb0ELi2ELNS0_23SharedExpertScoringFuncE1EEEvPKT_PKbPfiPiS9_iiiiii,comdat
	.protected	_ZN4vllm3moe17topkGatingSoftmaxIDF16_Li8ELi8ELi8ELi16ELb0ELi2ELNS0_23SharedExpertScoringFuncE1EEEvPKT_PKbPfiPiS9_iiiiii ; -- Begin function _ZN4vllm3moe17topkGatingSoftmaxIDF16_Li8ELi8ELi8ELi16ELb0ELi2ELNS0_23SharedExpertScoringFuncE1EEEvPKT_PKbPfiPiS9_iiiiii
	.globl	_ZN4vllm3moe17topkGatingSoftmaxIDF16_Li8ELi8ELi8ELi16ELb0ELi2ELNS0_23SharedExpertScoringFuncE1EEEvPKT_PKbPfiPiS9_iiiiii
	.p2align	8
	.type	_ZN4vllm3moe17topkGatingSoftmaxIDF16_Li8ELi8ELi8ELi16ELb0ELi2ELNS0_23SharedExpertScoringFuncE1EEEvPKT_PKbPfiPiS9_iiiiii,@function
_ZN4vllm3moe17topkGatingSoftmaxIDF16_Li8ELi8ELi8ELi16ELb0ELi2ELNS0_23SharedExpertScoringFuncE1EEEvPKT_PKbPfiPiS9_iiiiii: ; @_ZN4vllm3moe17topkGatingSoftmaxIDF16_Li8ELi8ELi8ELi16ELb0ELi2ELNS0_23SharedExpertScoringFuncE1EEEvPKT_PKbPfiPiS9_iiiiii
; %bb.0:
	s_load_b32 s9, s[0:1], 0x18
	v_bfe_u32 v1, v0, 10, 10
	v_and_b32_e32 v18, 0x3ff, v0
	s_lshl_b32 s19, s15, 8
	s_mov_b32 s2, exec_lo
	s_delay_alu instid0(VALU_DEP_2) | instskip(NEXT) | instid1(VALU_DEP_1)
	v_lshlrev_b32_e32 v17, 5, v1
	v_add3_u32 v19, v17, v18, s19
	s_waitcnt lgkmcnt(0)
	s_delay_alu instid0(VALU_DEP_1)
	v_cmpx_gt_i32_e64 s9, v19
	s_cbranch_execz .LBB141_12
; %bb.1:
	s_clause 0x1
	s_load_b128 s[4:7], s[0:1], 0x0
	s_load_b64 s[10:11], s[0:1], 0x10
	s_waitcnt lgkmcnt(0)
	s_cmp_eq_u64 s[6:7], 0
	s_cbranch_scc1 .LBB141_3
; %bb.2:
	v_ashrrev_i32_e32 v1, 31, v19
	v_add_co_u32 v0, vcc_lo, s6, v19
	s_delay_alu instid0(VALU_DEP_2) | instskip(SKIP_3) | instid1(VALU_DEP_1)
	v_add_co_ci_u32_e32 v1, vcc_lo, s7, v1, vcc_lo
	global_load_u8 v0, v[0:1], off
	s_waitcnt vmcnt(0)
	v_and_b32_e32 v0, 1, v0
	v_cmp_eq_u32_e32 vcc_lo, 1, v0
	s_xor_b32 s2, vcc_lo, -1
	s_delay_alu instid0(SALU_CYCLE_1)
	s_or_not1_b32 s18, s2, exec_lo
	s_branch .LBB141_4
.LBB141_3:
	s_mov_b32 s18, -1
.LBB141_4:
	s_clause 0x1
	s_load_b64 s[16:17], s[0:1], 0x40
	s_load_b128 s[12:15], s[0:1], 0x30
	s_mov_b32 s2, 0x3fb8aa3b
	s_mov_b32 s3, 0x32a5705f
	s_waitcnt lgkmcnt(0)
	v_mul_lo_u32 v0, v19, s17
	s_cmp_gt_i32 s12, 0
	s_delay_alu instid0(VALU_DEP_1) | instskip(NEXT) | instid1(VALU_DEP_1)
	v_ashrrev_i32_e32 v1, 31, v0
	v_lshlrev_b64 v[0:1], 1, v[0:1]
	s_delay_alu instid0(VALU_DEP_1) | instskip(NEXT) | instid1(VALU_DEP_2)
	v_add_co_u32 v0, vcc_lo, s4, v0
	v_add_co_ci_u32_e32 v1, vcc_lo, s5, v1, vcc_lo
	s_clause 0x1
	global_load_b32 v5, v[0:1], off offset:16
	global_load_b128 v[1:4], v[0:1], off
	s_waitcnt vmcnt(1)
	v_cvt_f32_f16_e64 v0, -v5
	v_lshrrev_b32_e32 v6, 16, v5
	s_waitcnt vmcnt(0)
	v_cvt_f32_f16_e32 v16, v1
	v_cvt_f32_f16_e32 v14, v2
	v_lshrrev_b32_e32 v2, 16, v2
	v_cmp_ngt_f32_e32 vcc_lo, 0xc2ce8ed0, v0
	v_cvt_f32_f16_e64 v6, -v6
	v_mul_f32_e32 v7, 0x3fb8aa3b, v0
	s_delay_alu instid0(VALU_DEP_4) | instskip(NEXT) | instid1(VALU_DEP_3)
	v_cvt_f32_f16_e32 v13, v2
	v_mul_f32_e32 v10, 0x3fb8aa3b, v6
	s_delay_alu instid0(VALU_DEP_3) | instskip(SKIP_1) | instid1(VALU_DEP_3)
	v_fma_mix_f32 v8, -v5, s2, -v7 op_sel_hi:[1,0,0]
	v_rndne_f32_e32 v9, v7
	v_rndne_f32_e32 v12, v10
	s_delay_alu instid0(VALU_DEP_3) | instskip(NEXT) | instid1(VALU_DEP_3)
	v_fma_mix_f32 v8, -v5, s3, v8 op_sel_hi:[1,0,0]
	v_sub_f32_e32 v7, v7, v9
	v_fma_mix_f32 v11, -v5, s2, -v10 op_sel:[1,0,0] op_sel_hi:[1,0,0]
	s_delay_alu instid0(VALU_DEP_2) | instskip(NEXT) | instid1(VALU_DEP_2)
	v_add_f32_e32 v7, v7, v8
	v_fma_mix_f32 v5, -v5, s3, v11 op_sel:[1,0,0] op_sel_hi:[1,0,0]
	v_sub_f32_e32 v8, v10, v12
	v_cvt_f32_f16_e32 v10, v3
	v_lshrrev_b32_e32 v3, 16, v3
	v_exp_f32_e32 v7, v7
	s_delay_alu instid0(VALU_DEP_3) | instskip(SKIP_1) | instid1(VALU_DEP_3)
	v_add_f32_e32 v5, v8, v5
	v_cvt_i32_f32_e32 v8, v9
	v_cvt_f32_f16_e32 v11, v3
	v_cvt_f32_f16_e32 v9, v4
	v_lshrrev_b32_e32 v4, 16, v4
	s_waitcnt_depctr 0xfff
	v_ldexp_f32 v7, v7, v8
	v_cvt_i32_f32_e32 v8, v12
	s_delay_alu instid0(VALU_DEP_2) | instskip(SKIP_2) | instid1(VALU_DEP_3)
	v_cndmask_b32_e32 v7, 0, v7, vcc_lo
	v_cmp_nlt_f32_e32 vcc_lo, 0x42b17218, v0
	v_mul_lo_u32 v0, v19, s15
	v_cndmask_b32_e32 v7, 0x7f800000, v7, vcc_lo
	v_cmp_ngt_f32_e32 vcc_lo, 0xc2ce8ed0, v6
	s_delay_alu instid0(VALU_DEP_2) | instskip(SKIP_4) | instid1(VALU_DEP_2)
	v_add_f32_e32 v12, 1.0, v7
	v_exp_f32_e32 v5, v5
	s_waitcnt_depctr 0xfff
	v_ldexp_f32 v5, v5, v8
	v_div_scale_f32 v8, null, v12, v12, 1.0
	v_cndmask_b32_e32 v5, 0, v5, vcc_lo
	v_cmp_nlt_f32_e32 vcc_lo, 0x42b17218, v6
	v_lshrrev_b32_e32 v6, 16, v1
	s_delay_alu instid0(VALU_DEP_4) | instskip(NEXT) | instid1(VALU_DEP_3)
	v_rcp_f32_e32 v21, v8
	v_cndmask_b32_e32 v5, 0x7f800000, v5, vcc_lo
	s_delay_alu instid0(VALU_DEP_2) | instskip(SKIP_2) | instid1(VALU_DEP_4)
	v_cvt_f32_f16_e32 v15, v6
	v_cmp_lt_f16_e64 s7, v1, v6
	v_div_scale_f32 v24, vcc_lo, 1.0, v12, 1.0
	v_dual_add_f32 v20, 1.0, v5 :: v_dual_add_nc_u32 v5, s12, v0
	s_delay_alu instid0(VALU_DEP_3) | instskip(NEXT) | instid1(TRANS32_DEP_1)
	v_cndmask_b32_e64 v1, v16, v15, s7
	v_fma_f32 v2, -v8, v21, 1.0
	s_delay_alu instid0(VALU_DEP_3) | instskip(NEXT) | instid1(VALU_DEP_3)
	v_div_scale_f32 v22, null, v20, v20, 1.0
	v_cmp_lt_f32_e64 s4, v1, v14
	s_delay_alu instid0(VALU_DEP_3) | instskip(SKIP_1) | instid1(VALU_DEP_4)
	v_fmac_f32_e32 v21, v2, v21
	v_div_scale_f32 v25, s8, 1.0, v20, 1.0
	v_rcp_f32_e32 v23, v22
	s_delay_alu instid0(VALU_DEP_3) | instskip(NEXT) | instid1(VALU_DEP_3)
	v_cndmask_b32_e64 v1, v1, v14, s4
	v_mul_f32_e32 v26, v24, v21
	v_ashrrev_i32_e32 v6, 31, v5
	s_delay_alu instid0(VALU_DEP_3) | instskip(SKIP_3) | instid1(VALU_DEP_2)
	v_cmp_lt_f32_e64 s5, v1, v13
	s_waitcnt_depctr 0xfff
	v_fma_f32 v2, -v22, v23, 1.0
	v_cndmask_b32_e64 v1, v1, v13, s5
	v_fmac_f32_e32 v23, v2, v23
	s_delay_alu instid0(VALU_DEP_2) | instskip(SKIP_1) | instid1(VALU_DEP_3)
	v_cmp_lt_f32_e64 s6, v1, v10
	v_fma_f32 v2, -v8, v26, v24
	v_mul_f32_e32 v3, v25, v23
	s_delay_alu instid0(VALU_DEP_3) | instskip(NEXT) | instid1(VALU_DEP_3)
	v_cndmask_b32_e64 v1, v1, v10, s6
	v_fmac_f32_e32 v26, v2, v21
	s_delay_alu instid0(VALU_DEP_3) | instskip(NEXT) | instid1(VALU_DEP_3)
	v_fma_f32 v7, -v22, v3, v25
	v_cmp_lt_f32_e64 s2, v1, v11
	s_delay_alu instid0(VALU_DEP_2) | instskip(NEXT) | instid1(VALU_DEP_2)
	v_fmac_f32_e32 v3, v7, v23
	v_cndmask_b32_e64 v27, v1, v11, s2
	v_cvt_f32_f16_e32 v7, v4
	v_fma_f32 v4, -v8, v26, v24
	v_lshlrev_b64 v[1:2], 2, v[5:6]
	v_fma_f32 v6, -v22, v3, v25
	v_cmp_lt_f32_e64 s3, v27, v9
	s_delay_alu instid0(VALU_DEP_4) | instskip(SKIP_2) | instid1(VALU_DEP_2)
	v_div_fmas_f32 v4, v4, v21, v26
	s_mov_b32 vcc_lo, s8
	s_cselect_b32 s8, -1, 0
	v_cndmask_b32_e64 v5, v27, v9, s3
	v_div_fmas_f32 v6, v6, v23, v3
	v_add_co_u32 v1, vcc_lo, s10, v1
	v_add_co_ci_u32_e32 v2, vcc_lo, s11, v2, vcc_lo
	s_delay_alu instid0(VALU_DEP_4)
	v_cmp_lt_f32_e32 vcc_lo, v5, v7
	v_div_fixup_f32 v3, v4, v12, 1.0
	v_div_fixup_f32 v4, v6, v20, 1.0
	v_mov_b32_e32 v12, 0
	s_cmp_lt_i32 s12, 1
	v_cndmask_b32_e32 v8, v5, v7, vcc_lo
	global_store_b64 v[1:2], v[3:4], off
	s_cbranch_scc1 .LBB141_8
; %bb.5:
	v_cndmask_b32_e64 v1, 0, 1, s7
	v_sub_f32_e32 v12, v8, v8
	v_mul_lo_u32 v2, v19, s16
	v_mul_lo_u32 v20, v19, s12
	s_delay_alu instid0(VALU_DEP_4) | instskip(NEXT) | instid1(VALU_DEP_4)
	v_cndmask_b32_e64 v1, v1, 2, s4
	v_mul_f32_e32 v3, 0x3fb8aa3b, v12
	s_delay_alu instid0(VALU_DEP_2) | instskip(NEXT) | instid1(VALU_DEP_2)
	v_cndmask_b32_e64 v1, v1, 3, s5
	v_rndne_f32_e32 v4, v3
	v_fma_f32 v5, 0x3fb8aa3b, v12, -v3
	s_delay_alu instid0(VALU_DEP_3) | instskip(NEXT) | instid1(VALU_DEP_3)
	v_cndmask_b32_e64 v6, v1, 4, s6
	v_sub_f32_e32 v3, v3, v4
	s_delay_alu instid0(VALU_DEP_3)
	v_fmac_f32_e32 v5, 0x32a5705f, v12
	v_ashrrev_i32_e32 v1, 31, v0
	s_load_b128 s[4:7], s[0:1], 0x20
	v_cndmask_b32_e64 v21, v6, 5, s2
	v_cvt_i32_f32_e32 v4, v4
	v_add_f32_e32 v22, v3, v5
	v_lshlrev_b64 v[5:6], 2, v[0:1]
	v_ashrrev_i32_e32 v3, 31, v2
	v_cndmask_b32_e64 v1, v21, 6, s3
	v_ashrrev_i32_e32 v21, 31, v20
	v_exp_f32_e32 v22, v22
	s_delay_alu instid0(VALU_DEP_2) | instskip(SKIP_2) | instid1(VALU_DEP_3)
	v_cndmask_b32_e64 v24, v1, 7, vcc_lo
	v_add_co_u32 v5, vcc_lo, s10, v5
	v_add_co_ci_u32_e32 v6, vcc_lo, s11, v6, vcc_lo
	v_cmp_le_i32_e32 vcc_lo, s13, v24
	v_cmp_gt_i32_e64 s0, s14, v24
	v_lshlrev_b64 v[1:2], 2, v[2:3]
	s_delay_alu instid0(TRANS32_DEP_1)
	v_ldexp_f32 v22, v22, v4
	v_lshlrev_b64 v[3:4], 2, v[20:21]
	v_subrev_nc_u32_e32 v23, s13, v24
	s_and_b32 s0, vcc_lo, s0
	v_cmp_ngt_f32_e32 vcc_lo, 0xc2ce8ed0, v12
	v_cndmask_b32_e32 v22, 0, v22, vcc_lo
	s_waitcnt lgkmcnt(0)
	v_add_co_u32 v20, vcc_lo, s4, v1
	v_add_co_ci_u32_e32 v21, vcc_lo, s5, v2, vcc_lo
	s_and_b32 vcc_lo, s18, s0
	s_cmp_eq_u32 s12, 1
	v_cndmask_b32_e32 v25, 8, v23, vcc_lo
	v_cmp_nlt_f32_e32 vcc_lo, 0x42b17218, v12
	v_cndmask_b32_e32 v12, 0x7f800000, v22, vcc_lo
	v_add_co_u32 v22, vcc_lo, s6, v3
	v_add_co_ci_u32_e32 v23, vcc_lo, s7, v4, vcc_lo
	v_cmp_ne_u32_e32 vcc_lo, 7, v24
	global_store_b32 v[5:6], v12, off
	global_store_b32 v[20:21], v25, off
	;; [unrolled: 1-line block ×3, first 2 shown]
	v_cndmask_b32_e32 v7, 0xff800000, v7, vcc_lo
	v_cmp_ne_u32_e32 vcc_lo, 6, v24
	v_cndmask_b32_e32 v9, 0xff800000, v9, vcc_lo
	v_cmp_ne_u32_e32 vcc_lo, 5, v24
	;; [unrolled: 2-line block ×7, first 2 shown]
	v_cndmask_b32_e32 v16, 0xff800000, v16, vcc_lo
	s_cbranch_scc1 .LBB141_8
; %bb.6:
	v_add_co_u32 v3, vcc_lo, v3, s6
	v_add_co_ci_u32_e32 v4, vcc_lo, s7, v4, vcc_lo
	v_add_co_u32 v19, vcc_lo, v1, s4
	v_add_co_ci_u32_e32 v20, vcc_lo, s5, v2, vcc_lo
	s_delay_alu instid0(VALU_DEP_4) | instskip(NEXT) | instid1(VALU_DEP_4)
	v_add_co_u32 v1, vcc_lo, v3, 4
	v_add_co_ci_u32_e32 v2, vcc_lo, 0, v4, vcc_lo
	s_delay_alu instid0(VALU_DEP_4) | instskip(NEXT) | instid1(VALU_DEP_4)
	v_add_co_u32 v3, vcc_lo, v19, 4
	v_add_co_ci_u32_e32 v4, vcc_lo, 0, v20, vcc_lo
	s_add_i32 s19, s19, s9
	v_add_co_u32 v5, vcc_lo, v5, 4
	v_add_co_ci_u32_e32 v6, vcc_lo, 0, v6, vcc_lo
	v_add3_u32 v17, s19, v18, v17
	s_add_i32 s2, s12, -1
.LBB141_7:                              ; =>This Inner Loop Header: Depth=1
	v_cmp_gt_f32_e32 vcc_lo, v15, v16
	s_add_i32 s2, s2, -1
	v_cndmask_b32_e32 v18, v16, v15, vcc_lo
	v_cndmask_b32_e64 v19, 0, 1, vcc_lo
	s_delay_alu instid0(VALU_DEP_2) | instskip(SKIP_1) | instid1(VALU_DEP_3)
	v_cmp_gt_f32_e32 vcc_lo, v14, v18
	v_cndmask_b32_e32 v18, v18, v14, vcc_lo
	v_cndmask_b32_e64 v19, v19, 2, vcc_lo
	s_delay_alu instid0(VALU_DEP_2) | instskip(SKIP_1) | instid1(VALU_DEP_3)
	v_cmp_gt_f32_e32 vcc_lo, v13, v18
	;; [unrolled: 4-line block ×5, first 2 shown]
	v_cndmask_b32_e32 v18, v18, v9, vcc_lo
	v_cndmask_b32_e64 v19, v19, 6, vcc_lo
	s_delay_alu instid0(VALU_DEP_2) | instskip(NEXT) | instid1(VALU_DEP_2)
	v_cmp_gt_f32_e32 vcc_lo, v7, v18
	v_cndmask_b32_e64 v19, v19, 7, vcc_lo
	v_cndmask_b32_e32 v18, v18, v7, vcc_lo
	s_delay_alu instid0(VALU_DEP_2) | instskip(NEXT) | instid1(VALU_DEP_2)
	v_cmp_ne_u32_e64 s1, 7, v19
	v_sub_f32_e32 v18, v18, v8
	v_cmp_le_i32_e32 vcc_lo, s13, v19
	v_cmp_gt_i32_e64 s0, s14, v19
	v_subrev_nc_u32_e32 v21, s13, v19
	v_cndmask_b32_e64 v7, 0xff800000, v7, s1
	v_cmp_ne_u32_e64 s1, 6, v19
	v_mul_f32_e32 v20, 0x3fb8aa3b, v18
	s_and_b32 s0, vcc_lo, s0
	s_delay_alu instid0(SALU_CYCLE_1) | instskip(NEXT) | instid1(VALU_DEP_2)
	s_and_b32 vcc_lo, s18, s0
	v_cndmask_b32_e64 v9, 0xff800000, v9, s1
	v_cmp_ne_u32_e64 s1, 5, v19
	v_rndne_f32_e32 v22, v20
	v_cndmask_b32_e32 v21, 8, v21, vcc_lo
	global_store_b32 v[3:4], v21, off
	global_store_b32 v[1:2], v17, off
	v_add_nc_u32_e32 v17, s9, v17
	v_cndmask_b32_e64 v11, 0xff800000, v11, s1
	v_cmp_ne_u32_e64 s1, 4, v19
	v_add_co_u32 v1, vcc_lo, v1, 4
	v_add_co_ci_u32_e32 v2, vcc_lo, 0, v2, vcc_lo
	s_delay_alu instid0(VALU_DEP_3) | instskip(SKIP_3) | instid1(VALU_DEP_3)
	v_cndmask_b32_e64 v10, 0xff800000, v10, s1
	v_cmp_ne_u32_e64 s1, 3, v19
	v_add_co_u32 v3, vcc_lo, v3, 4
	v_add_co_ci_u32_e32 v4, vcc_lo, 0, v4, vcc_lo
	v_cndmask_b32_e64 v13, 0xff800000, v13, s1
	v_cmp_ne_u32_e64 s1, 2, v19
	v_cmp_ngt_f32_e32 vcc_lo, 0xc2ce8ed0, v18
	s_cmp_eq_u32 s2, 0
	s_delay_alu instid0(VALU_DEP_2) | instskip(SKIP_1) | instid1(VALU_DEP_1)
	v_cndmask_b32_e64 v14, 0xff800000, v14, s1
	v_cmp_ne_u32_e64 s1, 1, v19
	v_cndmask_b32_e64 v15, 0xff800000, v15, s1
	v_cmp_ne_u32_e64 s1, 0, v19
	v_fma_f32 v19, 0x3fb8aa3b, v18, -v20
	v_sub_f32_e32 v20, v20, v22
	v_cvt_i32_f32_e32 v22, v22
	s_delay_alu instid0(VALU_DEP_4) | instskip(NEXT) | instid1(VALU_DEP_4)
	v_cndmask_b32_e64 v16, 0xff800000, v16, s1
	v_fmac_f32_e32 v19, 0x32a5705f, v18
	s_delay_alu instid0(VALU_DEP_1) | instskip(NEXT) | instid1(VALU_DEP_1)
	v_add_f32_e32 v19, v20, v19
	v_exp_f32_e32 v19, v19
	s_waitcnt_depctr 0xfff
	v_ldexp_f32 v19, v19, v22
	s_delay_alu instid0(VALU_DEP_1) | instskip(SKIP_1) | instid1(VALU_DEP_2)
	v_cndmask_b32_e32 v19, 0, v19, vcc_lo
	v_cmp_nlt_f32_e32 vcc_lo, 0x42b17218, v18
	v_cndmask_b32_e32 v18, 0x7f800000, v19, vcc_lo
	global_store_b32 v[5:6], v18, off
	v_add_co_u32 v5, vcc_lo, v5, 4
	v_add_f32_e32 v12, v12, v18
	v_add_co_ci_u32_e32 v6, vcc_lo, 0, v6, vcc_lo
	s_cbranch_scc0 .LBB141_7
.LBB141_8:
	s_delay_alu instid0(VALU_DEP_3) | instskip(NEXT) | instid1(VALU_DEP_2)
	v_sub_f32_e32 v2, v15, v8
	v_sub_f32_e32 v1, v16, v8
	s_delay_alu instid0(VALU_DEP_2) | instskip(NEXT) | instid1(VALU_DEP_2)
	v_dual_sub_f32 v7, v7, v8 :: v_dual_mul_f32 v6, 0x3fb8aa3b, v2
	v_mul_f32_e32 v5, 0x3fb8aa3b, v1
	v_cmp_ngt_f32_e32 vcc_lo, 0xc2ce8ed0, v1
	s_delay_alu instid0(VALU_DEP_3) | instskip(NEXT) | instid1(VALU_DEP_3)
	v_fma_f32 v17, 0x3fb8aa3b, v2, -v6
	v_fma_f32 v15, 0x3fb8aa3b, v1, -v5
	v_rndne_f32_e32 v16, v5
	v_rndne_f32_e32 v18, v6
	s_delay_alu instid0(VALU_DEP_4) | instskip(NEXT) | instid1(VALU_DEP_2)
	v_fmac_f32_e32 v17, 0x32a5705f, v2
	v_dual_fmac_f32 v15, 0x32a5705f, v1 :: v_dual_sub_f32 v6, v6, v18
	s_delay_alu instid0(VALU_DEP_1) | instskip(NEXT) | instid1(VALU_DEP_1)
	v_dual_sub_f32 v5, v5, v16 :: v_dual_add_f32 v6, v6, v17
	v_add_f32_e32 v5, v5, v15
	v_cvt_i32_f32_e32 v15, v16
	v_cvt_i32_f32_e32 v16, v18
	s_delay_alu instid0(VALU_DEP_4) | instskip(NEXT) | instid1(VALU_DEP_3)
	v_exp_f32_e32 v6, v6
	v_exp_f32_e32 v5, v5
	s_waitcnt_depctr 0xfff
	v_ldexp_f32 v6, v6, v16
	v_ldexp_f32 v5, v5, v15
	s_delay_alu instid0(VALU_DEP_1) | instskip(SKIP_1) | instid1(VALU_DEP_4)
	v_cndmask_b32_e32 v5, 0, v5, vcc_lo
	v_cmp_ngt_f32_e32 vcc_lo, 0xc2ce8ed0, v2
	v_dual_sub_f32 v3, v14, v8 :: v_dual_cndmask_b32 v6, 0, v6
	s_delay_alu instid0(VALU_DEP_1) | instskip(SKIP_1) | instid1(VALU_DEP_2)
	v_dual_sub_f32 v4, v13, v8 :: v_dual_mul_f32 v13, 0x3fb8aa3b, v3
	v_cmp_nlt_f32_e32 vcc_lo, 0x42b17218, v1
	v_fma_f32 v19, 0x3fb8aa3b, v3, -v13
	v_rndne_f32_e32 v20, v13
	v_cndmask_b32_e32 v1, 0x7f800000, v5, vcc_lo
	v_cmp_nlt_f32_e32 vcc_lo, 0x42b17218, v2
	s_delay_alu instid0(VALU_DEP_4) | instskip(NEXT) | instid1(VALU_DEP_4)
	v_fmac_f32_e32 v19, 0x32a5705f, v3
	v_sub_f32_e32 v13, v13, v20
	v_cvt_i32_f32_e32 v15, v20
	v_cndmask_b32_e32 v2, 0x7f800000, v6, vcc_lo
	v_sub_f32_e32 v6, v10, v8
	s_delay_alu instid0(VALU_DEP_4) | instskip(SKIP_1) | instid1(VALU_DEP_2)
	v_dual_mul_f32 v14, 0x3fb8aa3b, v4 :: v_dual_add_f32 v13, v13, v19
	v_cmp_ngt_f32_e32 vcc_lo, 0xc2ce8ed0, v3
	v_fma_f32 v21, 0x3fb8aa3b, v4, -v14
	s_delay_alu instid0(VALU_DEP_3) | instskip(SKIP_1) | instid1(VALU_DEP_1)
	v_exp_f32_e32 v13, v13
	v_rndne_f32_e32 v22, v14
	v_sub_f32_e32 v14, v14, v22
	v_cvt_i32_f32_e32 v10, v22
	s_waitcnt_depctr 0xfff
	v_ldexp_f32 v13, v13, v15
	v_mul_f32_e32 v15, 0x3fb8aa3b, v7
	s_delay_alu instid0(VALU_DEP_2)
	v_cndmask_b32_e32 v5, 0, v13, vcc_lo
	v_cmp_nlt_f32_e32 vcc_lo, 0x42b17218, v3
	v_add_f32_e32 v1, v1, v2
	v_mul_f32_e32 v3, 0x3fb8aa3b, v6
	v_rndne_f32_e32 v16, v15
	v_cndmask_b32_e32 v2, 0x7f800000, v5, vcc_lo
	v_cmp_ngt_f32_e32 vcc_lo, 0xc2ce8ed0, v4
	s_delay_alu instid0(VALU_DEP_2) | instskip(SKIP_1) | instid1(VALU_DEP_1)
	v_add_f32_e32 v1, v1, v2
	v_fma_f32 v2, 0x3fb8aa3b, v6, -v3
	v_dual_fmac_f32 v21, 0x32a5705f, v4 :: v_dual_fmac_f32 v2, 0x32a5705f, v6
	s_delay_alu instid0(VALU_DEP_1) | instskip(NEXT) | instid1(VALU_DEP_1)
	v_add_f32_e32 v14, v14, v21
	v_exp_f32_e32 v14, v14
	s_waitcnt_depctr 0xfff
	v_ldexp_f32 v5, v14, v10
	v_rndne_f32_e32 v10, v3
	s_delay_alu instid0(VALU_DEP_2) | instskip(NEXT) | instid1(VALU_DEP_2)
	v_cndmask_b32_e32 v5, 0, v5, vcc_lo
	v_sub_f32_e32 v3, v3, v10
	v_cmp_nlt_f32_e32 vcc_lo, 0x42b17218, v4
	v_cvt_i32_f32_e32 v10, v10
	s_delay_alu instid0(VALU_DEP_3) | instskip(SKIP_2) | instid1(VALU_DEP_3)
	v_add_f32_e32 v2, v3, v2
	v_cndmask_b32_e32 v4, 0x7f800000, v5, vcc_lo
	v_cmp_ngt_f32_e32 vcc_lo, 0xc2ce8ed0, v6
	v_exp_f32_e32 v2, v2
	s_delay_alu instid0(VALU_DEP_2) | instskip(SKIP_2) | instid1(VALU_DEP_1)
	v_add_f32_e32 v1, v1, v4
	s_waitcnt_depctr 0xfff
	v_ldexp_f32 v2, v2, v10
	v_cndmask_b32_e32 v2, 0, v2, vcc_lo
	v_cmp_nlt_f32_e32 vcc_lo, 0x42b17218, v6
	s_delay_alu instid0(VALU_DEP_2) | instskip(NEXT) | instid1(VALU_DEP_1)
	v_dual_sub_f32 v9, v9, v8 :: v_dual_cndmask_b32 v2, 0x7f800000, v2
	v_mul_f32_e32 v13, 0x3fb8aa3b, v9
	v_sub_f32_e32 v11, v11, v8
	s_delay_alu instid0(VALU_DEP_3) | instskip(NEXT) | instid1(VALU_DEP_3)
	v_add_f32_e32 v1, v1, v2
	v_fma_f32 v8, 0x3fb8aa3b, v9, -v13
	v_rndne_f32_e32 v14, v13
	s_delay_alu instid0(VALU_DEP_2) | instskip(SKIP_2) | instid1(VALU_DEP_2)
	v_fmac_f32_e32 v8, 0x32a5705f, v9
	v_mul_f32_e32 v5, 0x3fb8aa3b, v11
	v_cmp_ngt_f32_e32 vcc_lo, 0xc2ce8ed0, v11
	v_fma_f32 v3, 0x3fb8aa3b, v11, -v5
	v_rndne_f32_e32 v4, v5
	s_delay_alu instid0(VALU_DEP_2) | instskip(NEXT) | instid1(VALU_DEP_2)
	v_fmac_f32_e32 v3, 0x32a5705f, v11
	v_sub_f32_e32 v5, v5, v4
	v_cvt_i32_f32_e32 v4, v4
	s_delay_alu instid0(VALU_DEP_2) | instskip(SKIP_2) | instid1(VALU_DEP_3)
	v_add_f32_e32 v3, v5, v3
	v_sub_f32_e32 v5, v13, v14
	v_fma_f32 v13, 0x3fb8aa3b, v7, -v15
	v_exp_f32_e32 v3, v3
	s_delay_alu instid0(VALU_DEP_2) | instskip(NEXT) | instid1(VALU_DEP_2)
	v_add_f32_e32 v5, v5, v8
	v_dual_fmac_f32 v13, 0x32a5705f, v7 :: v_dual_sub_f32 v8, v15, v16
	s_delay_alu instid0(VALU_DEP_2) | instskip(NEXT) | instid1(VALU_DEP_1)
	v_exp_f32_e32 v5, v5
	v_add_f32_e32 v8, v8, v13
	s_waitcnt_depctr 0xfff
	v_ldexp_f32 v3, v3, v4
	v_cvt_i32_f32_e32 v4, v14
	v_exp_f32_e32 v6, v8
	s_delay_alu instid0(VALU_DEP_2) | instskip(SKIP_1) | instid1(VALU_DEP_3)
	v_cndmask_b32_e32 v3, 0, v3, vcc_lo
	v_cmp_nlt_f32_e32 vcc_lo, 0x42b17218, v11
	v_ldexp_f32 v2, v5, v4
	v_cvt_i32_f32_e32 v4, v16
	s_delay_alu instid0(VALU_DEP_4)
	v_cndmask_b32_e32 v3, 0x7f800000, v3, vcc_lo
	v_cmp_ngt_f32_e32 vcc_lo, 0xc2ce8ed0, v9
	s_delay_alu instid0(TRANS32_DEP_1) | instid1(VALU_DEP_3)
	v_ldexp_f32 v4, v6, v4
	s_delay_alu instid0(VALU_DEP_3) | instskip(SKIP_1) | instid1(VALU_DEP_2)
	v_dual_add_f32 v1, v1, v3 :: v_dual_cndmask_b32 v2, 0, v2
	v_cmp_nlt_f32_e32 vcc_lo, 0x42b17218, v9
	v_cndmask_b32_e32 v2, 0x7f800000, v2, vcc_lo
	v_cmp_ngt_f32_e32 vcc_lo, 0xc2ce8ed0, v7
	s_delay_alu instid0(VALU_DEP_2) | instskip(SKIP_2) | instid1(VALU_DEP_2)
	v_add_f32_e32 v1, v1, v2
	v_cndmask_b32_e32 v3, 0, v4, vcc_lo
	v_cmp_nlt_f32_e32 vcc_lo, 0x42b17218, v7
	v_cndmask_b32_e32 v2, 0x7f800000, v3, vcc_lo
	s_delay_alu instid0(VALU_DEP_1) | instskip(NEXT) | instid1(VALU_DEP_1)
	v_add_f32_e32 v1, v1, v2
	v_add_f32_e32 v2, v12, v1
	s_delay_alu instid0(VALU_DEP_1)
	v_cmp_neq_f32_e32 vcc_lo, 0, v2
	s_and_b32 exec_lo, exec_lo, vcc_lo
	s_cbranch_execz .LBB141_12
; %bb.9:
	s_and_not1_b32 vcc_lo, exec_lo, s8
	s_cbranch_vccnz .LBB141_12
; %bb.10:
	v_div_scale_f32 v1, null, v2, v2, 1.0
	v_div_scale_f32 v5, vcc_lo, 1.0, v2, 1.0
	s_delay_alu instid0(VALU_DEP_2) | instskip(SKIP_2) | instid1(VALU_DEP_1)
	v_rcp_f32_e32 v3, v1
	s_waitcnt_depctr 0xfff
	v_fma_f32 v4, -v1, v3, 1.0
	v_fmac_f32_e32 v3, v4, v3
	s_delay_alu instid0(VALU_DEP_1) | instskip(NEXT) | instid1(VALU_DEP_1)
	v_mul_f32_e32 v4, v5, v3
	v_fma_f32 v6, -v1, v4, v5
	s_delay_alu instid0(VALU_DEP_1) | instskip(NEXT) | instid1(VALU_DEP_1)
	v_fmac_f32_e32 v4, v6, v3
	v_fma_f32 v5, -v1, v4, v5
	v_ashrrev_i32_e32 v1, 31, v0
	s_delay_alu instid0(VALU_DEP_2) | instskip(NEXT) | instid1(VALU_DEP_2)
	v_div_fmas_f32 v3, v5, v3, v4
	v_lshlrev_b64 v[0:1], 2, v[0:1]
	s_delay_alu instid0(VALU_DEP_2) | instskip(NEXT) | instid1(VALU_DEP_2)
	v_div_fixup_f32 v2, v3, v2, 1.0
	v_add_co_u32 v0, vcc_lo, s10, v0
	s_delay_alu instid0(VALU_DEP_3)
	v_add_co_ci_u32_e32 v1, vcc_lo, s11, v1, vcc_lo
.LBB141_11:                             ; =>This Inner Loop Header: Depth=1
	global_load_b32 v3, v[0:1], off
	s_add_i32 s12, s12, -1
	s_delay_alu instid0(SALU_CYCLE_1)
	s_cmp_lg_u32 s12, 0
	s_waitcnt vmcnt(0)
	v_mul_f32_e32 v3, v2, v3
	global_store_b32 v[0:1], v3, off
	v_add_co_u32 v0, vcc_lo, v0, 4
	v_add_co_ci_u32_e32 v1, vcc_lo, 0, v1, vcc_lo
	s_cbranch_scc1 .LBB141_11
.LBB141_12:
	s_nop 0
	s_sendmsg sendmsg(MSG_DEALLOC_VGPRS)
	s_endpgm
	.section	.rodata,"a",@progbits
	.p2align	6, 0x0
	.amdhsa_kernel _ZN4vllm3moe17topkGatingSoftmaxIDF16_Li8ELi8ELi8ELi16ELb0ELi2ELNS0_23SharedExpertScoringFuncE1EEEvPKT_PKbPfiPiS9_iiiiii
		.amdhsa_group_segment_fixed_size 0
		.amdhsa_private_segment_fixed_size 0
		.amdhsa_kernarg_size 72
		.amdhsa_user_sgpr_count 15
		.amdhsa_user_sgpr_dispatch_ptr 0
		.amdhsa_user_sgpr_queue_ptr 0
		.amdhsa_user_sgpr_kernarg_segment_ptr 1
		.amdhsa_user_sgpr_dispatch_id 0
		.amdhsa_user_sgpr_private_segment_size 0
		.amdhsa_wavefront_size32 1
		.amdhsa_uses_dynamic_stack 0
		.amdhsa_enable_private_segment 0
		.amdhsa_system_sgpr_workgroup_id_x 1
		.amdhsa_system_sgpr_workgroup_id_y 0
		.amdhsa_system_sgpr_workgroup_id_z 0
		.amdhsa_system_sgpr_workgroup_info 0
		.amdhsa_system_vgpr_workitem_id 1
		.amdhsa_next_free_vgpr 28
		.amdhsa_next_free_sgpr 20
		.amdhsa_reserve_vcc 1
		.amdhsa_float_round_mode_32 0
		.amdhsa_float_round_mode_16_64 0
		.amdhsa_float_denorm_mode_32 3
		.amdhsa_float_denorm_mode_16_64 3
		.amdhsa_dx10_clamp 1
		.amdhsa_ieee_mode 1
		.amdhsa_fp16_overflow 0
		.amdhsa_workgroup_processor_mode 1
		.amdhsa_memory_ordered 1
		.amdhsa_forward_progress 0
		.amdhsa_shared_vgpr_count 0
		.amdhsa_exception_fp_ieee_invalid_op 0
		.amdhsa_exception_fp_denorm_src 0
		.amdhsa_exception_fp_ieee_div_zero 0
		.amdhsa_exception_fp_ieee_overflow 0
		.amdhsa_exception_fp_ieee_underflow 0
		.amdhsa_exception_fp_ieee_inexact 0
		.amdhsa_exception_int_div_zero 0
	.end_amdhsa_kernel
	.section	.text._ZN4vllm3moe17topkGatingSoftmaxIDF16_Li8ELi8ELi8ELi16ELb0ELi2ELNS0_23SharedExpertScoringFuncE1EEEvPKT_PKbPfiPiS9_iiiiii,"axG",@progbits,_ZN4vllm3moe17topkGatingSoftmaxIDF16_Li8ELi8ELi8ELi16ELb0ELi2ELNS0_23SharedExpertScoringFuncE1EEEvPKT_PKbPfiPiS9_iiiiii,comdat
.Lfunc_end141:
	.size	_ZN4vllm3moe17topkGatingSoftmaxIDF16_Li8ELi8ELi8ELi16ELb0ELi2ELNS0_23SharedExpertScoringFuncE1EEEvPKT_PKbPfiPiS9_iiiiii, .Lfunc_end141-_ZN4vllm3moe17topkGatingSoftmaxIDF16_Li8ELi8ELi8ELi16ELb0ELi2ELNS0_23SharedExpertScoringFuncE1EEEvPKT_PKbPfiPiS9_iiiiii
                                        ; -- End function
	.section	.AMDGPU.csdata,"",@progbits
; Kernel info:
; codeLenInByte = 3028
; NumSgprs: 22
; NumVgprs: 28
; ScratchSize: 0
; MemoryBound: 0
; FloatMode: 240
; IeeeMode: 1
; LDSByteSize: 0 bytes/workgroup (compile time only)
; SGPRBlocks: 2
; VGPRBlocks: 3
; NumSGPRsForWavesPerEU: 22
; NumVGPRsForWavesPerEU: 28
; Occupancy: 16
; WaveLimiterHint : 0
; COMPUTE_PGM_RSRC2:SCRATCH_EN: 0
; COMPUTE_PGM_RSRC2:USER_SGPR: 15
; COMPUTE_PGM_RSRC2:TRAP_HANDLER: 0
; COMPUTE_PGM_RSRC2:TGID_X_EN: 1
; COMPUTE_PGM_RSRC2:TGID_Y_EN: 0
; COMPUTE_PGM_RSRC2:TGID_Z_EN: 0
; COMPUTE_PGM_RSRC2:TIDIG_COMP_CNT: 1
	.section	.text._ZN4vllm3moe17topkGatingSoftmaxIDF16_Li8ELi8ELi8ELi16ELb1ELi4ELNS0_23SharedExpertScoringFuncE1EEEvPKT_PKbPfiPiS9_iiiiii,"axG",@progbits,_ZN4vllm3moe17topkGatingSoftmaxIDF16_Li8ELi8ELi8ELi16ELb1ELi4ELNS0_23SharedExpertScoringFuncE1EEEvPKT_PKbPfiPiS9_iiiiii,comdat
	.protected	_ZN4vllm3moe17topkGatingSoftmaxIDF16_Li8ELi8ELi8ELi16ELb1ELi4ELNS0_23SharedExpertScoringFuncE1EEEvPKT_PKbPfiPiS9_iiiiii ; -- Begin function _ZN4vllm3moe17topkGatingSoftmaxIDF16_Li8ELi8ELi8ELi16ELb1ELi4ELNS0_23SharedExpertScoringFuncE1EEEvPKT_PKbPfiPiS9_iiiiii
	.globl	_ZN4vllm3moe17topkGatingSoftmaxIDF16_Li8ELi8ELi8ELi16ELb1ELi4ELNS0_23SharedExpertScoringFuncE1EEEvPKT_PKbPfiPiS9_iiiiii
	.p2align	8
	.type	_ZN4vllm3moe17topkGatingSoftmaxIDF16_Li8ELi8ELi8ELi16ELb1ELi4ELNS0_23SharedExpertScoringFuncE1EEEvPKT_PKbPfiPiS9_iiiiii,@function
_ZN4vllm3moe17topkGatingSoftmaxIDF16_Li8ELi8ELi8ELi16ELb1ELi4ELNS0_23SharedExpertScoringFuncE1EEEvPKT_PKbPfiPiS9_iiiiii: ; @_ZN4vllm3moe17topkGatingSoftmaxIDF16_Li8ELi8ELi8ELi16ELb1ELi4ELNS0_23SharedExpertScoringFuncE1EEEvPKT_PKbPfiPiS9_iiiiii
; %bb.0:
	s_load_b32 s14, s[0:1], 0x18
	v_bfe_u32 v1, v0, 10, 10
	v_and_b32_e32 v8, 0x3ff, v0
	s_lshl_b32 s16, s15, 8
	s_mov_b32 s2, exec_lo
	s_delay_alu instid0(VALU_DEP_2) | instskip(NEXT) | instid1(VALU_DEP_1)
	v_lshlrev_b32_e32 v7, 5, v1
	v_add3_u32 v9, v7, v8, s16
	s_waitcnt lgkmcnt(0)
	s_delay_alu instid0(VALU_DEP_1)
	v_cmpx_gt_i32_e64 s14, v9
	s_cbranch_execz .LBB142_12
; %bb.1:
	s_clause 0x1
	s_load_b128 s[4:7], s[0:1], 0x0
	s_load_b64 s[12:13], s[0:1], 0x10
	s_waitcnt lgkmcnt(0)
	s_cmp_eq_u64 s[6:7], 0
	s_cbranch_scc1 .LBB142_3
; %bb.2:
	v_ashrrev_i32_e32 v1, 31, v9
	v_add_co_u32 v0, vcc_lo, s6, v9
	s_delay_alu instid0(VALU_DEP_2) | instskip(SKIP_3) | instid1(VALU_DEP_1)
	v_add_co_ci_u32_e32 v1, vcc_lo, s7, v1, vcc_lo
	global_load_u8 v0, v[0:1], off
	s_waitcnt vmcnt(0)
	v_and_b32_e32 v0, 1, v0
	v_cmp_eq_u32_e32 vcc_lo, 1, v0
	s_xor_b32 s2, vcc_lo, -1
	s_delay_alu instid0(SALU_CYCLE_1)
	s_or_not1_b32 s15, s2, exec_lo
	s_branch .LBB142_4
.LBB142_3:
	s_mov_b32 s15, -1
.LBB142_4:
	s_clause 0x1
	s_load_b64 s[6:7], s[0:1], 0x40
	s_load_b128 s[8:11], s[0:1], 0x30
	s_mov_b32 s2, 0x3fb8aa3b
	s_mov_b32 s3, 0x32a5705f
	s_waitcnt lgkmcnt(0)
	v_mul_lo_u32 v0, v9, s7
	s_cmp_gt_i32 s8, 0
	s_delay_alu instid0(VALU_DEP_1) | instskip(NEXT) | instid1(VALU_DEP_1)
	v_ashrrev_i32_e32 v1, 31, v0
	v_lshlrev_b64 v[0:1], 1, v[0:1]
	s_delay_alu instid0(VALU_DEP_1) | instskip(NEXT) | instid1(VALU_DEP_2)
	v_add_co_u32 v0, vcc_lo, s4, v0
	v_add_co_ci_u32_e32 v1, vcc_lo, s5, v1, vcc_lo
	s_clause 0x1
	global_load_b64 v[4:5], v[0:1], off offset:16
	global_load_b128 v[0:3], v[0:1], off
	s_waitcnt vmcnt(1)
	v_cvt_f32_f16_e64 v6, -v4
	v_lshrrev_b32_e32 v10, 16, v4
	v_cvt_f32_f16_e64 v11, -v5
	v_lshrrev_b32_e32 v12, 16, v5
	s_delay_alu instid0(VALU_DEP_4) | instskip(NEXT) | instid1(VALU_DEP_4)
	v_mul_f32_e32 v13, 0x3fb8aa3b, v6
	v_cvt_f32_f16_e64 v10, -v10
	s_delay_alu instid0(VALU_DEP_4) | instskip(NEXT) | instid1(VALU_DEP_4)
	v_mul_f32_e32 v14, 0x3fb8aa3b, v11
	v_cvt_f32_f16_e64 v12, -v12
	v_cmp_ngt_f32_e32 vcc_lo, 0xc2ce8ed0, v6
	v_fma_mix_f32 v15, -v4, s2, -v13 op_sel_hi:[1,0,0]
	v_rndne_f32_e32 v16, v13
	s_delay_alu instid0(VALU_DEP_4)
	v_dual_mul_f32 v17, 0x3fb8aa3b, v10 :: v_dual_mul_f32 v20, 0x3fb8aa3b, v12
	v_fma_mix_f32 v18, -v5, s2, -v14 op_sel_hi:[1,0,0]
	v_rndne_f32_e32 v19, v14
	v_fma_mix_f32 v15, -v4, s3, v15 op_sel_hi:[1,0,0]
	v_sub_f32_e32 v13, v13, v16
	v_fma_mix_f32 v21, -v4, s2, -v17 op_sel:[1,0,0] op_sel_hi:[1,0,0]
	v_rndne_f32_e32 v22, v17
	v_sub_f32_e32 v14, v14, v19
	v_fma_mix_f32 v18, -v5, s3, v18 op_sel_hi:[1,0,0]
	v_add_f32_e32 v13, v13, v15
	v_fma_mix_f32 v23, -v5, s2, -v20 op_sel:[1,0,0] op_sel_hi:[1,0,0]
	v_fma_mix_f32 v4, -v4, s3, v21 op_sel:[1,0,0] op_sel_hi:[1,0,0]
	v_sub_f32_e32 v15, v17, v22
	v_add_f32_e32 v14, v14, v18
	v_exp_f32_e32 v13, v13
	v_fma_mix_f32 v5, -v5, s3, v23 op_sel:[1,0,0] op_sel_hi:[1,0,0]
	v_rndne_f32_e32 v24, v20
	v_add_f32_e32 v4, v15, v4
	v_exp_f32_e32 v14, v14
	v_cvt_i32_f32_e32 v15, v16
	v_cvt_i32_f32_e32 v16, v19
	s_delay_alu instid0(TRANS32_DEP_2) | instid1(VALU_DEP_2)
	v_ldexp_f32 v13, v13, v15
	v_cvt_i32_f32_e32 v15, v22
	s_waitcnt_depctr 0xfff
	v_ldexp_f32 v14, v14, v16
	v_cndmask_b32_e32 v13, 0, v13, vcc_lo
	v_cmp_ngt_f32_e32 vcc_lo, 0xc2ce8ed0, v11
	s_delay_alu instid0(VALU_DEP_3) | instskip(NEXT) | instid1(VALU_DEP_1)
	v_dual_sub_f32 v17, v20, v24 :: v_dual_cndmask_b32 v14, 0, v14
	v_add_f32_e32 v5, v17, v5
	v_exp_f32_e32 v4, v4
	v_cmp_nlt_f32_e32 vcc_lo, 0x42b17218, v6
	v_cvt_i32_f32_e32 v17, v24
	s_delay_alu instid0(VALU_DEP_3)
	v_exp_f32_e32 v5, v5
	v_cndmask_b32_e32 v6, 0x7f800000, v13, vcc_lo
	v_cmp_ngt_f32_e32 vcc_lo, 0xc2ce8ed0, v10
	s_waitcnt_depctr 0xfff
	v_ldexp_f32 v4, v4, v15
	v_ldexp_f32 v5, v5, v17
	s_delay_alu instid0(VALU_DEP_2)
	v_cndmask_b32_e32 v4, 0, v4, vcc_lo
	v_cmp_nlt_f32_e32 vcc_lo, 0x42b17218, v11
	v_cndmask_b32_e32 v11, 0x7f800000, v14, vcc_lo
	v_cmp_ngt_f32_e32 vcc_lo, 0xc2ce8ed0, v12
	v_cndmask_b32_e32 v5, 0, v5, vcc_lo
	v_cmp_nlt_f32_e32 vcc_lo, 0x42b17218, v10
	v_dual_add_f32 v13, 1.0, v6 :: v_dual_cndmask_b32 v4, 0x7f800000, v4
	v_cmp_nlt_f32_e32 vcc_lo, 0x42b17218, v12
	s_delay_alu instid0(VALU_DEP_2) | instskip(SKIP_1) | instid1(VALU_DEP_4)
	v_add_f32_e32 v14, 1.0, v4
	v_add_f32_e32 v10, 1.0, v11
	v_div_scale_f32 v11, null, v13, v13, 1.0
	v_mul_lo_u32 v4, v9, s11
	s_delay_alu instid0(VALU_DEP_4) | instskip(NEXT) | instid1(VALU_DEP_4)
	v_div_scale_f32 v16, null, v14, v14, 1.0
	v_div_scale_f32 v12, null, v10, v10, 1.0
	s_delay_alu instid0(VALU_DEP_4) | instskip(NEXT) | instid1(VALU_DEP_2)
	v_rcp_f32_e32 v17, v11
	v_rcp_f32_e32 v20, v16
	v_div_scale_f32 v25, s3, 1.0, v14, 1.0
	s_delay_alu instid0(VALU_DEP_2) | instskip(SKIP_4) | instid1(VALU_DEP_2)
	v_rcp_f32_e32 v18, v12
	v_div_scale_f32 v23, s2, 1.0, v10, 1.0
	s_waitcnt_depctr 0xfff
	v_fma_f32 v24, -v16, v20, 1.0
	v_fma_f32 v6, -v12, v18, 1.0
	v_dual_cndmask_b32 v5, 0x7f800000, v5 :: v_dual_fmac_f32 v20, v24, v20
	v_div_scale_f32 v21, vcc_lo, 1.0, v13, 1.0
	s_delay_alu instid0(VALU_DEP_2) | instskip(SKIP_1) | instid1(VALU_DEP_2)
	v_dual_fmac_f32 v18, v6, v18 :: v_dual_add_f32 v15, 1.0, v5
	v_fma_f32 v5, -v11, v17, 1.0
	v_mul_f32_e32 v27, v23, v18
	s_delay_alu instid0(VALU_DEP_3) | instskip(SKIP_2) | instid1(VALU_DEP_3)
	v_div_scale_f32 v19, null, v15, v15, 1.0
	v_div_scale_f32 v24, s4, 1.0, v15, 1.0
	v_mul_f32_e32 v28, v25, v20
	v_rcp_f32_e32 v22, v19
	v_fma_f32 v30, -v12, v27, v23
	s_delay_alu instid0(VALU_DEP_2) | instskip(SKIP_1) | instid1(VALU_DEP_3)
	v_fma_f32 v32, -v16, v28, v25
	v_fmac_f32_e32 v17, v5, v17
	v_fmac_f32_e32 v27, v30, v18
	s_waitcnt_depctr 0xfff
	v_fma_f32 v5, -v19, v22, 1.0
	v_fma_f32 v12, -v12, v27, v23
	s_delay_alu instid0(VALU_DEP_2) | instskip(NEXT) | instid1(VALU_DEP_1)
	v_dual_fmac_f32 v22, v5, v22 :: v_dual_add_nc_u32 v5, s8, v4
	v_mul_f32_e32 v31, v24, v22
	v_fmac_f32_e32 v28, v32, v20
	v_mul_f32_e32 v26, v21, v17
	s_delay_alu instid0(VALU_DEP_4) | instskip(NEXT) | instid1(VALU_DEP_3)
	v_ashrrev_i32_e32 v6, 31, v5
	v_fma_f32 v16, -v16, v28, v25
	s_delay_alu instid0(VALU_DEP_3) | instskip(NEXT) | instid1(VALU_DEP_3)
	v_fma_f32 v29, -v11, v26, v21
	v_lshlrev_b64 v[5:6], 2, v[5:6]
	s_delay_alu instid0(VALU_DEP_2) | instskip(SKIP_1) | instid1(VALU_DEP_2)
	v_fmac_f32_e32 v26, v29, v17
	v_fma_f32 v29, -v19, v31, v24
	v_fma_f32 v11, -v11, v26, v21
	s_delay_alu instid0(VALU_DEP_2) | instskip(NEXT) | instid1(VALU_DEP_2)
	v_fmac_f32_e32 v31, v29, v22
	v_div_fmas_f32 v11, v11, v17, v26
	s_mov_b32 vcc_lo, s3
	s_delay_alu instid0(VALU_DEP_2)
	v_fma_f32 v17, -v19, v31, v24
	v_div_fmas_f32 v16, v16, v20, v28
	s_mov_b32 vcc_lo, s2
	s_cselect_b32 s2, -1, 0
	v_div_fmas_f32 v18, v12, v18, v27
	s_mov_b32 vcc_lo, s4
	v_div_fixup_f32 v12, v11, v13, 1.0
	v_div_fmas_f32 v17, v17, v22, v31
	v_add_co_u32 v5, vcc_lo, s12, v5
	v_add_co_ci_u32_e32 v6, vcc_lo, s13, v6, vcc_lo
	v_div_fixup_f32 v13, v16, v14, 1.0
	v_div_fixup_f32 v14, v18, v10, 1.0
	;; [unrolled: 1-line block ×3, first 2 shown]
	v_mov_b32_e32 v11, 0
	s_cmp_lt_i32 s8, 1
	global_store_b128 v[5:6], v[12:15], off
	s_cbranch_scc1 .LBB142_8
; %bb.5:
	s_waitcnt vmcnt(0)
	v_lshrrev_b32_e32 v5, 16, v0
	v_cvt_f32_f16_e32 v14, v2
	v_lshrrev_b32_e32 v2, 16, v2
	v_cvt_f32_f16_e32 v18, v0
	v_cvt_f32_f16_e32 v16, v1
	;; [unrolled: 1-line block ×3, first 2 shown]
	v_cmp_lt_f16_e32 vcc_lo, v0, v5
	v_cvt_f32_f16_e32 v13, v2
	v_lshrrev_b32_e32 v2, 16, v3
	v_lshrrev_b32_e32 v1, 16, v1
	v_cvt_f32_f16_e32 v12, v3
	v_cndmask_b32_e64 v0, 0, 1, vcc_lo
	s_delay_alu instid0(VALU_DEP_4) | instskip(SKIP_3) | instid1(VALU_DEP_3)
	v_cvt_f32_f16_e32 v20, v2
	v_cndmask_b32_e32 v5, v18, v17, vcc_lo
	v_cvt_f32_f16_e32 v15, v1
	v_mul_lo_u32 v2, v9, s8
	v_cmp_lt_f32_e32 vcc_lo, v5, v16
	v_cndmask_b32_e32 v1, v5, v16, vcc_lo
	v_cndmask_b32_e64 v0, v0, 2, vcc_lo
	v_ashrrev_i32_e32 v5, 31, v4
	s_delay_alu instid0(VALU_DEP_3) | instskip(NEXT) | instid1(VALU_DEP_2)
	v_cmp_lt_f32_e32 vcc_lo, v1, v15
	v_lshlrev_b64 v[5:6], 2, v[4:5]
	v_cndmask_b32_e32 v1, v1, v15, vcc_lo
	v_cndmask_b32_e64 v0, v0, 3, vcc_lo
	s_delay_alu instid0(VALU_DEP_2) | instskip(SKIP_1) | instid1(VALU_DEP_3)
	v_cmp_lt_f32_e32 vcc_lo, v1, v14
	v_cndmask_b32_e32 v1, v1, v14, vcc_lo
	v_cndmask_b32_e64 v0, v0, 4, vcc_lo
	s_delay_alu instid0(VALU_DEP_2) | instskip(SKIP_1) | instid1(VALU_DEP_3)
	v_cmp_lt_f32_e32 vcc_lo, v1, v13
	;; [unrolled: 4-line block ×4, first 2 shown]
	v_cndmask_b32_e32 v10, v1, v20, vcc_lo
	v_cndmask_b32_e64 v19, v0, 7, vcc_lo
	v_add_co_u32 v5, vcc_lo, s12, v5
	v_add_co_ci_u32_e32 v6, vcc_lo, s13, v6, vcc_lo
	s_delay_alu instid0(VALU_DEP_4) | instskip(NEXT) | instid1(VALU_DEP_4)
	v_sub_f32_e32 v11, v10, v10
	v_cmp_le_i32_e32 vcc_lo, s9, v19
	v_subrev_nc_u32_e32 v23, s9, v19
	s_delay_alu instid0(VALU_DEP_3) | instskip(NEXT) | instid1(VALU_DEP_1)
	v_mul_f32_e32 v0, 0x3fb8aa3b, v11
	v_fma_f32 v1, 0x3fb8aa3b, v11, -v0
	v_rndne_f32_e32 v21, v0
	s_delay_alu instid0(VALU_DEP_2) | instskip(NEXT) | instid1(VALU_DEP_2)
	v_fmac_f32_e32 v1, 0x32a5705f, v11
	v_sub_f32_e32 v3, v0, v21
	v_mul_lo_u32 v0, v9, s6
	s_load_b128 s[4:7], s[0:1], 0x20
	v_cvt_i32_f32_e32 v21, v21
	v_cmp_gt_i32_e64 s0, s10, v19
	v_add_f32_e32 v3, v3, v1
	s_delay_alu instid0(VALU_DEP_4) | instskip(NEXT) | instid1(VALU_DEP_2)
	v_ashrrev_i32_e32 v1, 31, v0
	v_exp_f32_e32 v22, v3
	s_delay_alu instid0(VALU_DEP_3) | instskip(SKIP_3) | instid1(VALU_DEP_2)
	s_and_b32 s0, vcc_lo, s0
	v_cmp_ngt_f32_e32 vcc_lo, 0xc2ce8ed0, v11
	v_ashrrev_i32_e32 v3, 31, v2
	v_lshlrev_b64 v[0:1], 2, v[0:1]
	v_lshlrev_b64 v[2:3], 2, v[2:3]
	s_waitcnt_depctr 0xfff
	v_ldexp_f32 v21, v22, v21
	s_delay_alu instid0(VALU_DEP_1)
	v_cndmask_b32_e32 v24, 0, v21, vcc_lo
	s_waitcnt lgkmcnt(0)
	v_add_co_u32 v21, vcc_lo, s4, v0
	v_add_co_ci_u32_e32 v22, vcc_lo, s5, v1, vcc_lo
	s_and_b32 vcc_lo, s15, s0
	s_cmp_eq_u32 s8, 1
	v_cndmask_b32_e32 v25, 8, v23, vcc_lo
	v_cmp_nlt_f32_e32 vcc_lo, 0x42b17218, v11
	v_cndmask_b32_e32 v11, 0x7f800000, v24, vcc_lo
	v_add_co_u32 v23, vcc_lo, s6, v2
	v_add_co_ci_u32_e32 v24, vcc_lo, s7, v3, vcc_lo
	global_store_b32 v[21:22], v25, off
	global_store_b32 v[5:6], v11, off
	;; [unrolled: 1-line block ×3, first 2 shown]
	s_cbranch_scc1 .LBB142_8
; %bb.6:
	v_cmp_ne_u32_e32 vcc_lo, 7, v19
	s_add_i32 s16, s16, s14
	s_add_i32 s3, s8, -1
	v_add3_u32 v7, s16, v8, v7
	v_cndmask_b32_e32 v9, 0xff800000, v20, vcc_lo
	v_cmp_ne_u32_e32 vcc_lo, 6, v19
	v_cndmask_b32_e32 v12, 0xff800000, v12, vcc_lo
	v_cmp_ne_u32_e32 vcc_lo, 5, v19
	v_cndmask_b32_e32 v13, 0xff800000, v13, vcc_lo
	v_cmp_ne_u32_e32 vcc_lo, 4, v19
	v_cndmask_b32_e32 v14, 0xff800000, v14, vcc_lo
	v_cmp_ne_u32_e32 vcc_lo, 3, v19
	v_cndmask_b32_e32 v15, 0xff800000, v15, vcc_lo
	v_cmp_ne_u32_e32 vcc_lo, 2, v19
	v_cndmask_b32_e32 v16, 0xff800000, v16, vcc_lo
	v_cmp_ne_u32_e32 vcc_lo, 1, v19
	v_cndmask_b32_e32 v17, 0xff800000, v17, vcc_lo
	v_cmp_ne_u32_e32 vcc_lo, 0, v19
	v_cndmask_b32_e32 v18, 0xff800000, v18, vcc_lo
	v_add_co_u32 v2, vcc_lo, v2, s6
	v_add_co_ci_u32_e32 v3, vcc_lo, s7, v3, vcc_lo
	v_add_co_u32 v19, vcc_lo, v0, s4
	v_add_co_ci_u32_e32 v20, vcc_lo, s5, v1, vcc_lo
	s_delay_alu instid0(VALU_DEP_4) | instskip(NEXT) | instid1(VALU_DEP_4)
	v_add_co_u32 v0, vcc_lo, v2, 4
	v_add_co_ci_u32_e32 v1, vcc_lo, 0, v3, vcc_lo
	s_delay_alu instid0(VALU_DEP_4) | instskip(NEXT) | instid1(VALU_DEP_4)
	v_add_co_u32 v2, vcc_lo, v19, 4
	v_add_co_ci_u32_e32 v3, vcc_lo, 0, v20, vcc_lo
	v_add_co_u32 v5, vcc_lo, v5, 4
	v_add_co_ci_u32_e32 v6, vcc_lo, 0, v6, vcc_lo
.LBB142_7:                              ; =>This Inner Loop Header: Depth=1
	v_cmp_gt_f32_e32 vcc_lo, v17, v18
	s_add_i32 s3, s3, -1
	v_cndmask_b32_e32 v8, v18, v17, vcc_lo
	v_cndmask_b32_e64 v19, 0, 1, vcc_lo
	s_delay_alu instid0(VALU_DEP_2) | instskip(SKIP_1) | instid1(VALU_DEP_3)
	v_cmp_gt_f32_e32 vcc_lo, v16, v8
	v_cndmask_b32_e32 v8, v8, v16, vcc_lo
	v_cndmask_b32_e64 v19, v19, 2, vcc_lo
	s_delay_alu instid0(VALU_DEP_2) | instskip(SKIP_1) | instid1(VALU_DEP_3)
	v_cmp_gt_f32_e32 vcc_lo, v15, v8
	;; [unrolled: 4-line block ×5, first 2 shown]
	v_cndmask_b32_e32 v8, v8, v12, vcc_lo
	v_cndmask_b32_e64 v19, v19, 6, vcc_lo
	s_delay_alu instid0(VALU_DEP_2) | instskip(NEXT) | instid1(VALU_DEP_2)
	v_cmp_gt_f32_e32 vcc_lo, v9, v8
	v_cndmask_b32_e64 v19, v19, 7, vcc_lo
	v_cndmask_b32_e32 v8, v8, v9, vcc_lo
	s_delay_alu instid0(VALU_DEP_2) | instskip(NEXT) | instid1(VALU_DEP_2)
	v_cmp_ne_u32_e64 s1, 7, v19
	v_sub_f32_e32 v8, v8, v10
	v_cmp_le_i32_e32 vcc_lo, s9, v19
	v_cmp_gt_i32_e64 s0, s10, v19
	v_subrev_nc_u32_e32 v21, s9, v19
	v_cndmask_b32_e64 v9, 0xff800000, v9, s1
	v_cmp_ne_u32_e64 s1, 6, v19
	v_mul_f32_e32 v20, 0x3fb8aa3b, v8
	s_and_b32 s0, vcc_lo, s0
	s_delay_alu instid0(SALU_CYCLE_1) | instskip(NEXT) | instid1(VALU_DEP_2)
	s_and_b32 vcc_lo, s15, s0
	v_cndmask_b32_e64 v12, 0xff800000, v12, s1
	v_cmp_ne_u32_e64 s1, 5, v19
	v_rndne_f32_e32 v22, v20
	v_cndmask_b32_e32 v21, 8, v21, vcc_lo
	global_store_b32 v[2:3], v21, off
	global_store_b32 v[0:1], v7, off
	v_cndmask_b32_e64 v13, 0xff800000, v13, s1
	v_cmp_ne_u32_e64 s1, 4, v19
	v_add_co_u32 v0, vcc_lo, v0, 4
	v_add_co_ci_u32_e32 v1, vcc_lo, 0, v1, vcc_lo
	s_delay_alu instid0(VALU_DEP_3) | instskip(SKIP_3) | instid1(VALU_DEP_3)
	v_cndmask_b32_e64 v14, 0xff800000, v14, s1
	v_cmp_ne_u32_e64 s1, 3, v19
	v_add_co_u32 v2, vcc_lo, v2, 4
	v_add_co_ci_u32_e32 v3, vcc_lo, 0, v3, vcc_lo
	v_cndmask_b32_e64 v15, 0xff800000, v15, s1
	v_cmp_ne_u32_e64 s1, 2, v19
	v_cmp_ngt_f32_e32 vcc_lo, 0xc2ce8ed0, v8
	v_add_nc_u32_e32 v7, s14, v7
	s_cmp_eq_u32 s3, 0
	s_delay_alu instid0(VALU_DEP_3) | instskip(SKIP_1) | instid1(VALU_DEP_1)
	v_cndmask_b32_e64 v16, 0xff800000, v16, s1
	v_cmp_ne_u32_e64 s1, 1, v19
	v_cndmask_b32_e64 v17, 0xff800000, v17, s1
	v_cmp_ne_u32_e64 s1, 0, v19
	v_fma_f32 v19, 0x3fb8aa3b, v8, -v20
	v_sub_f32_e32 v20, v20, v22
	v_cvt_i32_f32_e32 v22, v22
	s_delay_alu instid0(VALU_DEP_4) | instskip(NEXT) | instid1(VALU_DEP_4)
	v_cndmask_b32_e64 v18, 0xff800000, v18, s1
	v_fmac_f32_e32 v19, 0x32a5705f, v8
	s_delay_alu instid0(VALU_DEP_1) | instskip(NEXT) | instid1(VALU_DEP_1)
	v_add_f32_e32 v19, v20, v19
	v_exp_f32_e32 v19, v19
	s_waitcnt_depctr 0xfff
	v_ldexp_f32 v19, v19, v22
	s_delay_alu instid0(VALU_DEP_1) | instskip(SKIP_1) | instid1(VALU_DEP_2)
	v_cndmask_b32_e32 v19, 0, v19, vcc_lo
	v_cmp_nlt_f32_e32 vcc_lo, 0x42b17218, v8
	v_cndmask_b32_e32 v8, 0x7f800000, v19, vcc_lo
	global_store_b32 v[5:6], v8, off
	v_add_co_u32 v5, vcc_lo, v5, 4
	v_add_f32_e32 v11, v11, v8
	v_add_co_ci_u32_e32 v6, vcc_lo, 0, v6, vcc_lo
	s_cbranch_scc0 .LBB142_7
.LBB142_8:
	s_delay_alu instid0(VALU_DEP_2)
	v_cmp_neq_f32_e32 vcc_lo, 0, v11
	s_and_b32 exec_lo, exec_lo, vcc_lo
	s_cbranch_execz .LBB142_12
; %bb.9:
	s_and_not1_b32 vcc_lo, exec_lo, s2
	s_cbranch_vccnz .LBB142_12
; %bb.10:
	s_waitcnt vmcnt(0)
	v_div_scale_f32 v0, null, v11, v11, 1.0
	v_div_scale_f32 v3, vcc_lo, 1.0, v11, 1.0
	s_delay_alu instid0(VALU_DEP_2) | instskip(SKIP_2) | instid1(VALU_DEP_1)
	v_rcp_f32_e32 v1, v0
	s_waitcnt_depctr 0xfff
	v_fma_f32 v2, -v0, v1, 1.0
	v_fmac_f32_e32 v1, v2, v1
	s_delay_alu instid0(VALU_DEP_1) | instskip(NEXT) | instid1(VALU_DEP_1)
	v_mul_f32_e32 v2, v3, v1
	v_fma_f32 v5, -v0, v2, v3
	s_delay_alu instid0(VALU_DEP_1) | instskip(SKIP_1) | instid1(VALU_DEP_2)
	v_fmac_f32_e32 v2, v5, v1
	v_ashrrev_i32_e32 v5, 31, v4
	v_fma_f32 v0, -v0, v2, v3
	s_delay_alu instid0(VALU_DEP_1) | instskip(NEXT) | instid1(VALU_DEP_3)
	v_div_fmas_f32 v2, v0, v1, v2
	v_lshlrev_b64 v[0:1], 2, v[4:5]
	s_delay_alu instid0(VALU_DEP_2) | instskip(NEXT) | instid1(VALU_DEP_2)
	v_div_fixup_f32 v2, v2, v11, 1.0
	v_add_co_u32 v0, vcc_lo, s12, v0
	s_delay_alu instid0(VALU_DEP_3)
	v_add_co_ci_u32_e32 v1, vcc_lo, s13, v1, vcc_lo
.LBB142_11:                             ; =>This Inner Loop Header: Depth=1
	global_load_b32 v3, v[0:1], off
	s_add_i32 s8, s8, -1
	s_delay_alu instid0(SALU_CYCLE_1)
	s_cmp_lg_u32 s8, 0
	s_waitcnt vmcnt(0)
	v_mul_f32_e32 v3, v2, v3
	global_store_b32 v[0:1], v3, off
	v_add_co_u32 v0, vcc_lo, v0, 4
	v_add_co_ci_u32_e32 v1, vcc_lo, 0, v1, vcc_lo
	s_cbranch_scc1 .LBB142_11
.LBB142_12:
	s_nop 0
	s_sendmsg sendmsg(MSG_DEALLOC_VGPRS)
	s_endpgm
	.section	.rodata,"a",@progbits
	.p2align	6, 0x0
	.amdhsa_kernel _ZN4vllm3moe17topkGatingSoftmaxIDF16_Li8ELi8ELi8ELi16ELb1ELi4ELNS0_23SharedExpertScoringFuncE1EEEvPKT_PKbPfiPiS9_iiiiii
		.amdhsa_group_segment_fixed_size 0
		.amdhsa_private_segment_fixed_size 0
		.amdhsa_kernarg_size 72
		.amdhsa_user_sgpr_count 15
		.amdhsa_user_sgpr_dispatch_ptr 0
		.amdhsa_user_sgpr_queue_ptr 0
		.amdhsa_user_sgpr_kernarg_segment_ptr 1
		.amdhsa_user_sgpr_dispatch_id 0
		.amdhsa_user_sgpr_private_segment_size 0
		.amdhsa_wavefront_size32 1
		.amdhsa_uses_dynamic_stack 0
		.amdhsa_enable_private_segment 0
		.amdhsa_system_sgpr_workgroup_id_x 1
		.amdhsa_system_sgpr_workgroup_id_y 0
		.amdhsa_system_sgpr_workgroup_id_z 0
		.amdhsa_system_sgpr_workgroup_info 0
		.amdhsa_system_vgpr_workitem_id 1
		.amdhsa_next_free_vgpr 33
		.amdhsa_next_free_sgpr 17
		.amdhsa_reserve_vcc 1
		.amdhsa_float_round_mode_32 0
		.amdhsa_float_round_mode_16_64 0
		.amdhsa_float_denorm_mode_32 3
		.amdhsa_float_denorm_mode_16_64 3
		.amdhsa_dx10_clamp 1
		.amdhsa_ieee_mode 1
		.amdhsa_fp16_overflow 0
		.amdhsa_workgroup_processor_mode 1
		.amdhsa_memory_ordered 1
		.amdhsa_forward_progress 0
		.amdhsa_shared_vgpr_count 0
		.amdhsa_exception_fp_ieee_invalid_op 0
		.amdhsa_exception_fp_denorm_src 0
		.amdhsa_exception_fp_ieee_div_zero 0
		.amdhsa_exception_fp_ieee_overflow 0
		.amdhsa_exception_fp_ieee_underflow 0
		.amdhsa_exception_fp_ieee_inexact 0
		.amdhsa_exception_int_div_zero 0
	.end_amdhsa_kernel
	.section	.text._ZN4vllm3moe17topkGatingSoftmaxIDF16_Li8ELi8ELi8ELi16ELb1ELi4ELNS0_23SharedExpertScoringFuncE1EEEvPKT_PKbPfiPiS9_iiiiii,"axG",@progbits,_ZN4vllm3moe17topkGatingSoftmaxIDF16_Li8ELi8ELi8ELi16ELb1ELi4ELNS0_23SharedExpertScoringFuncE1EEEvPKT_PKbPfiPiS9_iiiiii,comdat
.Lfunc_end142:
	.size	_ZN4vllm3moe17topkGatingSoftmaxIDF16_Li8ELi8ELi8ELi16ELb1ELi4ELNS0_23SharedExpertScoringFuncE1EEEvPKT_PKbPfiPiS9_iiiiii, .Lfunc_end142-_ZN4vllm3moe17topkGatingSoftmaxIDF16_Li8ELi8ELi8ELi16ELb1ELi4ELNS0_23SharedExpertScoringFuncE1EEEvPKT_PKbPfiPiS9_iiiiii
                                        ; -- End function
	.section	.AMDGPU.csdata,"",@progbits
; Kernel info:
; codeLenInByte = 2480
; NumSgprs: 19
; NumVgprs: 33
; ScratchSize: 0
; MemoryBound: 0
; FloatMode: 240
; IeeeMode: 1
; LDSByteSize: 0 bytes/workgroup (compile time only)
; SGPRBlocks: 2
; VGPRBlocks: 4
; NumSGPRsForWavesPerEU: 19
; NumVGPRsForWavesPerEU: 33
; Occupancy: 16
; WaveLimiterHint : 0
; COMPUTE_PGM_RSRC2:SCRATCH_EN: 0
; COMPUTE_PGM_RSRC2:USER_SGPR: 15
; COMPUTE_PGM_RSRC2:TRAP_HANDLER: 0
; COMPUTE_PGM_RSRC2:TGID_X_EN: 1
; COMPUTE_PGM_RSRC2:TGID_Y_EN: 0
; COMPUTE_PGM_RSRC2:TGID_Z_EN: 0
; COMPUTE_PGM_RSRC2:TIDIG_COMP_CNT: 1
	.section	.text._ZN4vllm3moe17topkGatingSoftmaxIDF16_Li8ELi8ELi8ELi16ELb0ELi4ELNS0_23SharedExpertScoringFuncE1EEEvPKT_PKbPfiPiS9_iiiiii,"axG",@progbits,_ZN4vllm3moe17topkGatingSoftmaxIDF16_Li8ELi8ELi8ELi16ELb0ELi4ELNS0_23SharedExpertScoringFuncE1EEEvPKT_PKbPfiPiS9_iiiiii,comdat
	.protected	_ZN4vllm3moe17topkGatingSoftmaxIDF16_Li8ELi8ELi8ELi16ELb0ELi4ELNS0_23SharedExpertScoringFuncE1EEEvPKT_PKbPfiPiS9_iiiiii ; -- Begin function _ZN4vllm3moe17topkGatingSoftmaxIDF16_Li8ELi8ELi8ELi16ELb0ELi4ELNS0_23SharedExpertScoringFuncE1EEEvPKT_PKbPfiPiS9_iiiiii
	.globl	_ZN4vllm3moe17topkGatingSoftmaxIDF16_Li8ELi8ELi8ELi16ELb0ELi4ELNS0_23SharedExpertScoringFuncE1EEEvPKT_PKbPfiPiS9_iiiiii
	.p2align	8
	.type	_ZN4vllm3moe17topkGatingSoftmaxIDF16_Li8ELi8ELi8ELi16ELb0ELi4ELNS0_23SharedExpertScoringFuncE1EEEvPKT_PKbPfiPiS9_iiiiii,@function
_ZN4vllm3moe17topkGatingSoftmaxIDF16_Li8ELi8ELi8ELi16ELb0ELi4ELNS0_23SharedExpertScoringFuncE1EEEvPKT_PKbPfiPiS9_iiiiii: ; @_ZN4vllm3moe17topkGatingSoftmaxIDF16_Li8ELi8ELi8ELi16ELb0ELi4ELNS0_23SharedExpertScoringFuncE1EEEvPKT_PKbPfiPiS9_iiiiii
; %bb.0:
	s_load_b32 s20, s[0:1], 0x18
	v_bfe_u32 v1, v0, 10, 10
	v_and_b32_e32 v18, 0x3ff, v0
	s_lshl_b32 s22, s15, 8
	s_mov_b32 s2, exec_lo
	s_delay_alu instid0(VALU_DEP_2) | instskip(NEXT) | instid1(VALU_DEP_1)
	v_lshlrev_b32_e32 v17, 5, v1
	v_add3_u32 v19, v17, v18, s22
	s_waitcnt lgkmcnt(0)
	s_delay_alu instid0(VALU_DEP_1)
	v_cmpx_gt_i32_e64 s20, v19
	s_cbranch_execz .LBB143_12
; %bb.1:
	s_clause 0x1
	s_load_b128 s[4:7], s[0:1], 0x0
	s_load_b64 s[16:17], s[0:1], 0x10
	s_waitcnt lgkmcnt(0)
	s_cmp_eq_u64 s[6:7], 0
	s_cbranch_scc1 .LBB143_3
; %bb.2:
	v_ashrrev_i32_e32 v1, 31, v19
	v_add_co_u32 v0, vcc_lo, s6, v19
	s_delay_alu instid0(VALU_DEP_2) | instskip(SKIP_3) | instid1(VALU_DEP_1)
	v_add_co_ci_u32_e32 v1, vcc_lo, s7, v1, vcc_lo
	global_load_u8 v0, v[0:1], off
	s_waitcnt vmcnt(0)
	v_and_b32_e32 v0, 1, v0
	v_cmp_eq_u32_e32 vcc_lo, 1, v0
	s_xor_b32 s2, vcc_lo, -1
	s_delay_alu instid0(SALU_CYCLE_1)
	s_or_not1_b32 s21, s2, exec_lo
	s_branch .LBB143_4
.LBB143_3:
	s_mov_b32 s21, -1
.LBB143_4:
	s_clause 0x1
	s_load_b64 s[18:19], s[0:1], 0x40
	s_load_b128 s[12:15], s[0:1], 0x30
	s_mov_b32 s3, 0x3fb8aa3b
	s_waitcnt lgkmcnt(0)
	v_mul_lo_u32 v0, v19, s19
	s_cmp_gt_i32 s12, 0
	s_delay_alu instid0(VALU_DEP_1) | instskip(NEXT) | instid1(VALU_DEP_1)
	v_ashrrev_i32_e32 v1, 31, v0
	v_lshlrev_b64 v[0:1], 1, v[0:1]
	s_delay_alu instid0(VALU_DEP_1) | instskip(NEXT) | instid1(VALU_DEP_2)
	v_add_co_u32 v5, vcc_lo, s4, v0
	v_add_co_ci_u32_e32 v6, vcc_lo, s5, v1, vcc_lo
	v_mul_lo_u32 v0, v19, s15
	s_mov_b32 s4, 0x32a5705f
	s_cselect_b32 s15, -1, 0
	s_clause 0x1
	global_load_b128 v[1:4], v[5:6], off
	global_load_b64 v[5:6], v[5:6], off offset:16
	s_cmp_lt_i32 s12, 1
	s_waitcnt vmcnt(1)
	v_cvt_f32_f16_e32 v11, v2
	v_lshrrev_b32_e32 v2, 16, v2
	s_waitcnt vmcnt(0)
	v_cvt_f32_f16_e64 v23, -v5
	v_add_nc_u32_e32 v7, s12, v0
	v_cvt_f32_f16_e32 v9, v3
	v_lshrrev_b32_e32 v3, 16, v3
	v_cvt_f32_f16_e32 v12, v2
	v_mul_f32_e32 v2, 0x3fb8aa3b, v23
	v_ashrrev_i32_e32 v8, 31, v7
	v_lshrrev_b32_e32 v16, 16, v5
	v_lshrrev_b32_e32 v22, 16, v6
	v_cvt_f32_f16_e32 v10, v3
	v_lshrrev_b32_e32 v15, 16, v1
	v_lshlrev_b64 v[7:8], 2, v[7:8]
	v_cvt_f32_f16_e64 v3, -v16
	v_cvt_f32_f16_e64 v24, -v6
	v_cvt_f32_f16_e64 v16, -v22
	v_fma_mix_f32 v22, -v5, s3, -v2 op_sel_hi:[1,0,0]
	v_rndne_f32_e32 v25, v2
	v_add_co_u32 v20, vcc_lo, s16, v7
	v_cvt_f32_f16_e32 v7, v4
	v_lshrrev_b32_e32 v4, 16, v4
	v_dual_mul_f32 v26, 0x3fb8aa3b, v3 :: v_dual_mul_f32 v29, 0x3fb8aa3b, v16
	v_add_co_ci_u32_e32 v21, vcc_lo, s17, v8, vcc_lo
	v_cvt_f32_f16_e32 v14, v15
	s_delay_alu instid0(VALU_DEP_4)
	v_cvt_f32_f16_e32 v8, v4
	v_cmp_lt_f16_e64 s2, v1, v15
	v_fma_mix_f32 v15, -v5, s4, v22 op_sel_hi:[1,0,0]
	v_sub_f32_e32 v2, v2, v25
	v_rndne_f32_e32 v30, v26
	v_mul_f32_e32 v4, 0x3fb8aa3b, v24
	v_fma_mix_f32 v22, -v5, s3, -v26 op_sel:[1,0,0] op_sel_hi:[1,0,0]
	v_fma_mix_f32 v31, -v6, s3, -v29 op_sel:[1,0,0] op_sel_hi:[1,0,0]
	v_add_f32_e32 v2, v2, v15
	v_sub_f32_e32 v15, v26, v30
	v_fma_mix_f32 v27, -v6, s3, -v4 op_sel_hi:[1,0,0]
	v_rndne_f32_e32 v28, v4
	v_fma_mix_f32 v5, -v5, s4, v22 op_sel:[1,0,0] op_sel_hi:[1,0,0]
	v_rndne_f32_e32 v32, v29
	v_exp_f32_e32 v2, v2
	v_fma_mix_f32 v27, -v6, s4, v27 op_sel_hi:[1,0,0]
	s_delay_alu instid0(VALU_DEP_3) | instskip(SKIP_3) | instid1(VALU_DEP_4)
	v_dual_sub_f32 v4, v4, v28 :: v_dual_add_f32 v5, v15, v5
	v_fma_mix_f32 v6, -v6, s4, v31 op_sel:[1,0,0] op_sel_hi:[1,0,0]
	v_sub_f32_e32 v22, v29, v32
	v_cvt_i32_f32_e32 v15, v25
	v_add_f32_e32 v4, v4, v27
	v_cmp_ngt_f32_e32 vcc_lo, 0xc2ce8ed0, v23
	v_exp_f32_e32 v5, v5
	v_add_f32_e32 v6, v22, v6
	v_cvt_i32_f32_e32 v22, v28
	v_exp_f32_e32 v4, v4
	v_ldexp_f32 v2, v2, v15
	v_cvt_i32_f32_e32 v15, v30
	v_exp_f32_e32 v6, v6
	v_cvt_i32_f32_e32 v25, v32
	v_cvt_f32_f16_e32 v13, v1
	v_cndmask_b32_e32 v2, 0, v2, vcc_lo
	v_cmp_ngt_f32_e32 vcc_lo, 0xc2ce8ed0, v24
	v_ldexp_f32 v5, v5, v15
	s_delay_alu instid0(TRANS32_DEP_2) | instskip(SKIP_1) | instid1(TRANS32_DEP_1)
	v_ldexp_f32 v4, v4, v22
	v_cndmask_b32_e64 v1, v13, v14, s2
	v_ldexp_f32 v6, v6, v25
	s_delay_alu instid0(VALU_DEP_3) | instskip(SKIP_1) | instid1(VALU_DEP_4)
	v_cndmask_b32_e32 v4, 0, v4, vcc_lo
	v_cmp_nlt_f32_e32 vcc_lo, 0x42b17218, v23
	v_cmp_lt_f32_e64 s3, v1, v11
	v_cndmask_b32_e32 v2, 0x7f800000, v2, vcc_lo
	v_cmp_ngt_f32_e32 vcc_lo, 0xc2ce8ed0, v3
	s_delay_alu instid0(VALU_DEP_3) | instskip(SKIP_2) | instid1(VALU_DEP_3)
	v_cndmask_b32_e64 v1, v1, v11, s3
	v_cndmask_b32_e32 v5, 0, v5, vcc_lo
	v_cmp_nlt_f32_e32 vcc_lo, 0x42b17218, v24
	v_cmp_lt_f32_e64 s4, v1, v12
	v_cndmask_b32_e32 v4, 0x7f800000, v4, vcc_lo
	v_cmp_ngt_f32_e32 vcc_lo, 0xc2ce8ed0, v16
	s_delay_alu instid0(VALU_DEP_3) | instskip(NEXT) | instid1(VALU_DEP_3)
	v_cndmask_b32_e64 v1, v1, v12, s4
	v_add_f32_e32 v4, 1.0, v4
	v_cndmask_b32_e32 v6, 0, v6, vcc_lo
	v_cmp_nlt_f32_e32 vcc_lo, 0x42b17218, v3
	s_delay_alu instid0(VALU_DEP_4) | instskip(NEXT) | instid1(VALU_DEP_4)
	v_cmp_lt_f32_e64 s7, v1, v9
	v_div_scale_f32 v15, null, v4, v4, 1.0
	v_cndmask_b32_e32 v3, 0x7f800000, v5, vcc_lo
	v_cmp_nlt_f32_e32 vcc_lo, 0x42b17218, v16
	v_div_scale_f32 v28, s8, 1.0, v4, 1.0
	s_delay_alu instid0(VALU_DEP_4) | instskip(NEXT) | instid1(VALU_DEP_3)
	v_rcp_f32_e32 v23, v15
	v_add_f32_e32 v3, 1.0, v3
	v_cndmask_b32_e32 v5, 0x7f800000, v6, vcc_lo
	v_cndmask_b32_e64 v1, v1, v9, s7
	s_delay_alu instid0(VALU_DEP_3)
	v_div_scale_f32 v16, null, v3, v3, 1.0
	v_div_scale_f32 v32, s9, 1.0, v3, 1.0
	s_waitcnt_depctr 0xfff
	v_fma_f32 v30, -v15, v23, 1.0
	v_rcp_f32_e32 v25, v16
	v_add_f32_e32 v5, 1.0, v5
	v_cmp_lt_f32_e64 s5, v1, v10
	s_delay_alu instid0(VALU_DEP_3) | instskip(NEXT) | instid1(VALU_DEP_3)
	v_fmac_f32_e32 v23, v30, v23
	v_div_scale_f32 v24, null, v5, v5, 1.0
	v_div_scale_f32 v30, s10, 1.0, v5, 1.0
	s_waitcnt_depctr 0xfff
	v_fma_f32 v31, -v16, v25, 1.0
	v_mul_f32_e32 v33, v28, v23
	v_rcp_f32_e32 v27, v24
	v_cndmask_b32_e64 v1, v1, v10, s5
	s_delay_alu instid0(VALU_DEP_3) | instskip(NEXT) | instid1(VALU_DEP_3)
	v_dual_fmac_f32 v25, v31, v25 :: v_dual_add_f32 v2, 1.0, v2
	v_fma_f32 v35, -v15, v33, v28
	s_delay_alu instid0(VALU_DEP_3) | instskip(NEXT) | instid1(VALU_DEP_3)
	v_cmp_lt_f32_e64 s6, v1, v7
	v_div_scale_f32 v6, null, v2, v2, 1.0
	s_delay_alu instid0(VALU_DEP_3) | instskip(NEXT) | instid1(VALU_DEP_3)
	v_fmac_f32_e32 v33, v35, v23
	v_cndmask_b32_e64 v1, v1, v7, s6
	s_delay_alu instid0(VALU_DEP_3) | instskip(NEXT) | instid1(VALU_DEP_2)
	v_rcp_f32_e32 v22, v6
	v_fma_f32 v15, -v15, v33, v28
	s_waitcnt_depctr 0xfff
	v_fma_f32 v29, -v6, v22, 1.0
	s_delay_alu instid0(VALU_DEP_1) | instskip(SKIP_1) | instid1(VALU_DEP_1)
	v_fmac_f32_e32 v22, v29, v22
	v_fma_f32 v29, -v24, v27, 1.0
	v_fmac_f32_e32 v27, v29, v27
	v_mul_f32_e32 v29, v32, v25
	v_div_scale_f32 v26, vcc_lo, 1.0, v2, 1.0
	s_delay_alu instid0(VALU_DEP_2) | instskip(NEXT) | instid1(VALU_DEP_2)
	v_fma_f32 v37, -v16, v29, v32
	v_mul_f32_e32 v31, v26, v22
	s_delay_alu instid0(VALU_DEP_2) | instskip(NEXT) | instid1(VALU_DEP_2)
	v_dual_mul_f32 v36, v30, v27 :: v_dual_fmac_f32 v29, v37, v25
	v_fma_f32 v34, -v6, v31, v26
	s_delay_alu instid0(VALU_DEP_2) | instskip(NEXT) | instid1(VALU_DEP_2)
	v_fma_f32 v16, -v16, v29, v32
	v_fmac_f32_e32 v31, v34, v22
	s_delay_alu instid0(VALU_DEP_4) | instskip(NEXT) | instid1(VALU_DEP_2)
	v_fma_f32 v34, -v24, v36, v30
	v_fma_f32 v6, -v6, v31, v26
	s_delay_alu instid0(VALU_DEP_2) | instskip(NEXT) | instid1(VALU_DEP_2)
	v_fmac_f32_e32 v36, v34, v27
	v_div_fmas_f32 v6, v6, v22, v31
	s_mov_b32 vcc_lo, s9
	s_delay_alu instid0(VALU_DEP_2)
	v_fma_f32 v22, -v24, v36, v30
	v_div_fmas_f32 v16, v16, v25, v29
	s_mov_b32 vcc_lo, s8
	v_div_fmas_f32 v23, v15, v23, v33
	s_mov_b32 vcc_lo, s10
	v_div_fmas_f32 v22, v22, v27, v36
	v_cmp_lt_f32_e32 vcc_lo, v1, v8
	v_cndmask_b32_e32 v15, v1, v8, vcc_lo
	v_div_fixup_f32 v1, v6, v2, 1.0
	v_div_fixup_f32 v2, v16, v3, 1.0
	;; [unrolled: 1-line block ×4, first 2 shown]
	v_mov_b32_e32 v16, 0
	global_store_b128 v[20:21], v[1:4], off
	s_cbranch_scc1 .LBB143_8
; %bb.5:
	v_cndmask_b32_e64 v1, 0, 1, s2
	v_sub_f32_e32 v16, v15, v15
	s_load_b128 s[8:11], s[0:1], 0x20
	v_mul_lo_u32 v2, v19, s18
	v_mul_lo_u32 v20, v19, s12
	v_cndmask_b32_e64 v1, v1, 2, s3
	v_mul_f32_e32 v3, 0x3fb8aa3b, v16
	s_delay_alu instid0(VALU_DEP_2) | instskip(NEXT) | instid1(VALU_DEP_2)
	v_cndmask_b32_e64 v1, v1, 3, s4
	v_rndne_f32_e32 v4, v3
	v_fma_f32 v5, 0x3fb8aa3b, v16, -v3
	s_delay_alu instid0(VALU_DEP_3) | instskip(NEXT) | instid1(VALU_DEP_3)
	v_cndmask_b32_e64 v6, v1, 4, s7
	v_sub_f32_e32 v3, v3, v4
	s_delay_alu instid0(VALU_DEP_3) | instskip(SKIP_3) | instid1(VALU_DEP_4)
	v_fmac_f32_e32 v5, 0x32a5705f, v16
	v_ashrrev_i32_e32 v1, 31, v0
	v_cvt_i32_f32_e32 v4, v4
	v_cndmask_b32_e64 v21, v6, 5, s5
	v_add_f32_e32 v22, v3, v5
	s_delay_alu instid0(VALU_DEP_4) | instskip(SKIP_1) | instid1(VALU_DEP_4)
	v_lshlrev_b64 v[5:6], 2, v[0:1]
	v_ashrrev_i32_e32 v3, 31, v2
	v_cndmask_b32_e64 v1, v21, 6, s6
	v_ashrrev_i32_e32 v21, 31, v20
	v_exp_f32_e32 v22, v22
	s_delay_alu instid0(VALU_DEP_2) | instskip(SKIP_2) | instid1(VALU_DEP_3)
	v_cndmask_b32_e64 v24, v1, 7, vcc_lo
	v_add_co_u32 v5, vcc_lo, s16, v5
	v_add_co_ci_u32_e32 v6, vcc_lo, s17, v6, vcc_lo
	v_cmp_le_i32_e32 vcc_lo, s13, v24
	v_cmp_gt_i32_e64 s0, s14, v24
	v_lshlrev_b64 v[1:2], 2, v[2:3]
	s_delay_alu instid0(TRANS32_DEP_1)
	v_ldexp_f32 v22, v22, v4
	v_lshlrev_b64 v[3:4], 2, v[20:21]
	v_subrev_nc_u32_e32 v23, s13, v24
	s_and_b32 s0, vcc_lo, s0
	v_cmp_ngt_f32_e32 vcc_lo, 0xc2ce8ed0, v16
	v_cndmask_b32_e32 v22, 0, v22, vcc_lo
	s_waitcnt lgkmcnt(0)
	v_add_co_u32 v20, vcc_lo, s8, v1
	v_add_co_ci_u32_e32 v21, vcc_lo, s9, v2, vcc_lo
	s_and_b32 vcc_lo, s21, s0
	s_cmp_eq_u32 s12, 1
	v_cndmask_b32_e32 v25, 8, v23, vcc_lo
	v_cmp_nlt_f32_e32 vcc_lo, 0x42b17218, v16
	v_cndmask_b32_e32 v16, 0x7f800000, v22, vcc_lo
	v_add_co_u32 v22, vcc_lo, s10, v3
	v_add_co_ci_u32_e32 v23, vcc_lo, s11, v4, vcc_lo
	v_cmp_ne_u32_e32 vcc_lo, 7, v24
	global_store_b32 v[5:6], v16, off
	global_store_b32 v[20:21], v25, off
	;; [unrolled: 1-line block ×3, first 2 shown]
	v_cndmask_b32_e32 v8, 0xff800000, v8, vcc_lo
	v_cmp_ne_u32_e32 vcc_lo, 6, v24
	v_cndmask_b32_e32 v7, 0xff800000, v7, vcc_lo
	v_cmp_ne_u32_e32 vcc_lo, 5, v24
	;; [unrolled: 2-line block ×7, first 2 shown]
	v_cndmask_b32_e32 v13, 0xff800000, v13, vcc_lo
	s_cbranch_scc1 .LBB143_8
; %bb.6:
	v_add_co_u32 v3, vcc_lo, v3, s10
	v_add_co_ci_u32_e32 v4, vcc_lo, s11, v4, vcc_lo
	v_add_co_u32 v19, vcc_lo, v1, s8
	v_add_co_ci_u32_e32 v20, vcc_lo, s9, v2, vcc_lo
	s_delay_alu instid0(VALU_DEP_4) | instskip(NEXT) | instid1(VALU_DEP_4)
	v_add_co_u32 v1, vcc_lo, v3, 4
	v_add_co_ci_u32_e32 v2, vcc_lo, 0, v4, vcc_lo
	s_delay_alu instid0(VALU_DEP_4) | instskip(NEXT) | instid1(VALU_DEP_4)
	v_add_co_u32 v3, vcc_lo, v19, 4
	v_add_co_ci_u32_e32 v4, vcc_lo, 0, v20, vcc_lo
	s_add_i32 s22, s22, s20
	v_add_co_u32 v5, vcc_lo, v5, 4
	v_add_co_ci_u32_e32 v6, vcc_lo, 0, v6, vcc_lo
	v_add3_u32 v17, s22, v18, v17
	s_add_i32 s2, s12, -1
.LBB143_7:                              ; =>This Inner Loop Header: Depth=1
	v_cmp_gt_f32_e32 vcc_lo, v14, v13
	s_add_i32 s2, s2, -1
	v_cndmask_b32_e32 v18, v13, v14, vcc_lo
	v_cndmask_b32_e64 v19, 0, 1, vcc_lo
	s_delay_alu instid0(VALU_DEP_2) | instskip(SKIP_1) | instid1(VALU_DEP_3)
	v_cmp_gt_f32_e32 vcc_lo, v11, v18
	v_cndmask_b32_e32 v18, v18, v11, vcc_lo
	v_cndmask_b32_e64 v19, v19, 2, vcc_lo
	s_delay_alu instid0(VALU_DEP_2) | instskip(SKIP_1) | instid1(VALU_DEP_3)
	v_cmp_gt_f32_e32 vcc_lo, v12, v18
	;; [unrolled: 4-line block ×5, first 2 shown]
	v_cndmask_b32_e32 v18, v18, v7, vcc_lo
	v_cndmask_b32_e64 v19, v19, 6, vcc_lo
	s_delay_alu instid0(VALU_DEP_2) | instskip(NEXT) | instid1(VALU_DEP_2)
	v_cmp_gt_f32_e32 vcc_lo, v8, v18
	v_cndmask_b32_e64 v19, v19, 7, vcc_lo
	v_cndmask_b32_e32 v18, v18, v8, vcc_lo
	s_delay_alu instid0(VALU_DEP_2) | instskip(NEXT) | instid1(VALU_DEP_2)
	v_cmp_ne_u32_e64 s1, 7, v19
	v_sub_f32_e32 v18, v18, v15
	v_cmp_le_i32_e32 vcc_lo, s13, v19
	v_cmp_gt_i32_e64 s0, s14, v19
	v_subrev_nc_u32_e32 v21, s13, v19
	v_cndmask_b32_e64 v8, 0xff800000, v8, s1
	v_cmp_ne_u32_e64 s1, 6, v19
	v_mul_f32_e32 v20, 0x3fb8aa3b, v18
	s_and_b32 s0, vcc_lo, s0
	s_delay_alu instid0(SALU_CYCLE_1) | instskip(NEXT) | instid1(VALU_DEP_2)
	s_and_b32 vcc_lo, s21, s0
	v_cndmask_b32_e64 v7, 0xff800000, v7, s1
	v_cmp_ne_u32_e64 s1, 5, v19
	v_rndne_f32_e32 v22, v20
	v_cndmask_b32_e32 v21, 8, v21, vcc_lo
	global_store_b32 v[3:4], v21, off
	global_store_b32 v[1:2], v17, off
	v_cndmask_b32_e64 v10, 0xff800000, v10, s1
	v_cmp_ne_u32_e64 s1, 4, v19
	v_add_co_u32 v1, vcc_lo, v1, 4
	v_add_co_ci_u32_e32 v2, vcc_lo, 0, v2, vcc_lo
	s_delay_alu instid0(VALU_DEP_3) | instskip(SKIP_3) | instid1(VALU_DEP_3)
	v_cndmask_b32_e64 v9, 0xff800000, v9, s1
	v_cmp_ne_u32_e64 s1, 3, v19
	v_add_co_u32 v3, vcc_lo, v3, 4
	v_add_co_ci_u32_e32 v4, vcc_lo, 0, v4, vcc_lo
	v_cndmask_b32_e64 v12, 0xff800000, v12, s1
	v_cmp_ne_u32_e64 s1, 2, v19
	v_cmp_ngt_f32_e32 vcc_lo, 0xc2ce8ed0, v18
	v_add_nc_u32_e32 v17, s20, v17
	s_cmp_eq_u32 s2, 0
	s_delay_alu instid0(VALU_DEP_3) | instskip(SKIP_1) | instid1(VALU_DEP_1)
	v_cndmask_b32_e64 v11, 0xff800000, v11, s1
	v_cmp_ne_u32_e64 s1, 1, v19
	v_cndmask_b32_e64 v14, 0xff800000, v14, s1
	v_cmp_ne_u32_e64 s1, 0, v19
	v_fma_f32 v19, 0x3fb8aa3b, v18, -v20
	v_sub_f32_e32 v20, v20, v22
	v_cvt_i32_f32_e32 v22, v22
	s_delay_alu instid0(VALU_DEP_4) | instskip(NEXT) | instid1(VALU_DEP_4)
	v_cndmask_b32_e64 v13, 0xff800000, v13, s1
	v_fmac_f32_e32 v19, 0x32a5705f, v18
	s_delay_alu instid0(VALU_DEP_1) | instskip(NEXT) | instid1(VALU_DEP_1)
	v_add_f32_e32 v19, v20, v19
	v_exp_f32_e32 v19, v19
	s_waitcnt_depctr 0xfff
	v_ldexp_f32 v19, v19, v22
	s_delay_alu instid0(VALU_DEP_1) | instskip(SKIP_1) | instid1(VALU_DEP_2)
	v_cndmask_b32_e32 v19, 0, v19, vcc_lo
	v_cmp_nlt_f32_e32 vcc_lo, 0x42b17218, v18
	v_cndmask_b32_e32 v18, 0x7f800000, v19, vcc_lo
	global_store_b32 v[5:6], v18, off
	v_add_co_u32 v5, vcc_lo, v5, 4
	v_add_f32_e32 v16, v16, v18
	v_add_co_ci_u32_e32 v6, vcc_lo, 0, v6, vcc_lo
	s_cbranch_scc0 .LBB143_7
.LBB143_8:
	s_delay_alu instid0(VALU_DEP_3) | instskip(NEXT) | instid1(VALU_DEP_2)
	v_sub_f32_e32 v2, v14, v15
	v_sub_f32_e32 v1, v13, v15
	;; [unrolled: 1-line block ×5, first 2 shown]
	s_delay_alu instid0(VALU_DEP_4) | instskip(SKIP_1) | instid1(VALU_DEP_2)
	v_dual_mul_f32 v6, 0x3fb8aa3b, v2 :: v_dual_mul_f32 v5, 0x3fb8aa3b, v1
	v_cmp_ngt_f32_e32 vcc_lo, 0xc2ce8ed0, v1
	v_rndne_f32_e32 v18, v6
	s_delay_alu instid0(VALU_DEP_3) | instskip(SKIP_3) | instid1(VALU_DEP_4)
	v_fma_f32 v13, 0x3fb8aa3b, v1, -v5
	v_sub_f32_e32 v4, v12, v15
	v_fma_f32 v17, 0x3fb8aa3b, v2, -v6
	v_rndne_f32_e32 v14, v5
	v_dual_sub_f32 v6, v6, v18 :: v_dual_fmac_f32 v13, 0x32a5705f, v1
	s_delay_alu instid0(VALU_DEP_4) | instskip(NEXT) | instid1(VALU_DEP_1)
	v_dual_sub_f32 v3, v11, v15 :: v_dual_mul_f32 v12, 0x3fb8aa3b, v4
	v_mul_f32_e32 v11, 0x3fb8aa3b, v3
	s_delay_alu instid0(VALU_DEP_2) | instskip(SKIP_1) | instid1(VALU_DEP_3)
	v_fma_f32 v21, 0x3fb8aa3b, v4, -v12
	v_rndne_f32_e32 v22, v12
	v_fma_f32 v19, 0x3fb8aa3b, v3, -v11
	s_delay_alu instid0(VALU_DEP_2) | instskip(SKIP_2) | instid1(VALU_DEP_3)
	v_dual_fmac_f32 v21, 0x32a5705f, v4 :: v_dual_sub_f32 v12, v12, v22
	v_fmac_f32_e32 v17, 0x32a5705f, v2
	v_rndne_f32_e32 v20, v11
	v_dual_fmac_f32 v19, 0x32a5705f, v3 :: v_dual_add_f32 v12, v12, v21
	s_delay_alu instid0(VALU_DEP_3) | instskip(NEXT) | instid1(VALU_DEP_2)
	v_dual_sub_f32 v5, v5, v14 :: v_dual_add_f32 v6, v6, v17
	v_exp_f32_e32 v12, v12
	s_delay_alu instid0(VALU_DEP_1) | instskip(NEXT) | instid1(VALU_DEP_2)
	v_add_f32_e32 v5, v5, v13
	v_exp_f32_e32 v6, v6
	v_cvt_i32_f32_e32 v13, v14
	v_cvt_i32_f32_e32 v14, v18
	s_delay_alu instid0(VALU_DEP_3)
	v_exp_f32_e32 v5, v5
	s_waitcnt_depctr 0xfff
	v_ldexp_f32 v6, v6, v14
	v_mul_f32_e32 v14, 0x3fb8aa3b, v8
	v_ldexp_f32 v5, v5, v13
	v_cvt_i32_f32_e32 v13, v20
	s_delay_alu instid0(VALU_DEP_2) | instskip(SKIP_3) | instid1(VALU_DEP_4)
	v_cndmask_b32_e32 v5, 0, v5, vcc_lo
	v_cmp_ngt_f32_e32 vcc_lo, 0xc2ce8ed0, v2
	v_cndmask_b32_e32 v6, 0, v6, vcc_lo
	v_cmp_nlt_f32_e32 vcc_lo, 0x42b17218, v1
	v_cndmask_b32_e32 v1, 0x7f800000, v5, vcc_lo
	v_cmp_nlt_f32_e32 vcc_lo, 0x42b17218, v2
	s_delay_alu instid0(VALU_DEP_4) | instskip(NEXT) | instid1(VALU_DEP_1)
	v_dual_sub_f32 v11, v11, v20 :: v_dual_cndmask_b32 v2, 0x7f800000, v6
	v_add_f32_e32 v11, v11, v19
	v_cmp_ngt_f32_e32 vcc_lo, 0xc2ce8ed0, v3
	v_sub_f32_e32 v6, v9, v15
	v_cvt_i32_f32_e32 v9, v22
	v_add_f32_e32 v1, v1, v2
	v_exp_f32_e32 v11, v11
	v_rndne_f32_e32 v15, v14
	s_waitcnt_depctr 0xfff
	v_ldexp_f32 v11, v11, v13
	s_delay_alu instid0(VALU_DEP_1) | instskip(SKIP_3) | instid1(VALU_DEP_4)
	v_cndmask_b32_e32 v5, 0, v11, vcc_lo
	v_cmp_nlt_f32_e32 vcc_lo, 0x42b17218, v3
	v_mul_f32_e32 v11, 0x3fb8aa3b, v7
	v_mul_f32_e32 v3, 0x3fb8aa3b, v6
	v_cndmask_b32_e32 v2, 0x7f800000, v5, vcc_lo
	v_ldexp_f32 v5, v12, v9
	v_cmp_ngt_f32_e32 vcc_lo, 0xc2ce8ed0, v4
	v_fma_f32 v12, 0x3fb8aa3b, v7, -v11
	v_rndne_f32_e32 v9, v3
	v_rndne_f32_e32 v13, v11
	s_delay_alu instid0(VALU_DEP_3) | instskip(SKIP_1) | instid1(VALU_DEP_2)
	v_dual_cndmask_b32 v5, 0, v5 :: v_dual_fmac_f32 v12, 0x32a5705f, v7
	v_cmp_nlt_f32_e32 vcc_lo, 0x42b17218, v4
	v_dual_cndmask_b32 v4, 0x7f800000, v5 :: v_dual_add_f32 v1, v1, v2
	v_fma_f32 v2, 0x3fb8aa3b, v6, -v3
	v_mul_f32_e32 v5, 0x3fb8aa3b, v10
	v_cmp_ngt_f32_e32 vcc_lo, 0xc2ce8ed0, v6
	v_sub_f32_e32 v3, v3, v9
	s_delay_alu instid0(VALU_DEP_4) | instskip(NEXT) | instid1(VALU_DEP_4)
	v_dual_add_f32 v1, v1, v4 :: v_dual_fmac_f32 v2, 0x32a5705f, v6
	v_rndne_f32_e32 v4, v5
	v_cvt_i32_f32_e32 v9, v9
	s_delay_alu instid0(VALU_DEP_3) | instskip(SKIP_1) | instid1(VALU_DEP_4)
	v_add_f32_e32 v2, v3, v2
	v_fma_f32 v3, 0x3fb8aa3b, v10, -v5
	v_sub_f32_e32 v5, v5, v4
	v_cvt_i32_f32_e32 v4, v4
	s_delay_alu instid0(VALU_DEP_4) | instskip(NEXT) | instid1(VALU_DEP_3)
	v_exp_f32_e32 v2, v2
	v_fmac_f32_e32 v3, 0x32a5705f, v10
	s_delay_alu instid0(VALU_DEP_1)
	v_add_f32_e32 v3, v5, v3
	v_sub_f32_e32 v5, v11, v13
	v_fma_f32 v11, 0x3fb8aa3b, v8, -v14
	s_waitcnt_depctr 0xfff
	v_ldexp_f32 v2, v2, v9
	v_exp_f32_e32 v3, v3
	v_add_f32_e32 v5, v5, v12
	v_fmac_f32_e32 v11, 0x32a5705f, v8
	s_delay_alu instid0(VALU_DEP_3) | instskip(SKIP_1) | instid1(VALU_DEP_4)
	v_dual_sub_f32 v9, v14, v15 :: v_dual_cndmask_b32 v2, 0, v2
	v_cmp_nlt_f32_e32 vcc_lo, 0x42b17218, v6
	v_exp_f32_e32 v5, v5
	s_delay_alu instid0(VALU_DEP_2) | instskip(NEXT) | instid1(TRANS32_DEP_2)
	v_add_f32_e32 v9, v9, v11
	v_ldexp_f32 v3, v3, v4
	v_cndmask_b32_e32 v2, 0x7f800000, v2, vcc_lo
	v_cmp_ngt_f32_e32 vcc_lo, 0xc2ce8ed0, v10
	v_cvt_i32_f32_e32 v4, v13
	v_exp_f32_e32 v6, v9
	s_delay_alu instid0(VALU_DEP_3) | instskip(SKIP_4) | instid1(VALU_DEP_4)
	v_add_f32_e32 v1, v1, v2
	v_cndmask_b32_e32 v3, 0, v3, vcc_lo
	v_cmp_nlt_f32_e32 vcc_lo, 0x42b17218, v10
	v_ldexp_f32 v2, v5, v4
	v_cvt_i32_f32_e32 v4, v15
	v_cndmask_b32_e32 v3, 0x7f800000, v3, vcc_lo
	v_cmp_ngt_f32_e32 vcc_lo, 0xc2ce8ed0, v7
	s_delay_alu instid0(TRANS32_DEP_1) | instid1(VALU_DEP_3)
	v_ldexp_f32 v4, v6, v4
	s_delay_alu instid0(VALU_DEP_3) | instskip(SKIP_1) | instid1(VALU_DEP_2)
	v_dual_add_f32 v1, v1, v3 :: v_dual_cndmask_b32 v2, 0, v2
	v_cmp_nlt_f32_e32 vcc_lo, 0x42b17218, v7
	v_cndmask_b32_e32 v2, 0x7f800000, v2, vcc_lo
	v_cmp_ngt_f32_e32 vcc_lo, 0xc2ce8ed0, v8
	s_delay_alu instid0(VALU_DEP_2) | instskip(SKIP_2) | instid1(VALU_DEP_2)
	v_add_f32_e32 v1, v1, v2
	v_cndmask_b32_e32 v3, 0, v4, vcc_lo
	v_cmp_nlt_f32_e32 vcc_lo, 0x42b17218, v8
	v_cndmask_b32_e32 v2, 0x7f800000, v3, vcc_lo
	s_delay_alu instid0(VALU_DEP_1) | instskip(NEXT) | instid1(VALU_DEP_1)
	v_add_f32_e32 v1, v1, v2
	v_add_f32_e32 v2, v16, v1
	s_delay_alu instid0(VALU_DEP_1)
	v_cmp_neq_f32_e32 vcc_lo, 0, v2
	s_and_b32 exec_lo, exec_lo, vcc_lo
	s_cbranch_execz .LBB143_12
; %bb.9:
	s_and_not1_b32 vcc_lo, exec_lo, s15
	s_cbranch_vccnz .LBB143_12
; %bb.10:
	v_div_scale_f32 v1, null, v2, v2, 1.0
	v_div_scale_f32 v5, vcc_lo, 1.0, v2, 1.0
	s_delay_alu instid0(VALU_DEP_2) | instskip(SKIP_2) | instid1(VALU_DEP_1)
	v_rcp_f32_e32 v3, v1
	s_waitcnt_depctr 0xfff
	v_fma_f32 v4, -v1, v3, 1.0
	v_fmac_f32_e32 v3, v4, v3
	s_delay_alu instid0(VALU_DEP_1) | instskip(NEXT) | instid1(VALU_DEP_1)
	v_mul_f32_e32 v4, v5, v3
	v_fma_f32 v6, -v1, v4, v5
	s_delay_alu instid0(VALU_DEP_1) | instskip(NEXT) | instid1(VALU_DEP_1)
	v_fmac_f32_e32 v4, v6, v3
	v_fma_f32 v5, -v1, v4, v5
	v_ashrrev_i32_e32 v1, 31, v0
	s_delay_alu instid0(VALU_DEP_2) | instskip(NEXT) | instid1(VALU_DEP_2)
	v_div_fmas_f32 v3, v5, v3, v4
	v_lshlrev_b64 v[0:1], 2, v[0:1]
	s_delay_alu instid0(VALU_DEP_2) | instskip(NEXT) | instid1(VALU_DEP_2)
	v_div_fixup_f32 v2, v3, v2, 1.0
	v_add_co_u32 v0, vcc_lo, s16, v0
	s_delay_alu instid0(VALU_DEP_3)
	v_add_co_ci_u32_e32 v1, vcc_lo, s17, v1, vcc_lo
.LBB143_11:                             ; =>This Inner Loop Header: Depth=1
	global_load_b32 v3, v[0:1], off
	s_add_i32 s12, s12, -1
	s_delay_alu instid0(SALU_CYCLE_1)
	s_cmp_lg_u32 s12, 0
	s_waitcnt vmcnt(0)
	v_mul_f32_e32 v3, v2, v3
	global_store_b32 v[0:1], v3, off
	v_add_co_u32 v0, vcc_lo, v0, 4
	v_add_co_ci_u32_e32 v1, vcc_lo, 0, v1, vcc_lo
	s_cbranch_scc1 .LBB143_11
.LBB143_12:
	s_nop 0
	s_sendmsg sendmsg(MSG_DEALLOC_VGPRS)
	s_endpgm
	.section	.rodata,"a",@progbits
	.p2align	6, 0x0
	.amdhsa_kernel _ZN4vllm3moe17topkGatingSoftmaxIDF16_Li8ELi8ELi8ELi16ELb0ELi4ELNS0_23SharedExpertScoringFuncE1EEEvPKT_PKbPfiPiS9_iiiiii
		.amdhsa_group_segment_fixed_size 0
		.amdhsa_private_segment_fixed_size 0
		.amdhsa_kernarg_size 72
		.amdhsa_user_sgpr_count 15
		.amdhsa_user_sgpr_dispatch_ptr 0
		.amdhsa_user_sgpr_queue_ptr 0
		.amdhsa_user_sgpr_kernarg_segment_ptr 1
		.amdhsa_user_sgpr_dispatch_id 0
		.amdhsa_user_sgpr_private_segment_size 0
		.amdhsa_wavefront_size32 1
		.amdhsa_uses_dynamic_stack 0
		.amdhsa_enable_private_segment 0
		.amdhsa_system_sgpr_workgroup_id_x 1
		.amdhsa_system_sgpr_workgroup_id_y 0
		.amdhsa_system_sgpr_workgroup_id_z 0
		.amdhsa_system_sgpr_workgroup_info 0
		.amdhsa_system_vgpr_workitem_id 1
		.amdhsa_next_free_vgpr 38
		.amdhsa_next_free_sgpr 23
		.amdhsa_reserve_vcc 1
		.amdhsa_float_round_mode_32 0
		.amdhsa_float_round_mode_16_64 0
		.amdhsa_float_denorm_mode_32 3
		.amdhsa_float_denorm_mode_16_64 3
		.amdhsa_dx10_clamp 1
		.amdhsa_ieee_mode 1
		.amdhsa_fp16_overflow 0
		.amdhsa_workgroup_processor_mode 1
		.amdhsa_memory_ordered 1
		.amdhsa_forward_progress 0
		.amdhsa_shared_vgpr_count 0
		.amdhsa_exception_fp_ieee_invalid_op 0
		.amdhsa_exception_fp_denorm_src 0
		.amdhsa_exception_fp_ieee_div_zero 0
		.amdhsa_exception_fp_ieee_overflow 0
		.amdhsa_exception_fp_ieee_underflow 0
		.amdhsa_exception_fp_ieee_inexact 0
		.amdhsa_exception_int_div_zero 0
	.end_amdhsa_kernel
	.section	.text._ZN4vllm3moe17topkGatingSoftmaxIDF16_Li8ELi8ELi8ELi16ELb0ELi4ELNS0_23SharedExpertScoringFuncE1EEEvPKT_PKbPfiPiS9_iiiiii,"axG",@progbits,_ZN4vllm3moe17topkGatingSoftmaxIDF16_Li8ELi8ELi8ELi16ELb0ELi4ELNS0_23SharedExpertScoringFuncE1EEEvPKT_PKbPfiPiS9_iiiiii,comdat
.Lfunc_end143:
	.size	_ZN4vllm3moe17topkGatingSoftmaxIDF16_Li8ELi8ELi8ELi16ELb0ELi4ELNS0_23SharedExpertScoringFuncE1EEEvPKT_PKbPfiPiS9_iiiiii, .Lfunc_end143-_ZN4vllm3moe17topkGatingSoftmaxIDF16_Li8ELi8ELi8ELi16ELb0ELi4ELNS0_23SharedExpertScoringFuncE1EEEvPKT_PKbPfiPiS9_iiiiii
                                        ; -- End function
	.section	.AMDGPU.csdata,"",@progbits
; Kernel info:
; codeLenInByte = 3336
; NumSgprs: 25
; NumVgprs: 38
; ScratchSize: 0
; MemoryBound: 0
; FloatMode: 240
; IeeeMode: 1
; LDSByteSize: 0 bytes/workgroup (compile time only)
; SGPRBlocks: 3
; VGPRBlocks: 4
; NumSGPRsForWavesPerEU: 25
; NumVGPRsForWavesPerEU: 38
; Occupancy: 16
; WaveLimiterHint : 0
; COMPUTE_PGM_RSRC2:SCRATCH_EN: 0
; COMPUTE_PGM_RSRC2:USER_SGPR: 15
; COMPUTE_PGM_RSRC2:TRAP_HANDLER: 0
; COMPUTE_PGM_RSRC2:TGID_X_EN: 1
; COMPUTE_PGM_RSRC2:TGID_Y_EN: 0
; COMPUTE_PGM_RSRC2:TGID_Z_EN: 0
; COMPUTE_PGM_RSRC2:TIDIG_COMP_CNT: 1
	.section	.text._ZN4vllm3moe17topkGatingSoftmaxIDF16_Li8ELi8ELi8ELi16ELb1ELi8ELNS0_23SharedExpertScoringFuncE1EEEvPKT_PKbPfiPiS9_iiiiii,"axG",@progbits,_ZN4vllm3moe17topkGatingSoftmaxIDF16_Li8ELi8ELi8ELi16ELb1ELi8ELNS0_23SharedExpertScoringFuncE1EEEvPKT_PKbPfiPiS9_iiiiii,comdat
	.protected	_ZN4vllm3moe17topkGatingSoftmaxIDF16_Li8ELi8ELi8ELi16ELb1ELi8ELNS0_23SharedExpertScoringFuncE1EEEvPKT_PKbPfiPiS9_iiiiii ; -- Begin function _ZN4vllm3moe17topkGatingSoftmaxIDF16_Li8ELi8ELi8ELi16ELb1ELi8ELNS0_23SharedExpertScoringFuncE1EEEvPKT_PKbPfiPiS9_iiiiii
	.globl	_ZN4vllm3moe17topkGatingSoftmaxIDF16_Li8ELi8ELi8ELi16ELb1ELi8ELNS0_23SharedExpertScoringFuncE1EEEvPKT_PKbPfiPiS9_iiiiii
	.p2align	8
	.type	_ZN4vllm3moe17topkGatingSoftmaxIDF16_Li8ELi8ELi8ELi16ELb1ELi8ELNS0_23SharedExpertScoringFuncE1EEEvPKT_PKbPfiPiS9_iiiiii,@function
_ZN4vllm3moe17topkGatingSoftmaxIDF16_Li8ELi8ELi8ELi16ELb1ELi8ELNS0_23SharedExpertScoringFuncE1EEEvPKT_PKbPfiPiS9_iiiiii: ; @_ZN4vllm3moe17topkGatingSoftmaxIDF16_Li8ELi8ELi8ELi16ELb1ELi8ELNS0_23SharedExpertScoringFuncE1EEEvPKT_PKbPfiPiS9_iiiiii
; %bb.0:
	s_load_b32 s9, s[0:1], 0x18
	v_bfe_u32 v1, v0, 10, 10
	v_and_b32_e32 v8, 0x3ff, v0
	s_lshl_b32 s19, s15, 8
	s_mov_b32 s2, exec_lo
	s_delay_alu instid0(VALU_DEP_2) | instskip(NEXT) | instid1(VALU_DEP_1)
	v_lshlrev_b32_e32 v7, 5, v1
	v_add3_u32 v9, v7, v8, s19
	s_waitcnt lgkmcnt(0)
	s_delay_alu instid0(VALU_DEP_1)
	v_cmpx_gt_i32_e64 s9, v9
	s_cbranch_execz .LBB144_12
; %bb.1:
	s_clause 0x1
	s_load_b128 s[4:7], s[0:1], 0x0
	s_load_b64 s[10:11], s[0:1], 0x10
	s_waitcnt lgkmcnt(0)
	s_cmp_eq_u64 s[6:7], 0
	s_cbranch_scc1 .LBB144_3
; %bb.2:
	v_ashrrev_i32_e32 v1, 31, v9
	v_add_co_u32 v0, vcc_lo, s6, v9
	s_delay_alu instid0(VALU_DEP_2) | instskip(SKIP_3) | instid1(VALU_DEP_1)
	v_add_co_ci_u32_e32 v1, vcc_lo, s7, v1, vcc_lo
	global_load_u8 v0, v[0:1], off
	s_waitcnt vmcnt(0)
	v_and_b32_e32 v0, 1, v0
	v_cmp_eq_u32_e32 vcc_lo, 1, v0
	s_xor_b32 s2, vcc_lo, -1
	s_delay_alu instid0(SALU_CYCLE_1)
	s_or_not1_b32 s18, s2, exec_lo
	s_branch .LBB144_4
.LBB144_3:
	s_mov_b32 s18, -1
.LBB144_4:
	s_clause 0x1
	s_load_b64 s[16:17], s[0:1], 0x40
	s_load_b128 s[12:15], s[0:1], 0x30
	s_mov_b32 s3, 0x3fb8aa3b
	s_mov_b32 s2, 0x32a5705f
	s_waitcnt lgkmcnt(0)
	v_mul_lo_u32 v0, v9, s17
	v_mul_lo_u32 v4, v9, s15
	s_cmp_gt_i32 s12, 0
	s_delay_alu instid0(VALU_DEP_2) | instskip(NEXT) | instid1(VALU_DEP_1)
	v_ashrrev_i32_e32 v1, 31, v0
	v_lshlrev_b64 v[0:1], 1, v[0:1]
	s_delay_alu instid0(VALU_DEP_1) | instskip(NEXT) | instid1(VALU_DEP_2)
	v_add_co_u32 v0, vcc_lo, s4, v0
	v_add_co_ci_u32_e32 v1, vcc_lo, s5, v1, vcc_lo
	s_clause 0x1
	global_load_b128 v[10:13], v[0:1], off offset:16
	global_load_b128 v[0:3], v[0:1], off
	s_waitcnt vmcnt(1)
	v_cvt_f32_f16_e64 v17, -v10
	v_add_nc_u32_e32 v5, s12, v4
	v_lshrrev_b32_e32 v14, 16, v10
	v_lshrrev_b32_e32 v18, 16, v13
	v_cvt_f32_f16_e64 v19, -v11
	v_mul_f32_e32 v22, 0x3fb8aa3b, v17
	v_cvt_f32_f16_e64 v21, -v13
	v_lshrrev_b32_e32 v15, 16, v11
	v_cvt_f32_f16_e64 v20, -v12
	v_cvt_f32_f16_e64 v14, -v14
	v_mul_f32_e32 v23, 0x3fb8aa3b, v19
	v_mul_f32_e32 v25, 0x3fb8aa3b, v21
	v_cvt_f32_f16_e64 v18, -v18
	v_fma_mix_f32 v26, -v10, s3, -v22 op_sel_hi:[1,0,0]
	v_mul_f32_e32 v28, 0x3fb8aa3b, v14
	v_rndne_f32_e32 v27, v22
	v_lshrrev_b32_e32 v16, 16, v12
	v_cvt_f32_f16_e64 v15, -v15
	v_mul_f32_e32 v24, 0x3fb8aa3b, v20
	v_fma_mix_f32 v29, -v11, s3, -v23 op_sel_hi:[1,0,0]
	v_rndne_f32_e32 v30, v23
	v_rndne_f32_e32 v36, v25
	v_dual_mul_f32 v37, 0x3fb8aa3b, v18 :: v_dual_sub_f32 v22, v22, v27
	v_fma_mix_f32 v26, -v10, s2, v26 op_sel_hi:[1,0,0]
	v_cvt_f32_f16_e64 v16, -v16
	v_mul_f32_e32 v31, 0x3fb8aa3b, v15
	v_fma_mix_f32 v32, -v12, s3, -v24 op_sel_hi:[1,0,0]
	v_rndne_f32_e32 v33, v24
	v_fma_mix_f32 v35, -v13, s3, -v25 op_sel_hi:[1,0,0]
	v_mul_f32_e32 v34, 0x3fb8aa3b, v16
	v_rndne_f32_e32 v39, v28
	v_fma_mix_f32 v29, -v11, s2, v29 op_sel_hi:[1,0,0]
	v_dual_sub_f32 v23, v23, v30 :: v_dual_sub_f32 v24, v24, v33
	v_dual_sub_f32 v25, v25, v36 :: v_dual_add_f32 v22, v22, v26
	v_ashrrev_i32_e32 v6, 31, v5
	v_rndne_f32_e32 v41, v31
	v_fma_mix_f32 v32, -v12, s2, v32 op_sel_hi:[1,0,0]
	v_dual_sub_f32 v26, v28, v39 :: v_dual_add_f32 v23, v23, v29
	v_exp_f32_e32 v22, v22
	v_lshlrev_b64 v[5:6], 2, v[5:6]
	v_cvt_i32_f32_e32 v27, v27
	v_fma_mix_f32 v38, -v10, s3, -v28 op_sel:[1,0,0] op_sel_hi:[1,0,0]
	v_rndne_f32_e32 v43, v34
	v_fma_mix_f32 v35, -v13, s2, v35 op_sel_hi:[1,0,0]
	v_fma_mix_f32 v44, -v13, s3, -v37 op_sel:[1,0,0] op_sel_hi:[1,0,0]
	v_rndne_f32_e32 v45, v37
	v_dual_sub_f32 v29, v31, v41 :: v_dual_add_f32 v24, v24, v32
	v_exp_f32_e32 v23, v23
	v_add_co_u32 v5, vcc_lo, s10, v5
	v_add_co_ci_u32_e32 v6, vcc_lo, s11, v6, vcc_lo
	v_cvt_i32_f32_e32 v30, v30
	v_fma_mix_f32 v10, -v10, s2, v38 op_sel:[1,0,0] op_sel_hi:[1,0,0]
	v_sub_f32_e32 v32, v34, v43
	v_add_f32_e32 v25, v25, v35
	v_fma_mix_f32 v13, -v13, s2, v44 op_sel:[1,0,0] op_sel_hi:[1,0,0]
	s_delay_alu instid0(VALU_DEP_4)
	v_dual_sub_f32 v35, v37, v45 :: v_dual_add_f32 v10, v26, v10
	v_exp_f32_e32 v24, v24
	v_ldexp_f32 v22, v22, v27
	v_cmp_ngt_f32_e32 vcc_lo, 0xc2ce8ed0, v17
	v_cvt_i32_f32_e32 v33, v33
	v_exp_f32_e32 v25, v25
	v_add_f32_e32 v13, v35, v13
	v_ldexp_f32 v23, v23, v30
	v_cndmask_b32_e32 v22, 0, v22, vcc_lo
	v_cmp_ngt_f32_e32 vcc_lo, 0xc2ce8ed0, v19
	v_fma_mix_f32 v40, -v11, s3, -v31 op_sel:[1,0,0] op_sel_hi:[1,0,0]
	v_cvt_i32_f32_e32 v36, v36
	v_exp_f32_e32 v10, v10
	v_ldexp_f32 v24, v24, v33
	v_cndmask_b32_e32 v23, 0, v23, vcc_lo
	v_cmp_ngt_f32_e32 vcc_lo, 0xc2ce8ed0, v20
	v_fma_mix_f32 v42, -v12, s3, -v34 op_sel:[1,0,0] op_sel_hi:[1,0,0]
	v_cvt_i32_f32_e32 v28, v39
	v_fma_mix_f32 v11, -v11, s2, v40 op_sel:[1,0,0] op_sel_hi:[1,0,0]
	v_ldexp_f32 v25, v25, v36
	v_cndmask_b32_e32 v24, 0, v24, vcc_lo
	v_cmp_ngt_f32_e32 vcc_lo, 0xc2ce8ed0, v21
	v_fma_mix_f32 v12, -v12, s2, v42 op_sel:[1,0,0] op_sel_hi:[1,0,0]
	v_add_f32_e32 v11, v29, v11
	v_ldexp_f32 v10, v10, v28
	v_cvt_i32_f32_e32 v31, v41
	v_cndmask_b32_e32 v25, 0, v25, vcc_lo
	v_cmp_nlt_f32_e32 vcc_lo, 0x42b17218, v17
	v_add_f32_e32 v12, v32, v12
	v_exp_f32_e32 v11, v11
	v_cvt_i32_f32_e32 v34, v43
	v_exp_f32_e32 v13, v13
	v_cndmask_b32_e32 v17, 0x7f800000, v22, vcc_lo
	v_cmp_ngt_f32_e32 vcc_lo, 0xc2ce8ed0, v14
	v_exp_f32_e32 v12, v12
	v_cvt_i32_f32_e32 v26, v45
	v_cndmask_b32_e32 v10, 0, v10, vcc_lo
	v_cmp_nlt_f32_e32 vcc_lo, 0x42b17218, v19
	s_delay_alu instid0(TRANS32_DEP_3)
	v_ldexp_f32 v11, v11, v31
	s_delay_alu instid0(TRANS32_DEP_2) | instid1(VALU_DEP_4)
	v_ldexp_f32 v13, v13, v26
	v_cndmask_b32_e32 v19, 0x7f800000, v23, vcc_lo
	v_cmp_ngt_f32_e32 vcc_lo, 0xc2ce8ed0, v15
	s_delay_alu instid0(TRANS32_DEP_1)
	v_ldexp_f32 v12, v12, v34
	v_cndmask_b32_e32 v11, 0, v11, vcc_lo
	v_cmp_nlt_f32_e32 vcc_lo, 0x42b17218, v20
	v_cndmask_b32_e32 v20, 0x7f800000, v24, vcc_lo
	v_cmp_ngt_f32_e32 vcc_lo, 0xc2ce8ed0, v16
	v_cndmask_b32_e32 v12, 0, v12, vcc_lo
	v_cmp_nlt_f32_e32 vcc_lo, 0x42b17218, v21
	v_cndmask_b32_e32 v21, 0x7f800000, v25, vcc_lo
	v_cmp_ngt_f32_e32 vcc_lo, 0xc2ce8ed0, v18
	v_cndmask_b32_e32 v13, 0, v13, vcc_lo
	v_cmp_nlt_f32_e32 vcc_lo, 0x42b17218, v14
	v_dual_add_f32 v14, 1.0, v19 :: v_dual_add_f32 v17, 1.0, v17
	v_dual_add_f32 v19, 1.0, v20 :: v_dual_cndmask_b32 v10, 0x7f800000, v10
	v_cmp_nlt_f32_e32 vcc_lo, 0x42b17218, v15
	s_delay_alu instid0(VALU_DEP_3) | instskip(NEXT) | instid1(VALU_DEP_3)
	v_div_scale_f32 v15, null, v17, v17, 1.0
	v_div_scale_f32 v22, null, v19, v19, 1.0
	v_cndmask_b32_e32 v11, 0x7f800000, v11, vcc_lo
	v_cmp_nlt_f32_e32 vcc_lo, 0x42b17218, v16
	v_add_f32_e32 v10, 1.0, v10
	s_delay_alu instid0(VALU_DEP_4)
	v_rcp_f32_e32 v32, v22
	v_add_f32_e32 v20, 1.0, v21
	v_div_scale_f32 v21, s2, 1.0, v14, 1.0
	v_cndmask_b32_e32 v12, 0x7f800000, v12, vcc_lo
	v_cmp_nlt_f32_e32 vcc_lo, 0x42b17218, v18
	v_div_scale_f32 v18, null, v14, v14, 1.0
	v_div_scale_f32 v27, null, v10, v10, 1.0
	s_delay_alu instid0(VALU_DEP_4) | instskip(SKIP_1) | instid1(TRANS32_DEP_1)
	v_add_f32_e32 v24, 1.0, v12
	v_div_scale_f32 v12, null, v20, v20, 1.0
	v_fma_f32 v44, -v22, v32, 1.0
	v_cndmask_b32_e32 v13, 0x7f800000, v13, vcc_lo
	s_delay_alu instid0(VALU_DEP_4) | instskip(NEXT) | instid1(VALU_DEP_4)
	v_div_scale_f32 v33, null, v24, v24, 1.0
	v_rcp_f32_e32 v35, v12
	s_delay_alu instid0(VALU_DEP_3) | instskip(NEXT) | instid1(VALU_DEP_3)
	v_fmac_f32_e32 v32, v44, v32
	v_add_f32_e32 v26, 1.0, v13
	v_rcp_f32_e32 v13, v15
	v_rcp_f32_e32 v40, v33
	v_add_f32_e32 v11, 1.0, v11
	v_rcp_f32_e32 v29, v18
	v_div_scale_f32 v36, null, v26, v26, 1.0
	v_rcp_f32_e32 v37, v27
	s_delay_alu instid0(VALU_DEP_2) | instskip(SKIP_2) | instid1(TRANS32_DEP_3)
	v_div_scale_f32 v30, null, v11, v11, 1.0
	v_fma_f32 v45, -v12, v35, 1.0
	v_fma_f32 v41, -v15, v13, 1.0
	;; [unrolled: 1-line block ×3, first 2 shown]
	s_delay_alu instid0(VALU_DEP_4)
	v_rcp_f32_e32 v39, v30
	v_div_scale_f32 v16, vcc_lo, 1.0, v17, 1.0
	v_div_scale_f32 v25, s4, 1.0, v20, 1.0
	v_rcp_f32_e32 v42, v36
	v_fma_f32 v43, -v18, v29, 1.0
	v_dual_fmac_f32 v13, v41, v13 :: v_dual_fmac_f32 v40, v44, v40
	v_fmac_f32_e32 v35, v45, v35
	v_fma_f32 v41, -v27, v37, 1.0
	v_div_scale_f32 v28, s5, 1.0, v10, 1.0
	s_delay_alu instid0(VALU_DEP_4) | instskip(NEXT) | instid1(VALU_DEP_4)
	v_mul_f32_e32 v46, v16, v13
	v_dual_fmac_f32 v29, v43, v29 :: v_dual_mul_f32 v44, v25, v35
	v_fma_f32 v43, -v30, v39, 1.0
	s_delay_alu instid0(TRANS32_DEP_1) | instskip(SKIP_1) | instid1(VALU_DEP_4)
	v_fma_f32 v45, -v36, v42, 1.0
	v_div_scale_f32 v23, s3, 1.0, v19, 1.0
	v_fma_f32 v52, -v12, v44, v25
	v_fmac_f32_e32 v37, v41, v37
	v_div_scale_f32 v31, s6, 1.0, v11, 1.0
	s_delay_alu instid0(VALU_DEP_3) | instskip(SKIP_4) | instid1(VALU_DEP_3)
	v_dual_mul_f32 v41, v21, v29 :: v_dual_fmac_f32 v44, v52, v35
	v_dual_fmac_f32 v39, v43, v39 :: v_dual_fmac_f32 v42, v45, v42
	v_fma_f32 v45, -v15, v46, v16
	v_mul_f32_e32 v47, v28, v37
	v_div_scale_f32 v34, s7, 1.0, v24, 1.0
	v_dual_mul_f32 v43, v23, v32 :: v_dual_fmac_f32 v46, v45, v13
	v_fma_f32 v48, -v18, v41, v21
	v_mul_f32_e32 v49, v31, v39
	v_fma_f32 v45, -v27, v47, v28
	v_div_scale_f32 v38, s8, 1.0, v26, 1.0
	v_fma_f32 v50, -v22, v43, v23
	v_mul_f32_e32 v51, v34, v40
	v_fmac_f32_e32 v41, v48, v29
	v_fma_f32 v48, -v30, v49, v31
	v_fma_f32 v15, -v15, v46, v16
	v_fmac_f32_e32 v47, v45, v37
	v_mul_f32_e32 v53, v38, v42
	v_fmac_f32_e32 v43, v50, v32
	v_fma_f32 v50, -v33, v51, v34
	v_fmac_f32_e32 v49, v48, v39
	v_fma_f32 v16, -v18, v41, v21
	v_fma_f32 v21, -v12, v44, v25
	v_div_fmas_f32 v12, v15, v13, v46
	v_fma_f32 v13, -v27, v47, v28
	v_fma_f32 v52, -v36, v53, v38
	v_fmac_f32_e32 v51, v50, v40
	s_mov_b32 vcc_lo, s5
	v_fma_f32 v15, -v30, v49, v31
	v_div_fmas_f32 v13, v13, v37, v47
	s_mov_b32 vcc_lo, s2
	v_fma_f32 v18, -v22, v43, v23
	v_fmac_f32_e32 v53, v52, v42
	v_div_fmas_f32 v16, v16, v29, v41
	s_mov_b32 vcc_lo, s6
	v_fma_f32 v22, -v33, v51, v34
	v_div_fmas_f32 v15, v15, v39, v49
	s_mov_b32 vcc_lo, s3
	v_div_fixup_f32 v13, v13, v10, 1.0
	v_div_fmas_f32 v10, v18, v32, v43
	s_mov_b32 vcc_lo, s7
	v_fma_f32 v23, -v36, v53, v38
	v_div_fixup_f32 v12, v12, v17, 1.0
	v_div_fmas_f32 v17, v22, v40, v51
	s_mov_b32 vcc_lo, s4
	v_div_fixup_f32 v14, v16, v14, 1.0
	v_div_fmas_f32 v18, v21, v35, v44
	s_mov_b32 vcc_lo, s8
	v_div_fixup_f32 v15, v15, v11, 1.0
	v_div_fmas_f32 v21, v23, v42, v53
	v_mov_b32_e32 v11, 0
	v_div_fixup_f32 v16, v10, v19, 1.0
	v_div_fixup_f32 v17, v17, v24, 1.0
	;; [unrolled: 1-line block ×4, first 2 shown]
	s_cselect_b32 s2, -1, 0
	s_cmp_lt_i32 s12, 1
	s_clause 0x1
	global_store_b128 v[5:6], v[12:15], off
	global_store_b128 v[5:6], v[16:19], off offset:16
	s_cbranch_scc1 .LBB144_8
; %bb.5:
	s_waitcnt vmcnt(0)
	v_lshrrev_b32_e32 v5, 16, v0
	v_cvt_f32_f16_e32 v14, v2
	v_lshrrev_b32_e32 v2, 16, v2
	v_cvt_f32_f16_e32 v18, v0
	v_cvt_f32_f16_e32 v16, v1
	;; [unrolled: 1-line block ×3, first 2 shown]
	v_cmp_lt_f16_e32 vcc_lo, v0, v5
	v_cvt_f32_f16_e32 v13, v2
	v_lshrrev_b32_e32 v2, 16, v3
	v_lshrrev_b32_e32 v1, 16, v1
	v_cvt_f32_f16_e32 v12, v3
	v_cndmask_b32_e64 v0, 0, 1, vcc_lo
	s_load_b128 s[4:7], s[0:1], 0x20
	v_cvt_f32_f16_e32 v20, v2
	v_cndmask_b32_e32 v5, v18, v17, vcc_lo
	v_cvt_f32_f16_e32 v15, v1
	v_mul_lo_u32 v2, v9, s12
	s_delay_alu instid0(VALU_DEP_3) | instskip(SKIP_3) | instid1(VALU_DEP_3)
	v_cmp_lt_f32_e32 vcc_lo, v5, v16
	v_cndmask_b32_e32 v1, v5, v16, vcc_lo
	v_cndmask_b32_e64 v0, v0, 2, vcc_lo
	v_ashrrev_i32_e32 v5, 31, v4
	v_cmp_lt_f32_e32 vcc_lo, v1, v15
	s_delay_alu instid0(VALU_DEP_2) | instskip(SKIP_2) | instid1(VALU_DEP_2)
	v_lshlrev_b64 v[5:6], 2, v[4:5]
	v_cndmask_b32_e32 v1, v1, v15, vcc_lo
	v_cndmask_b32_e64 v0, v0, 3, vcc_lo
	v_cmp_lt_f32_e32 vcc_lo, v1, v14
	v_cndmask_b32_e32 v1, v1, v14, vcc_lo
	s_delay_alu instid0(VALU_DEP_3) | instskip(NEXT) | instid1(VALU_DEP_2)
	v_cndmask_b32_e64 v0, v0, 4, vcc_lo
	v_cmp_lt_f32_e32 vcc_lo, v1, v13
	v_cndmask_b32_e32 v1, v1, v13, vcc_lo
	s_delay_alu instid0(VALU_DEP_3) | instskip(NEXT) | instid1(VALU_DEP_2)
	;; [unrolled: 4-line block ×3, first 2 shown]
	v_cndmask_b32_e64 v0, v0, 6, vcc_lo
	v_cmp_lt_f32_e32 vcc_lo, v1, v20
	v_cndmask_b32_e32 v10, v1, v20, vcc_lo
	s_delay_alu instid0(VALU_DEP_3) | instskip(SKIP_2) | instid1(VALU_DEP_4)
	v_cndmask_b32_e64 v19, v0, 7, vcc_lo
	v_add_co_u32 v5, vcc_lo, s10, v5
	v_add_co_ci_u32_e32 v6, vcc_lo, s11, v6, vcc_lo
	v_sub_f32_e32 v11, v10, v10
	s_delay_alu instid0(VALU_DEP_4) | instskip(SKIP_2) | instid1(VALU_DEP_4)
	v_cmp_le_i32_e32 vcc_lo, s13, v19
	v_cmp_gt_i32_e64 s0, s14, v19
	v_subrev_nc_u32_e32 v23, s13, v19
	v_mul_f32_e32 v0, 0x3fb8aa3b, v11
	s_delay_alu instid0(VALU_DEP_3) | instskip(SKIP_1) | instid1(VALU_DEP_2)
	s_and_b32 s0, vcc_lo, s0
	v_cmp_ngt_f32_e32 vcc_lo, 0xc2ce8ed0, v11
	v_fma_f32 v1, 0x3fb8aa3b, v11, -v0
	v_rndne_f32_e32 v21, v0
	s_delay_alu instid0(VALU_DEP_2) | instskip(NEXT) | instid1(VALU_DEP_2)
	v_fmac_f32_e32 v1, 0x32a5705f, v11
	v_sub_f32_e32 v3, v0, v21
	v_mul_lo_u32 v0, v9, s16
	v_cvt_i32_f32_e32 v21, v21
	s_delay_alu instid0(VALU_DEP_3) | instskip(NEXT) | instid1(VALU_DEP_3)
	v_add_f32_e32 v3, v3, v1
	v_ashrrev_i32_e32 v1, 31, v0
	s_delay_alu instid0(VALU_DEP_2) | instskip(SKIP_1) | instid1(VALU_DEP_2)
	v_exp_f32_e32 v22, v3
	v_ashrrev_i32_e32 v3, 31, v2
	v_lshlrev_b64 v[0:1], 2, v[0:1]
	s_delay_alu instid0(VALU_DEP_2) | instskip(SKIP_2) | instid1(VALU_DEP_1)
	v_lshlrev_b64 v[2:3], 2, v[2:3]
	s_waitcnt_depctr 0xfff
	v_ldexp_f32 v21, v22, v21
	v_cndmask_b32_e32 v24, 0, v21, vcc_lo
	s_waitcnt lgkmcnt(0)
	v_add_co_u32 v21, vcc_lo, s4, v0
	v_add_co_ci_u32_e32 v22, vcc_lo, s5, v1, vcc_lo
	s_and_b32 vcc_lo, s18, s0
	s_cmp_eq_u32 s12, 1
	v_cndmask_b32_e32 v25, 8, v23, vcc_lo
	v_cmp_nlt_f32_e32 vcc_lo, 0x42b17218, v11
	v_cndmask_b32_e32 v11, 0x7f800000, v24, vcc_lo
	v_add_co_u32 v23, vcc_lo, s6, v2
	v_add_co_ci_u32_e32 v24, vcc_lo, s7, v3, vcc_lo
	global_store_b32 v[21:22], v25, off
	global_store_b32 v[5:6], v11, off
	;; [unrolled: 1-line block ×3, first 2 shown]
	s_cbranch_scc1 .LBB144_8
; %bb.6:
	v_cmp_ne_u32_e32 vcc_lo, 7, v19
	s_add_i32 s19, s19, s9
	s_add_i32 s3, s12, -1
	v_add3_u32 v7, s19, v8, v7
	v_cndmask_b32_e32 v9, 0xff800000, v20, vcc_lo
	v_cmp_ne_u32_e32 vcc_lo, 6, v19
	v_cndmask_b32_e32 v12, 0xff800000, v12, vcc_lo
	v_cmp_ne_u32_e32 vcc_lo, 5, v19
	;; [unrolled: 2-line block ×7, first 2 shown]
	v_cndmask_b32_e32 v18, 0xff800000, v18, vcc_lo
	v_add_co_u32 v2, vcc_lo, v2, s6
	v_add_co_ci_u32_e32 v3, vcc_lo, s7, v3, vcc_lo
	v_add_co_u32 v19, vcc_lo, v0, s4
	v_add_co_ci_u32_e32 v20, vcc_lo, s5, v1, vcc_lo
	s_delay_alu instid0(VALU_DEP_4) | instskip(NEXT) | instid1(VALU_DEP_4)
	v_add_co_u32 v0, vcc_lo, v2, 4
	v_add_co_ci_u32_e32 v1, vcc_lo, 0, v3, vcc_lo
	s_delay_alu instid0(VALU_DEP_4) | instskip(NEXT) | instid1(VALU_DEP_4)
	v_add_co_u32 v2, vcc_lo, v19, 4
	v_add_co_ci_u32_e32 v3, vcc_lo, 0, v20, vcc_lo
	v_add_co_u32 v5, vcc_lo, v5, 4
	v_add_co_ci_u32_e32 v6, vcc_lo, 0, v6, vcc_lo
.LBB144_7:                              ; =>This Inner Loop Header: Depth=1
	v_cmp_gt_f32_e32 vcc_lo, v17, v18
	s_add_i32 s3, s3, -1
	v_cndmask_b32_e32 v8, v18, v17, vcc_lo
	v_cndmask_b32_e64 v19, 0, 1, vcc_lo
	s_delay_alu instid0(VALU_DEP_2) | instskip(SKIP_1) | instid1(VALU_DEP_3)
	v_cmp_gt_f32_e32 vcc_lo, v16, v8
	v_cndmask_b32_e32 v8, v8, v16, vcc_lo
	v_cndmask_b32_e64 v19, v19, 2, vcc_lo
	s_delay_alu instid0(VALU_DEP_2) | instskip(SKIP_1) | instid1(VALU_DEP_3)
	v_cmp_gt_f32_e32 vcc_lo, v15, v8
	;; [unrolled: 4-line block ×5, first 2 shown]
	v_cndmask_b32_e32 v8, v8, v12, vcc_lo
	v_cndmask_b32_e64 v19, v19, 6, vcc_lo
	s_delay_alu instid0(VALU_DEP_2) | instskip(NEXT) | instid1(VALU_DEP_2)
	v_cmp_gt_f32_e32 vcc_lo, v9, v8
	v_cndmask_b32_e64 v19, v19, 7, vcc_lo
	v_cndmask_b32_e32 v8, v8, v9, vcc_lo
	s_delay_alu instid0(VALU_DEP_2) | instskip(NEXT) | instid1(VALU_DEP_2)
	v_cmp_ne_u32_e64 s1, 7, v19
	v_sub_f32_e32 v8, v8, v10
	v_cmp_le_i32_e32 vcc_lo, s13, v19
	v_cmp_gt_i32_e64 s0, s14, v19
	v_subrev_nc_u32_e32 v21, s13, v19
	v_cndmask_b32_e64 v9, 0xff800000, v9, s1
	v_cmp_ne_u32_e64 s1, 6, v19
	v_mul_f32_e32 v20, 0x3fb8aa3b, v8
	s_and_b32 s0, vcc_lo, s0
	s_delay_alu instid0(SALU_CYCLE_1) | instskip(NEXT) | instid1(VALU_DEP_2)
	s_and_b32 vcc_lo, s18, s0
	v_cndmask_b32_e64 v12, 0xff800000, v12, s1
	v_cmp_ne_u32_e64 s1, 5, v19
	v_rndne_f32_e32 v22, v20
	v_cndmask_b32_e32 v21, 8, v21, vcc_lo
	global_store_b32 v[2:3], v21, off
	global_store_b32 v[0:1], v7, off
	v_cndmask_b32_e64 v13, 0xff800000, v13, s1
	v_cmp_ne_u32_e64 s1, 4, v19
	v_add_co_u32 v0, vcc_lo, v0, 4
	v_add_co_ci_u32_e32 v1, vcc_lo, 0, v1, vcc_lo
	s_delay_alu instid0(VALU_DEP_3) | instskip(SKIP_3) | instid1(VALU_DEP_3)
	v_cndmask_b32_e64 v14, 0xff800000, v14, s1
	v_cmp_ne_u32_e64 s1, 3, v19
	v_add_co_u32 v2, vcc_lo, v2, 4
	v_add_co_ci_u32_e32 v3, vcc_lo, 0, v3, vcc_lo
	v_cndmask_b32_e64 v15, 0xff800000, v15, s1
	v_cmp_ne_u32_e64 s1, 2, v19
	v_cmp_ngt_f32_e32 vcc_lo, 0xc2ce8ed0, v8
	v_add_nc_u32_e32 v7, s9, v7
	s_cmp_eq_u32 s3, 0
	s_delay_alu instid0(VALU_DEP_3) | instskip(SKIP_1) | instid1(VALU_DEP_1)
	v_cndmask_b32_e64 v16, 0xff800000, v16, s1
	v_cmp_ne_u32_e64 s1, 1, v19
	v_cndmask_b32_e64 v17, 0xff800000, v17, s1
	v_cmp_ne_u32_e64 s1, 0, v19
	v_fma_f32 v19, 0x3fb8aa3b, v8, -v20
	v_sub_f32_e32 v20, v20, v22
	v_cvt_i32_f32_e32 v22, v22
	s_delay_alu instid0(VALU_DEP_4) | instskip(NEXT) | instid1(VALU_DEP_4)
	v_cndmask_b32_e64 v18, 0xff800000, v18, s1
	v_fmac_f32_e32 v19, 0x32a5705f, v8
	s_delay_alu instid0(VALU_DEP_1) | instskip(NEXT) | instid1(VALU_DEP_1)
	v_add_f32_e32 v19, v20, v19
	v_exp_f32_e32 v19, v19
	s_waitcnt_depctr 0xfff
	v_ldexp_f32 v19, v19, v22
	s_delay_alu instid0(VALU_DEP_1) | instskip(SKIP_1) | instid1(VALU_DEP_2)
	v_cndmask_b32_e32 v19, 0, v19, vcc_lo
	v_cmp_nlt_f32_e32 vcc_lo, 0x42b17218, v8
	v_cndmask_b32_e32 v8, 0x7f800000, v19, vcc_lo
	global_store_b32 v[5:6], v8, off
	v_add_co_u32 v5, vcc_lo, v5, 4
	v_add_f32_e32 v11, v11, v8
	v_add_co_ci_u32_e32 v6, vcc_lo, 0, v6, vcc_lo
	s_cbranch_scc0 .LBB144_7
.LBB144_8:
	s_delay_alu instid0(VALU_DEP_2)
	v_cmp_neq_f32_e32 vcc_lo, 0, v11
	s_and_b32 exec_lo, exec_lo, vcc_lo
	s_cbranch_execz .LBB144_12
; %bb.9:
	s_and_not1_b32 vcc_lo, exec_lo, s2
	s_cbranch_vccnz .LBB144_12
; %bb.10:
	s_waitcnt vmcnt(0)
	v_div_scale_f32 v0, null, v11, v11, 1.0
	v_div_scale_f32 v3, vcc_lo, 1.0, v11, 1.0
	s_delay_alu instid0(VALU_DEP_2) | instskip(SKIP_2) | instid1(VALU_DEP_1)
	v_rcp_f32_e32 v1, v0
	s_waitcnt_depctr 0xfff
	v_fma_f32 v2, -v0, v1, 1.0
	v_fmac_f32_e32 v1, v2, v1
	s_delay_alu instid0(VALU_DEP_1) | instskip(NEXT) | instid1(VALU_DEP_1)
	v_mul_f32_e32 v2, v3, v1
	v_fma_f32 v5, -v0, v2, v3
	s_delay_alu instid0(VALU_DEP_1) | instskip(SKIP_1) | instid1(VALU_DEP_2)
	v_fmac_f32_e32 v2, v5, v1
	v_ashrrev_i32_e32 v5, 31, v4
	v_fma_f32 v0, -v0, v2, v3
	s_delay_alu instid0(VALU_DEP_1) | instskip(NEXT) | instid1(VALU_DEP_3)
	v_div_fmas_f32 v2, v0, v1, v2
	v_lshlrev_b64 v[0:1], 2, v[4:5]
	s_delay_alu instid0(VALU_DEP_2) | instskip(NEXT) | instid1(VALU_DEP_2)
	v_div_fixup_f32 v2, v2, v11, 1.0
	v_add_co_u32 v0, vcc_lo, s10, v0
	s_delay_alu instid0(VALU_DEP_3)
	v_add_co_ci_u32_e32 v1, vcc_lo, s11, v1, vcc_lo
.LBB144_11:                             ; =>This Inner Loop Header: Depth=1
	global_load_b32 v3, v[0:1], off
	s_add_i32 s12, s12, -1
	s_delay_alu instid0(SALU_CYCLE_1)
	s_cmp_lg_u32 s12, 0
	s_waitcnt vmcnt(0)
	v_mul_f32_e32 v3, v2, v3
	global_store_b32 v[0:1], v3, off
	v_add_co_u32 v0, vcc_lo, v0, 4
	v_add_co_ci_u32_e32 v1, vcc_lo, 0, v1, vcc_lo
	s_cbranch_scc1 .LBB144_11
.LBB144_12:
	s_nop 0
	s_sendmsg sendmsg(MSG_DEALLOC_VGPRS)
	s_endpgm
	.section	.rodata,"a",@progbits
	.p2align	6, 0x0
	.amdhsa_kernel _ZN4vllm3moe17topkGatingSoftmaxIDF16_Li8ELi8ELi8ELi16ELb1ELi8ELNS0_23SharedExpertScoringFuncE1EEEvPKT_PKbPfiPiS9_iiiiii
		.amdhsa_group_segment_fixed_size 0
		.amdhsa_private_segment_fixed_size 0
		.amdhsa_kernarg_size 72
		.amdhsa_user_sgpr_count 15
		.amdhsa_user_sgpr_dispatch_ptr 0
		.amdhsa_user_sgpr_queue_ptr 0
		.amdhsa_user_sgpr_kernarg_segment_ptr 1
		.amdhsa_user_sgpr_dispatch_id 0
		.amdhsa_user_sgpr_private_segment_size 0
		.amdhsa_wavefront_size32 1
		.amdhsa_uses_dynamic_stack 0
		.amdhsa_enable_private_segment 0
		.amdhsa_system_sgpr_workgroup_id_x 1
		.amdhsa_system_sgpr_workgroup_id_y 0
		.amdhsa_system_sgpr_workgroup_id_z 0
		.amdhsa_system_sgpr_workgroup_info 0
		.amdhsa_system_vgpr_workitem_id 1
		.amdhsa_next_free_vgpr 54
		.amdhsa_next_free_sgpr 20
		.amdhsa_reserve_vcc 1
		.amdhsa_float_round_mode_32 0
		.amdhsa_float_round_mode_16_64 0
		.amdhsa_float_denorm_mode_32 3
		.amdhsa_float_denorm_mode_16_64 3
		.amdhsa_dx10_clamp 1
		.amdhsa_ieee_mode 1
		.amdhsa_fp16_overflow 0
		.amdhsa_workgroup_processor_mode 1
		.amdhsa_memory_ordered 1
		.amdhsa_forward_progress 0
		.amdhsa_shared_vgpr_count 0
		.amdhsa_exception_fp_ieee_invalid_op 0
		.amdhsa_exception_fp_denorm_src 0
		.amdhsa_exception_fp_ieee_div_zero 0
		.amdhsa_exception_fp_ieee_overflow 0
		.amdhsa_exception_fp_ieee_underflow 0
		.amdhsa_exception_fp_ieee_inexact 0
		.amdhsa_exception_int_div_zero 0
	.end_amdhsa_kernel
	.section	.text._ZN4vllm3moe17topkGatingSoftmaxIDF16_Li8ELi8ELi8ELi16ELb1ELi8ELNS0_23SharedExpertScoringFuncE1EEEvPKT_PKbPfiPiS9_iiiiii,"axG",@progbits,_ZN4vllm3moe17topkGatingSoftmaxIDF16_Li8ELi8ELi8ELi16ELb1ELi8ELNS0_23SharedExpertScoringFuncE1EEEvPKT_PKbPfiPiS9_iiiiii,comdat
.Lfunc_end144:
	.size	_ZN4vllm3moe17topkGatingSoftmaxIDF16_Li8ELi8ELi8ELi16ELb1ELi8ELNS0_23SharedExpertScoringFuncE1EEEvPKT_PKbPfiPiS9_iiiiii, .Lfunc_end144-_ZN4vllm3moe17topkGatingSoftmaxIDF16_Li8ELi8ELi8ELi16ELb1ELi8ELNS0_23SharedExpertScoringFuncE1EEEvPKT_PKbPfiPiS9_iiiiii
                                        ; -- End function
	.section	.AMDGPU.csdata,"",@progbits
; Kernel info:
; codeLenInByte = 3136
; NumSgprs: 22
; NumVgprs: 54
; ScratchSize: 0
; MemoryBound: 0
; FloatMode: 240
; IeeeMode: 1
; LDSByteSize: 0 bytes/workgroup (compile time only)
; SGPRBlocks: 2
; VGPRBlocks: 6
; NumSGPRsForWavesPerEU: 22
; NumVGPRsForWavesPerEU: 54
; Occupancy: 16
; WaveLimiterHint : 0
; COMPUTE_PGM_RSRC2:SCRATCH_EN: 0
; COMPUTE_PGM_RSRC2:USER_SGPR: 15
; COMPUTE_PGM_RSRC2:TRAP_HANDLER: 0
; COMPUTE_PGM_RSRC2:TGID_X_EN: 1
; COMPUTE_PGM_RSRC2:TGID_Y_EN: 0
; COMPUTE_PGM_RSRC2:TGID_Z_EN: 0
; COMPUTE_PGM_RSRC2:TIDIG_COMP_CNT: 1
	.section	.text._ZN4vllm3moe17topkGatingSoftmaxIDF16_Li8ELi8ELi8ELi16ELb0ELi8ELNS0_23SharedExpertScoringFuncE1EEEvPKT_PKbPfiPiS9_iiiiii,"axG",@progbits,_ZN4vllm3moe17topkGatingSoftmaxIDF16_Li8ELi8ELi8ELi16ELb0ELi8ELNS0_23SharedExpertScoringFuncE1EEEvPKT_PKbPfiPiS9_iiiiii,comdat
	.protected	_ZN4vllm3moe17topkGatingSoftmaxIDF16_Li8ELi8ELi8ELi16ELb0ELi8ELNS0_23SharedExpertScoringFuncE1EEEvPKT_PKbPfiPiS9_iiiiii ; -- Begin function _ZN4vllm3moe17topkGatingSoftmaxIDF16_Li8ELi8ELi8ELi16ELb0ELi8ELNS0_23SharedExpertScoringFuncE1EEEvPKT_PKbPfiPiS9_iiiiii
	.globl	_ZN4vllm3moe17topkGatingSoftmaxIDF16_Li8ELi8ELi8ELi16ELb0ELi8ELNS0_23SharedExpertScoringFuncE1EEEvPKT_PKbPfiPiS9_iiiiii
	.p2align	8
	.type	_ZN4vllm3moe17topkGatingSoftmaxIDF16_Li8ELi8ELi8ELi16ELb0ELi8ELNS0_23SharedExpertScoringFuncE1EEEvPKT_PKbPfiPiS9_iiiiii,@function
_ZN4vllm3moe17topkGatingSoftmaxIDF16_Li8ELi8ELi8ELi16ELb0ELi8ELNS0_23SharedExpertScoringFuncE1EEEvPKT_PKbPfiPiS9_iiiiii: ; @_ZN4vllm3moe17topkGatingSoftmaxIDF16_Li8ELi8ELi8ELi16ELb0ELi8ELNS0_23SharedExpertScoringFuncE1EEEvPKT_PKbPfiPiS9_iiiiii
; %bb.0:
	s_load_b32 s24, s[0:1], 0x18
	v_bfe_u32 v1, v0, 10, 10
	v_and_b32_e32 v15, 0x3ff, v0
	s_lshl_b32 s26, s15, 8
	s_mov_b32 s2, exec_lo
	s_delay_alu instid0(VALU_DEP_2) | instskip(NEXT) | instid1(VALU_DEP_1)
	v_lshlrev_b32_e32 v14, 5, v1
	v_add3_u32 v18, v14, v15, s26
	s_waitcnt lgkmcnt(0)
	s_delay_alu instid0(VALU_DEP_1)
	v_cmpx_gt_i32_e64 s24, v18
	s_cbranch_execz .LBB145_12
; %bb.1:
	s_clause 0x1
	s_load_b128 s[4:7], s[0:1], 0x0
	s_load_b64 s[20:21], s[0:1], 0x10
	s_waitcnt lgkmcnt(0)
	s_cmp_eq_u64 s[6:7], 0
	s_cbranch_scc1 .LBB145_3
; %bb.2:
	v_ashrrev_i32_e32 v1, 31, v18
	v_add_co_u32 v0, vcc_lo, s6, v18
	s_delay_alu instid0(VALU_DEP_2) | instskip(SKIP_3) | instid1(VALU_DEP_1)
	v_add_co_ci_u32_e32 v1, vcc_lo, s7, v1, vcc_lo
	global_load_u8 v0, v[0:1], off
	s_waitcnt vmcnt(0)
	v_and_b32_e32 v0, 1, v0
	v_cmp_eq_u32_e32 vcc_lo, 1, v0
	s_xor_b32 s2, vcc_lo, -1
	s_delay_alu instid0(SALU_CYCLE_1)
	s_or_not1_b32 s25, s2, exec_lo
	s_branch .LBB145_4
.LBB145_3:
	s_mov_b32 s25, -1
.LBB145_4:
	s_clause 0x1
	s_load_b64 s[22:23], s[0:1], 0x40
	s_load_b128 s[16:19], s[0:1], 0x30
	s_mov_b32 s3, 0x3fb8aa3b
	s_waitcnt lgkmcnt(0)
	v_mul_lo_u32 v0, v18, s23
	s_cmp_gt_i32 s16, 0
	s_delay_alu instid0(VALU_DEP_1) | instskip(NEXT) | instid1(VALU_DEP_1)
	v_ashrrev_i32_e32 v1, 31, v0
	v_lshlrev_b64 v[0:1], 1, v[0:1]
	s_delay_alu instid0(VALU_DEP_1) | instskip(NEXT) | instid1(VALU_DEP_2)
	v_add_co_u32 v5, vcc_lo, s4, v0
	v_add_co_ci_u32_e32 v6, vcc_lo, s5, v1, vcc_lo
	v_mul_lo_u32 v0, v18, s19
	s_mov_b32 s4, 0x32a5705f
	s_clause 0x1
	global_load_b128 v[1:4], v[5:6], off
	global_load_b128 v[19:22], v[5:6], off offset:16
	s_waitcnt vmcnt(1)
	v_lshrrev_b32_e32 v17, 16, v1
	v_cvt_f32_f16_e32 v9, v2
	v_lshrrev_b32_e32 v2, 16, v2
	v_cvt_f32_f16_e32 v8, v3
	;; [unrolled: 2-line block ×3, first 2 shown]
	v_lshrrev_b32_e32 v4, 16, v4
	s_waitcnt vmcnt(0)
	v_lshrrev_b32_e32 v23, 16, v19
	v_lshrrev_b32_e32 v24, 16, v20
	;; [unrolled: 1-line block ×4, first 2 shown]
	v_cvt_f32_f16_e64 v27, -v19
	v_cvt_f32_f16_e64 v28, -v20
	;; [unrolled: 1-line block ×3, first 2 shown]
	v_add_nc_u32_e32 v5, s16, v0
	v_cvt_f32_f16_e32 v10, v1
	v_cvt_f32_f16_e64 v29, -v21
	v_cvt_f32_f16_e32 v16, v17
	v_cvt_f32_f16_e32 v13, v2
	v_mul_f32_e32 v2, 0x3fb8aa3b, v27
	v_cvt_f32_f16_e32 v12, v3
	v_cvt_f32_f16_e32 v11, v4
	v_cvt_f32_f16_e64 v3, -v23
	v_dual_mul_f32 v4, 0x3fb8aa3b, v28 :: v_dual_mul_f32 v31, 0x3fb8aa3b, v30
	v_cvt_f32_f16_e64 v23, -v24
	v_cvt_f32_f16_e64 v25, -v25
	;; [unrolled: 1-line block ×3, first 2 shown]
	v_cmp_lt_f16_e64 s2, v1, v17
	s_delay_alu instid0(VALU_DEP_4)
	v_dual_mul_f32 v24, 0x3fb8aa3b, v29 :: v_dual_mul_f32 v37, 0x3fb8aa3b, v23
	v_fma_mix_f32 v32, -v19, s3, -v2 op_sel_hi:[1,0,0]
	v_rndne_f32_e32 v33, v2
	v_dual_mul_f32 v34, 0x3fb8aa3b, v3 :: v_dual_mul_f32 v43, 0x3fb8aa3b, v26
	v_rndne_f32_e32 v42, v31
	v_mul_f32_e32 v40, 0x3fb8aa3b, v25
	v_cndmask_b32_e64 v1, v10, v16, s2
	v_fma_mix_f32 v35, -v20, s3, -v4 op_sel_hi:[1,0,0]
	v_fma_mix_f32 v38, -v21, s3, -v24 op_sel_hi:[1,0,0]
	;; [unrolled: 1-line block ×3, first 2 shown]
	v_sub_f32_e32 v31, v31, v42
	v_fma_mix_f32 v17, -v19, s4, v32 op_sel_hi:[1,0,0]
	v_cvt_i32_f32_e32 v32, v33
	v_fma_mix_f32 v45, -v20, s3, -v37 op_sel:[1,0,0] op_sel_hi:[1,0,0]
	v_fma_mix_f32 v47, -v21, s3, -v40 op_sel:[1,0,0] op_sel_hi:[1,0,0]
	v_rndne_f32_e32 v48, v40
	v_sub_f32_e32 v2, v2, v33
	v_fma_mix_f32 v33, -v19, s3, -v34 op_sel:[1,0,0] op_sel_hi:[1,0,0]
	v_fma_mix_f32 v49, -v22, s3, -v43 op_sel:[1,0,0] op_sel_hi:[1,0,0]
	v_cmp_lt_f32_e64 s3, v1, v9
	v_rndne_f32_e32 v36, v4
	v_rndne_f32_e32 v39, v24
	;; [unrolled: 1-line block ×3, first 2 shown]
	v_fma_mix_f32 v35, -v20, s4, v35 op_sel_hi:[1,0,0]
	v_cndmask_b32_e64 v1, v1, v9, s3
	v_fma_mix_f32 v41, -v22, s4, v41 op_sel_hi:[1,0,0]
	v_sub_f32_e32 v4, v4, v36
	v_add_f32_e32 v2, v2, v17
	v_ashrrev_i32_e32 v6, 31, v5
	v_cmp_lt_f32_e64 s7, v1, v13
	v_rndne_f32_e32 v46, v37
	v_fma_mix_f32 v38, -v21, s4, v38 op_sel_hi:[1,0,0]
	v_sub_f32_e32 v24, v24, v39
	v_fma_mix_f32 v17, -v19, s4, v33 op_sel:[1,0,0] op_sel_hi:[1,0,0]
	v_sub_f32_e32 v19, v34, v44
	v_cndmask_b32_e64 v1, v1, v13, s7
	v_dual_add_f32 v31, v31, v41 :: v_dual_add_f32 v4, v4, v35
	v_exp_f32_e32 v2, v2
	s_delay_alu instid0(VALU_DEP_3) | instskip(NEXT) | instid1(VALU_DEP_3)
	v_add_f32_e32 v17, v19, v17
	v_cmp_lt_f32_e64 s8, v1, v8
	v_lshlrev_b64 v[5:6], 2, v[5:6]
	v_fma_mix_f32 v20, -v20, s4, v45 op_sel:[1,0,0] op_sel_hi:[1,0,0]
	v_sub_f32_e32 v34, v37, v46
	v_add_f32_e32 v24, v24, v38
	v_exp_f32_e32 v4, v4
	v_cndmask_b32_e64 v1, v1, v8, s8
	v_add_co_u32 v5, vcc_lo, s20, v5
	v_add_f32_e32 v19, v34, v20
	v_add_co_ci_u32_e32 v6, vcc_lo, s21, v6, vcc_lo
	v_cvt_i32_f32_e32 v36, v36
	v_exp_f32_e32 v20, v24
	v_cmp_lt_f32_e64 s5, v1, v12
	v_ldexp_f32 v2, v2, v32
	v_cmp_ngt_f32_e32 vcc_lo, 0xc2ce8ed0, v27
	v_cvt_i32_f32_e32 v39, v39
	v_exp_f32_e32 v24, v31
	v_cndmask_b32_e64 v1, v1, v12, s5
	v_ldexp_f32 v4, v4, v36
	v_cndmask_b32_e32 v2, 0, v2, vcc_lo
	v_cmp_ngt_f32_e32 vcc_lo, 0xc2ce8ed0, v28
	v_cvt_i32_f32_e32 v42, v42
	v_ldexp_f32 v20, v20, v39
	v_cmp_lt_f32_e64 s6, v1, v7
	v_exp_f32_e32 v17, v17
	v_cndmask_b32_e32 v4, 0, v4, vcc_lo
	v_cmp_ngt_f32_e32 vcc_lo, 0xc2ce8ed0, v29
	v_ldexp_f32 v24, v24, v42
	v_cndmask_b32_e64 v1, v1, v7, s6
	v_cvt_i32_f32_e32 v33, v44
	v_fma_mix_f32 v21, -v21, s4, v47 op_sel:[1,0,0] op_sel_hi:[1,0,0]
	v_cndmask_b32_e32 v20, 0, v20, vcc_lo
	v_cmp_ngt_f32_e32 vcc_lo, 0xc2ce8ed0, v30
	v_fma_mix_f32 v22, -v22, s4, v49 op_sel:[1,0,0] op_sel_hi:[1,0,0]
	v_cmp_lt_f32_e64 s4, v1, v11
	v_rndne_f32_e32 v50, v43
	v_sub_f32_e32 v37, v40, v48
	v_cndmask_b32_e32 v24, 0, v24, vcc_lo
	v_cmp_nlt_f32_e32 vcc_lo, 0x42b17218, v27
	v_exp_f32_e32 v19, v19
	v_ldexp_f32 v31, v17, v33
	v_cndmask_b32_e64 v17, v1, v11, s4
	v_cvt_i32_f32_e32 v35, v46
	v_cndmask_b32_e32 v1, 0x7f800000, v2, vcc_lo
	v_cmp_ngt_f32_e32 vcc_lo, 0xc2ce8ed0, v3
	v_dual_sub_f32 v40, v43, v50 :: v_dual_add_f32 v21, v37, v21
	v_cvt_i32_f32_e32 v38, v48
	s_delay_alu instid0(VALU_DEP_4) | instskip(SKIP_1) | instid1(VALU_DEP_4)
	v_dual_add_f32 v1, 1.0, v1 :: v_dual_cndmask_b32 v2, 0, v31
	v_cmp_nlt_f32_e32 vcc_lo, 0x42b17218, v28
	v_exp_f32_e32 v21, v21
	v_ldexp_f32 v19, v19, v35
	v_add_f32_e32 v22, v40, v22
	v_cvt_i32_f32_e32 v41, v50
	v_cndmask_b32_e32 v4, 0x7f800000, v4, vcc_lo
	v_cmp_ngt_f32_e32 vcc_lo, 0xc2ce8ed0, v23
	s_delay_alu instid0(VALU_DEP_4) | instskip(SKIP_2) | instid1(TRANS32_DEP_2)
	v_exp_f32_e32 v22, v22
	v_cndmask_b32_e32 v19, 0, v19, vcc_lo
	v_cmp_nlt_f32_e32 vcc_lo, 0x42b17218, v29
	v_ldexp_f32 v21, v21, v38
	v_cndmask_b32_e32 v20, 0x7f800000, v20, vcc_lo
	v_cmp_ngt_f32_e32 vcc_lo, 0xc2ce8ed0, v25
	s_waitcnt_depctr 0xfff
	v_ldexp_f32 v22, v22, v41
	v_cndmask_b32_e32 v21, 0, v21, vcc_lo
	v_cmp_nlt_f32_e32 vcc_lo, 0x42b17218, v30
	v_cndmask_b32_e32 v24, 0x7f800000, v24, vcc_lo
	v_cmp_ngt_f32_e32 vcc_lo, 0xc2ce8ed0, v26
	v_cndmask_b32_e32 v22, 0, v22, vcc_lo
	v_cmp_nlt_f32_e32 vcc_lo, 0x42b17218, v3
	v_dual_add_f32 v3, 1.0, v4 :: v_dual_cndmask_b32 v2, 0x7f800000, v2
	v_cmp_nlt_f32_e32 vcc_lo, 0x42b17218, v23
	v_add_f32_e32 v23, 1.0, v24
	s_delay_alu instid0(VALU_DEP_1)
	v_div_scale_f32 v30, s11, 1.0, v23, 1.0
	v_cndmask_b32_e32 v4, 0x7f800000, v19, vcc_lo
	v_cmp_nlt_f32_e32 vcc_lo, 0x42b17218, v25
	v_add_f32_e32 v19, 1.0, v20
	v_div_scale_f32 v25, null, v3, v3, 1.0
	v_cndmask_b32_e32 v20, 0x7f800000, v21, vcc_lo
	v_cmp_nlt_f32_e32 vcc_lo, 0x42b17218, v26
	s_delay_alu instid0(VALU_DEP_4) | instskip(NEXT) | instid1(VALU_DEP_4)
	v_div_scale_f32 v27, null, v19, v19, 1.0
	v_rcp_f32_e32 v34, v25
	s_delay_alu instid0(VALU_DEP_3) | instskip(SKIP_1) | instid1(VALU_DEP_3)
	v_add_f32_e32 v29, 1.0, v20
	v_div_scale_f32 v20, null, v23, v23, 1.0
	v_rcp_f32_e32 v37, v27
	v_div_scale_f32 v26, s9, 1.0, v3, 1.0
	s_delay_alu instid0(VALU_DEP_2) | instskip(SKIP_1) | instid1(TRANS32_DEP_3)
	v_rcp_f32_e32 v40, v20
	v_div_scale_f32 v38, null, v29, v29, 1.0
	v_fma_f32 v48, -v25, v34, 1.0
	v_div_scale_f32 v28, s10, 1.0, v19, 1.0
	s_delay_alu instid0(VALU_DEP_3) | instskip(NEXT) | instid1(TRANS32_DEP_3)
	v_rcp_f32_e32 v45, v38
	v_fma_f32 v49, -v27, v37, 1.0
	s_delay_alu instid0(VALU_DEP_3) | instskip(SKIP_1) | instid1(TRANS32_DEP_2)
	v_fmac_f32_e32 v34, v48, v34
	v_div_scale_f32 v39, s14, 1.0, v29, 1.0
	v_fma_f32 v50, -v20, v40, 1.0
	v_cndmask_b32_e32 v21, 0x7f800000, v22, vcc_lo
	v_div_scale_f32 v22, null, v1, v1, 1.0
	v_div_scale_f32 v24, vcc_lo, 1.0, v1, 1.0
	s_delay_alu instid0(VALU_DEP_3) | instskip(NEXT) | instid1(VALU_DEP_3)
	v_dual_fmac_f32 v40, v50, v40 :: v_dual_add_f32 v31, 1.0, v21
	v_rcp_f32_e32 v21, v22
	v_fmac_f32_e32 v37, v49, v37
	v_fma_f32 v49, -v38, v45, 1.0
	s_delay_alu instid0(VALU_DEP_3) | instskip(SKIP_1) | instid1(VALU_DEP_3)
	v_div_scale_f32 v41, null, v31, v31, 1.0
	v_div_scale_f32 v43, s15, 1.0, v31, 1.0
	v_fmac_f32_e32 v45, v49, v45
	s_delay_alu instid0(VALU_DEP_3) | instskip(NEXT) | instid1(TRANS32_DEP_2)
	v_rcp_f32_e32 v47, v41
	v_fma_f32 v46, -v22, v21, 1.0
	v_mul_f32_e32 v49, v30, v40
	v_add_f32_e32 v4, 1.0, v4
	v_mul_f32_e32 v56, v39, v45
	s_delay_alu instid0(VALU_DEP_4) | instskip(NEXT) | instid1(VALU_DEP_4)
	v_fmac_f32_e32 v21, v46, v21
	v_fma_f32 v57, -v20, v49, v30
	s_delay_alu instid0(VALU_DEP_4) | instskip(NEXT) | instid1(TRANS32_DEP_1)
	v_div_scale_f32 v35, null, v4, v4, 1.0
	v_fma_f32 v50, -v41, v47, 1.0
	s_delay_alu instid0(VALU_DEP_4) | instskip(SKIP_1) | instid1(VALU_DEP_4)
	v_mul_f32_e32 v51, v24, v21
	v_div_scale_f32 v36, s13, 1.0, v4, 1.0
	v_rcp_f32_e32 v44, v35
	s_delay_alu instid0(VALU_DEP_3) | instskip(NEXT) | instid1(VALU_DEP_3)
	v_fmac_f32_e32 v47, v50, v47
	v_fma_f32 v50, -v22, v51, v24
	v_dual_add_f32 v2, 1.0, v2 :: v_dual_fmac_f32 v49, v57, v40
	s_delay_alu instid0(VALU_DEP_2) | instskip(NEXT) | instid1(VALU_DEP_2)
	v_dual_mul_f32 v58, v43, v47 :: v_dual_fmac_f32 v51, v50, v21
	v_div_scale_f32 v32, null, v2, v2, 1.0
	s_waitcnt_depctr 0xfff
	v_fma_f32 v48, -v35, v44, 1.0
	v_div_scale_f32 v33, s12, 1.0, v2, 1.0
	v_rcp_f32_e32 v42, v32
	v_fma_f32 v22, -v22, v51, v24
	s_delay_alu instid0(VALU_DEP_3)
	v_fmac_f32_e32 v44, v48, v44
	v_mul_f32_e32 v48, v28, v37
	v_fma_f32 v57, -v41, v58, v43
	v_fma_f32 v20, -v20, v49, v30
	v_div_fmas_f32 v21, v22, v21, v51
	v_mul_f32_e32 v54, v36, v44
	v_fma_f32 v55, -v27, v48, v28
	s_mov_b32 vcc_lo, s12
	v_fma_f32 v46, -v32, v42, 1.0
	v_div_fixup_f32 v1, v21, v1, 1.0
	v_fmac_f32_e32 v58, v57, v47
	v_fmac_f32_e32 v48, v55, v37
	v_fma_f32 v55, -v38, v56, v39
	v_fmac_f32_e32 v42, v46, v42
	v_mul_f32_e32 v46, v26, v34
	s_cselect_b32 s12, -1, 0
	s_cmp_lt_i32 s16, 1
	v_fmac_f32_e32 v56, v55, v45
	v_mul_f32_e32 v52, v33, v42
	v_fma_f32 v53, -v25, v46, v26
	s_delay_alu instid0(VALU_DEP_2) | instskip(NEXT) | instid1(VALU_DEP_2)
	v_fma_f32 v50, -v32, v52, v33
	v_fmac_f32_e32 v46, v53, v34
	v_fma_f32 v53, -v35, v54, v36
	s_delay_alu instid0(VALU_DEP_3) | instskip(NEXT) | instid1(VALU_DEP_3)
	v_fmac_f32_e32 v52, v50, v42
	v_fma_f32 v24, -v25, v46, v26
	s_delay_alu instid0(VALU_DEP_3)
	v_fmac_f32_e32 v54, v53, v44
	v_fma_f32 v25, -v27, v48, v28
	v_fma_f32 v27, -v38, v56, v39
	;; [unrolled: 1-line block ×5, first 2 shown]
	s_delay_alu instid0(VALU_DEP_3) | instskip(SKIP_3) | instid1(VALU_DEP_2)
	v_div_fmas_f32 v21, v22, v42, v52
	s_mov_b32 vcc_lo, s9
	v_div_fmas_f32 v22, v24, v34, v46
	s_mov_b32 vcc_lo, s13
	v_div_fixup_f32 v2, v21, v2, 1.0
	v_div_fmas_f32 v24, v26, v44, v54
	s_mov_b32 vcc_lo, s10
	v_div_fixup_f32 v3, v22, v3, 1.0
	;; [unrolled: 3-line block ×3, first 2 shown]
	v_div_fmas_f32 v22, v27, v45, v56
	s_mov_b32 vcc_lo, s11
	v_div_fmas_f32 v25, v20, v40, v49
	s_mov_b32 vcc_lo, s15
	v_div_fixup_f32 v20, v21, v19, 1.0
	v_div_fmas_f32 v26, v28, v47, v58
	v_mov_b32_e32 v19, 0
	v_div_fixup_f32 v21, v22, v29, 1.0
	v_div_fixup_f32 v22, v25, v23, 1.0
	s_delay_alu instid0(VALU_DEP_4)
	v_div_fixup_f32 v23, v26, v31, 1.0
	s_clause 0x1
	global_store_b128 v[5:6], v[1:4], off
	global_store_b128 v[5:6], v[20:23], off offset:16
	s_cbranch_scc1 .LBB145_8
; %bb.5:
	v_cndmask_b32_e64 v1, 0, 1, s2
	v_sub_f32_e32 v22, v17, v17
	v_mul_lo_u32 v2, v18, s22
	v_mul_lo_u32 v19, v18, s16
	s_delay_alu instid0(VALU_DEP_4) | instskip(NEXT) | instid1(VALU_DEP_4)
	v_cndmask_b32_e64 v1, v1, 2, s3
	v_mul_f32_e32 v3, 0x3fb8aa3b, v22
	s_delay_alu instid0(VALU_DEP_2) | instskip(NEXT) | instid1(VALU_DEP_2)
	v_cndmask_b32_e64 v1, v1, 3, s7
	v_rndne_f32_e32 v4, v3
	v_fma_f32 v5, 0x3fb8aa3b, v22, -v3
	s_delay_alu instid0(VALU_DEP_3) | instskip(NEXT) | instid1(VALU_DEP_3)
	v_cndmask_b32_e64 v6, v1, 4, s8
	v_sub_f32_e32 v3, v3, v4
	s_delay_alu instid0(VALU_DEP_3)
	v_fmac_f32_e32 v5, 0x32a5705f, v22
	v_ashrrev_i32_e32 v1, 31, v0
	s_load_b128 s[8:11], s[0:1], 0x20
	v_cndmask_b32_e64 v20, v6, 5, s5
	v_cvt_i32_f32_e32 v4, v4
	v_add_f32_e32 v21, v3, v5
	v_lshlrev_b64 v[5:6], 2, v[0:1]
	v_ashrrev_i32_e32 v3, 31, v2
	v_cndmask_b32_e64 v1, v20, 6, s6
	v_ashrrev_i32_e32 v20, 31, v19
	v_exp_f32_e32 v21, v21
	s_delay_alu instid0(VALU_DEP_4) | instskip(NEXT) | instid1(VALU_DEP_3)
	v_add_co_u32 v5, vcc_lo, s20, v5
	v_cndmask_b32_e64 v24, v1, 7, s4
	v_add_co_ci_u32_e32 v6, vcc_lo, s21, v6, vcc_lo
	v_lshlrev_b64 v[1:2], 2, v[2:3]
	s_delay_alu instid0(VALU_DEP_3) | instskip(SKIP_1) | instid1(TRANS32_DEP_1)
	v_cmp_le_i32_e32 vcc_lo, s17, v24
	v_cmp_gt_i32_e64 s0, s18, v24
	v_ldexp_f32 v21, v21, v4
	v_lshlrev_b64 v[3:4], 2, v[19:20]
	v_subrev_nc_u32_e32 v19, s17, v24
	s_delay_alu instid0(VALU_DEP_4)
	s_and_b32 s0, vcc_lo, s0
	v_cmp_ngt_f32_e32 vcc_lo, 0xc2ce8ed0, v22
	v_cndmask_b32_e32 v23, 0, v21, vcc_lo
	s_waitcnt lgkmcnt(0)
	v_add_co_u32 v20, vcc_lo, s8, v1
	v_add_co_ci_u32_e32 v21, vcc_lo, s9, v2, vcc_lo
	s_and_b32 vcc_lo, s25, s0
	s_cmp_eq_u32 s16, 1
	v_cndmask_b32_e32 v25, 8, v19, vcc_lo
	v_cmp_nlt_f32_e32 vcc_lo, 0x42b17218, v22
	v_cndmask_b32_e32 v19, 0x7f800000, v23, vcc_lo
	v_add_co_u32 v22, vcc_lo, s10, v3
	v_add_co_ci_u32_e32 v23, vcc_lo, s11, v4, vcc_lo
	v_cmp_ne_u32_e32 vcc_lo, 7, v24
	global_store_b32 v[5:6], v19, off
	global_store_b32 v[20:21], v25, off
	;; [unrolled: 1-line block ×3, first 2 shown]
	v_cndmask_b32_e32 v11, 0xff800000, v11, vcc_lo
	v_cmp_ne_u32_e32 vcc_lo, 6, v24
	v_cndmask_b32_e32 v7, 0xff800000, v7, vcc_lo
	v_cmp_ne_u32_e32 vcc_lo, 5, v24
	;; [unrolled: 2-line block ×7, first 2 shown]
	v_cndmask_b32_e32 v10, 0xff800000, v10, vcc_lo
	s_cbranch_scc1 .LBB145_8
; %bb.6:
	v_add_co_u32 v3, vcc_lo, v3, s10
	v_add_co_ci_u32_e32 v4, vcc_lo, s11, v4, vcc_lo
	v_add_co_u32 v18, vcc_lo, v1, s8
	v_add_co_ci_u32_e32 v20, vcc_lo, s9, v2, vcc_lo
	s_delay_alu instid0(VALU_DEP_4) | instskip(NEXT) | instid1(VALU_DEP_4)
	v_add_co_u32 v1, vcc_lo, v3, 4
	v_add_co_ci_u32_e32 v2, vcc_lo, 0, v4, vcc_lo
	s_delay_alu instid0(VALU_DEP_4) | instskip(NEXT) | instid1(VALU_DEP_4)
	v_add_co_u32 v3, vcc_lo, v18, 4
	v_add_co_ci_u32_e32 v4, vcc_lo, 0, v20, vcc_lo
	s_add_i32 s26, s26, s24
	v_add_co_u32 v5, vcc_lo, v5, 4
	v_add_co_ci_u32_e32 v6, vcc_lo, 0, v6, vcc_lo
	v_add3_u32 v14, s26, v15, v14
	s_add_i32 s2, s16, -1
.LBB145_7:                              ; =>This Inner Loop Header: Depth=1
	v_cmp_gt_f32_e32 vcc_lo, v16, v10
	s_add_i32 s2, s2, -1
	v_cndmask_b32_e32 v15, v10, v16, vcc_lo
	v_cndmask_b32_e64 v18, 0, 1, vcc_lo
	s_delay_alu instid0(VALU_DEP_2) | instskip(SKIP_1) | instid1(VALU_DEP_3)
	v_cmp_gt_f32_e32 vcc_lo, v9, v15
	v_cndmask_b32_e32 v15, v15, v9, vcc_lo
	v_cndmask_b32_e64 v18, v18, 2, vcc_lo
	s_delay_alu instid0(VALU_DEP_2) | instskip(SKIP_1) | instid1(VALU_DEP_3)
	v_cmp_gt_f32_e32 vcc_lo, v13, v15
	;; [unrolled: 4-line block ×5, first 2 shown]
	v_cndmask_b32_e32 v15, v15, v7, vcc_lo
	v_cndmask_b32_e64 v18, v18, 6, vcc_lo
	s_delay_alu instid0(VALU_DEP_2) | instskip(NEXT) | instid1(VALU_DEP_2)
	v_cmp_gt_f32_e32 vcc_lo, v11, v15
	v_cndmask_b32_e64 v18, v18, 7, vcc_lo
	v_cndmask_b32_e32 v15, v15, v11, vcc_lo
	s_delay_alu instid0(VALU_DEP_2) | instskip(SKIP_2) | instid1(VALU_DEP_4)
	v_cmp_ne_u32_e64 s1, 7, v18
	v_cmp_le_i32_e32 vcc_lo, s17, v18
	v_cmp_gt_i32_e64 s0, s18, v18
	v_sub_f32_e32 v15, v15, v17
	v_subrev_nc_u32_e32 v21, s17, v18
	v_cndmask_b32_e64 v11, 0xff800000, v11, s1
	v_cmp_ne_u32_e64 s1, 6, v18
	s_and_b32 s0, vcc_lo, s0
	s_delay_alu instid0(SALU_CYCLE_1) | instskip(SKIP_1) | instid1(VALU_DEP_2)
	s_and_b32 vcc_lo, s25, s0
	v_dual_mul_f32 v20, 0x3fb8aa3b, v15 :: v_dual_cndmask_b32 v21, 8, v21
	v_cndmask_b32_e64 v7, 0xff800000, v7, s1
	v_cmp_ne_u32_e64 s1, 5, v18
	global_store_b32 v[3:4], v21, off
	global_store_b32 v[1:2], v14, off
	v_rndne_f32_e32 v22, v20
	v_cndmask_b32_e64 v12, 0xff800000, v12, s1
	v_cmp_ne_u32_e64 s1, 4, v18
	v_add_co_u32 v1, vcc_lo, v1, 4
	v_add_co_ci_u32_e32 v2, vcc_lo, 0, v2, vcc_lo
	s_delay_alu instid0(VALU_DEP_3) | instskip(SKIP_3) | instid1(VALU_DEP_3)
	v_cndmask_b32_e64 v8, 0xff800000, v8, s1
	v_cmp_ne_u32_e64 s1, 3, v18
	v_add_co_u32 v3, vcc_lo, v3, 4
	v_add_co_ci_u32_e32 v4, vcc_lo, 0, v4, vcc_lo
	v_cndmask_b32_e64 v13, 0xff800000, v13, s1
	v_cmp_ne_u32_e64 s1, 2, v18
	v_cmp_ngt_f32_e32 vcc_lo, 0xc2ce8ed0, v15
	v_add_nc_u32_e32 v14, s24, v14
	s_cmp_eq_u32 s2, 0
	s_delay_alu instid0(VALU_DEP_3) | instskip(SKIP_1) | instid1(VALU_DEP_1)
	v_cndmask_b32_e64 v9, 0xff800000, v9, s1
	v_cmp_ne_u32_e64 s1, 1, v18
	v_cndmask_b32_e64 v16, 0xff800000, v16, s1
	v_cmp_ne_u32_e64 s1, 0, v18
	v_fma_f32 v18, 0x3fb8aa3b, v15, -v20
	v_sub_f32_e32 v20, v20, v22
	v_cvt_i32_f32_e32 v22, v22
	s_delay_alu instid0(VALU_DEP_4) | instskip(NEXT) | instid1(VALU_DEP_4)
	v_cndmask_b32_e64 v10, 0xff800000, v10, s1
	v_fmac_f32_e32 v18, 0x32a5705f, v15
	s_delay_alu instid0(VALU_DEP_1) | instskip(NEXT) | instid1(VALU_DEP_1)
	v_add_f32_e32 v18, v20, v18
	v_exp_f32_e32 v18, v18
	s_waitcnt_depctr 0xfff
	v_ldexp_f32 v18, v18, v22
	s_delay_alu instid0(VALU_DEP_1) | instskip(SKIP_1) | instid1(VALU_DEP_2)
	v_cndmask_b32_e32 v18, 0, v18, vcc_lo
	v_cmp_nlt_f32_e32 vcc_lo, 0x42b17218, v15
	v_cndmask_b32_e32 v15, 0x7f800000, v18, vcc_lo
	global_store_b32 v[5:6], v15, off
	v_add_co_u32 v5, vcc_lo, v5, 4
	v_add_f32_e32 v19, v19, v15
	v_add_co_ci_u32_e32 v6, vcc_lo, 0, v6, vcc_lo
	s_cbranch_scc0 .LBB145_7
.LBB145_8:
	v_sub_f32_e32 v4, v13, v17
	v_sub_f32_e32 v3, v9, v17
	;; [unrolled: 1-line block ×5, first 2 shown]
	s_delay_alu instid0(VALU_DEP_4) | instskip(NEXT) | instid1(VALU_DEP_4)
	v_mul_f32_e32 v9, 0x3fb8aa3b, v3
	v_dual_sub_f32 v1, v10, v17 :: v_dual_mul_f32 v6, 0x3fb8aa3b, v2
	s_delay_alu instid0(VALU_DEP_2) | instskip(NEXT) | instid1(VALU_DEP_2)
	v_rndne_f32_e32 v20, v9
	v_cmp_ngt_f32_e32 vcc_lo, 0xc2ce8ed0, v1
	s_delay_alu instid0(VALU_DEP_3) | instskip(SKIP_2) | instid1(VALU_DEP_3)
	v_rndne_f32_e32 v16, v6
	v_mul_f32_e32 v5, 0x3fb8aa3b, v1
	v_fma_f32 v15, 0x3fb8aa3b, v2, -v6
	v_sub_f32_e32 v6, v6, v16
	s_delay_alu instid0(VALU_DEP_3) | instskip(SKIP_1) | instid1(VALU_DEP_4)
	v_fma_f32 v13, 0x3fb8aa3b, v1, -v5
	v_rndne_f32_e32 v14, v5
	v_fmac_f32_e32 v15, 0x32a5705f, v2
	v_mul_f32_e32 v10, 0x3fb8aa3b, v4
	v_fma_f32 v18, 0x3fb8aa3b, v3, -v9
	v_fmac_f32_e32 v13, 0x32a5705f, v1
	s_delay_alu instid0(VALU_DEP_4) | instskip(NEXT) | instid1(VALU_DEP_4)
	v_dual_sub_f32 v5, v5, v14 :: v_dual_add_f32 v6, v6, v15
	v_rndne_f32_e32 v22, v10
	s_delay_alu instid0(VALU_DEP_4) | instskip(SKIP_1) | instid1(VALU_DEP_4)
	v_fmac_f32_e32 v18, 0x32a5705f, v3
	v_fma_f32 v21, 0x3fb8aa3b, v4, -v10
	v_add_f32_e32 v5, v5, v13
	v_exp_f32_e32 v6, v6
	v_sub_f32_e32 v10, v10, v22
	v_cvt_i32_f32_e32 v13, v14
	v_cvt_i32_f32_e32 v14, v16
	v_exp_f32_e32 v5, v5
	s_waitcnt_depctr 0xfff
	v_ldexp_f32 v6, v6, v14
	v_mul_f32_e32 v14, 0x3fb8aa3b, v11
	v_ldexp_f32 v5, v5, v13
	v_cvt_i32_f32_e32 v13, v20
	s_delay_alu instid0(VALU_DEP_3) | instskip(NEXT) | instid1(VALU_DEP_3)
	v_rndne_f32_e32 v15, v14
	v_cndmask_b32_e32 v5, 0, v5, vcc_lo
	v_cmp_ngt_f32_e32 vcc_lo, 0xc2ce8ed0, v2
	v_dual_fmac_f32 v21, 0x32a5705f, v4 :: v_dual_cndmask_b32 v6, 0, v6
	s_delay_alu instid0(VALU_DEP_1) | instskip(SKIP_1) | instid1(VALU_DEP_2)
	v_dual_sub_f32 v9, v9, v20 :: v_dual_add_f32 v10, v10, v21
	v_cmp_nlt_f32_e32 vcc_lo, 0x42b17218, v1
	v_add_f32_e32 v9, v9, v18
	s_delay_alu instid0(VALU_DEP_3)
	v_exp_f32_e32 v10, v10
	v_cndmask_b32_e32 v1, 0x7f800000, v5, vcc_lo
	v_cmp_nlt_f32_e32 vcc_lo, 0x42b17218, v2
	v_cndmask_b32_e32 v2, 0x7f800000, v6, vcc_lo
	v_sub_f32_e32 v6, v8, v17
	v_exp_f32_e32 v9, v9
	v_cmp_ngt_f32_e32 vcc_lo, 0xc2ce8ed0, v3
	v_cvt_i32_f32_e32 v8, v22
	s_waitcnt_depctr 0xfff
	v_ldexp_f32 v9, v9, v13
	s_delay_alu instid0(VALU_DEP_1)
	v_cndmask_b32_e32 v5, 0, v9, vcc_lo
	v_cmp_nlt_f32_e32 vcc_lo, 0x42b17218, v3
	v_sub_f32_e32 v9, v12, v17
	v_add_f32_e32 v1, v1, v2
	v_mul_f32_e32 v3, 0x3fb8aa3b, v6
	v_cndmask_b32_e32 v2, 0x7f800000, v5, vcc_lo
	v_ldexp_f32 v5, v10, v8
	v_mul_f32_e32 v10, 0x3fb8aa3b, v7
	v_cmp_ngt_f32_e32 vcc_lo, 0xc2ce8ed0, v4
	v_rndne_f32_e32 v8, v3
	s_delay_alu instid0(VALU_DEP_3) | instskip(SKIP_3) | instid1(VALU_DEP_4)
	v_fma_f32 v12, 0x3fb8aa3b, v7, -v10
	v_cndmask_b32_e32 v5, 0, v5, vcc_lo
	v_cmp_nlt_f32_e32 vcc_lo, 0x42b17218, v4
	v_rndne_f32_e32 v13, v10
	v_dual_fmac_f32 v12, 0x32a5705f, v7 :: v_dual_add_f32 v1, v1, v2
	s_delay_alu instid0(VALU_DEP_4)
	v_cndmask_b32_e32 v4, 0x7f800000, v5, vcc_lo
	v_fma_f32 v2, 0x3fb8aa3b, v6, -v3
	v_sub_f32_e32 v3, v3, v8
	v_mul_f32_e32 v5, 0x3fb8aa3b, v9
	v_cvt_i32_f32_e32 v8, v8
	v_cmp_ngt_f32_e32 vcc_lo, 0xc2ce8ed0, v6
	v_fmac_f32_e32 v2, 0x32a5705f, v6
	s_delay_alu instid0(VALU_DEP_1) | instskip(NEXT) | instid1(VALU_DEP_1)
	v_add_f32_e32 v2, v3, v2
	v_exp_f32_e32 v2, v2
	s_waitcnt_depctr 0xfff
	v_ldexp_f32 v2, v2, v8
	v_dual_sub_f32 v8, v14, v15 :: v_dual_add_f32 v1, v1, v4
	v_fma_f32 v3, 0x3fb8aa3b, v9, -v5
	v_rndne_f32_e32 v4, v5
	s_delay_alu instid0(VALU_DEP_4) | instskip(SKIP_1) | instid1(VALU_DEP_4)
	v_cndmask_b32_e32 v2, 0, v2, vcc_lo
	v_cmp_nlt_f32_e32 vcc_lo, 0x42b17218, v6
	v_fmac_f32_e32 v3, 0x32a5705f, v9
	s_delay_alu instid0(VALU_DEP_4) | instskip(SKIP_3) | instid1(VALU_DEP_4)
	v_sub_f32_e32 v5, v5, v4
	v_cvt_i32_f32_e32 v4, v4
	v_cndmask_b32_e32 v2, 0x7f800000, v2, vcc_lo
	v_cmp_ngt_f32_e32 vcc_lo, 0xc2ce8ed0, v9
	v_add_f32_e32 v3, v5, v3
	v_sub_f32_e32 v5, v10, v13
	v_fma_f32 v10, 0x3fb8aa3b, v11, -v14
	s_delay_alu instid0(VALU_DEP_3) | instskip(NEXT) | instid1(VALU_DEP_1)
	v_exp_f32_e32 v3, v3
	v_dual_add_f32 v5, v5, v12 :: v_dual_fmac_f32 v10, 0x32a5705f, v11
	s_delay_alu instid0(VALU_DEP_1) | instskip(NEXT) | instid1(VALU_DEP_1)
	v_exp_f32_e32 v5, v5
	v_add_f32_e32 v8, v8, v10
	v_add_f32_e32 v1, v1, v2
	s_waitcnt_depctr 0xfff
	v_ldexp_f32 v3, v3, v4
	v_cvt_i32_f32_e32 v4, v13
	v_exp_f32_e32 v6, v8
	s_delay_alu instid0(VALU_DEP_2) | instskip(SKIP_1) | instid1(VALU_DEP_3)
	v_cndmask_b32_e32 v3, 0, v3, vcc_lo
	v_cmp_nlt_f32_e32 vcc_lo, 0x42b17218, v9
	v_ldexp_f32 v2, v5, v4
	v_cvt_i32_f32_e32 v4, v15
	s_delay_alu instid0(VALU_DEP_4)
	v_cndmask_b32_e32 v3, 0x7f800000, v3, vcc_lo
	v_cmp_ngt_f32_e32 vcc_lo, 0xc2ce8ed0, v7
	s_delay_alu instid0(TRANS32_DEP_1) | instid1(VALU_DEP_3)
	v_ldexp_f32 v4, v6, v4
	s_delay_alu instid0(VALU_DEP_3) | instskip(SKIP_1) | instid1(VALU_DEP_2)
	v_dual_add_f32 v1, v1, v3 :: v_dual_cndmask_b32 v2, 0, v2
	v_cmp_nlt_f32_e32 vcc_lo, 0x42b17218, v7
	v_cndmask_b32_e32 v2, 0x7f800000, v2, vcc_lo
	v_cmp_ngt_f32_e32 vcc_lo, 0xc2ce8ed0, v11
	s_delay_alu instid0(VALU_DEP_2) | instskip(SKIP_2) | instid1(VALU_DEP_2)
	v_add_f32_e32 v1, v1, v2
	v_cndmask_b32_e32 v3, 0, v4, vcc_lo
	v_cmp_nlt_f32_e32 vcc_lo, 0x42b17218, v11
	v_cndmask_b32_e32 v2, 0x7f800000, v3, vcc_lo
	s_delay_alu instid0(VALU_DEP_1) | instskip(NEXT) | instid1(VALU_DEP_1)
	v_add_f32_e32 v1, v1, v2
	v_add_f32_e32 v2, v19, v1
	s_delay_alu instid0(VALU_DEP_1)
	v_cmp_neq_f32_e32 vcc_lo, 0, v2
	s_and_b32 exec_lo, exec_lo, vcc_lo
	s_cbranch_execz .LBB145_12
; %bb.9:
	s_and_not1_b32 vcc_lo, exec_lo, s12
	s_cbranch_vccnz .LBB145_12
; %bb.10:
	v_div_scale_f32 v1, null, v2, v2, 1.0
	v_div_scale_f32 v5, vcc_lo, 1.0, v2, 1.0
	s_delay_alu instid0(VALU_DEP_2) | instskip(SKIP_2) | instid1(VALU_DEP_1)
	v_rcp_f32_e32 v3, v1
	s_waitcnt_depctr 0xfff
	v_fma_f32 v4, -v1, v3, 1.0
	v_fmac_f32_e32 v3, v4, v3
	s_delay_alu instid0(VALU_DEP_1) | instskip(NEXT) | instid1(VALU_DEP_1)
	v_mul_f32_e32 v4, v5, v3
	v_fma_f32 v6, -v1, v4, v5
	s_delay_alu instid0(VALU_DEP_1) | instskip(NEXT) | instid1(VALU_DEP_1)
	v_fmac_f32_e32 v4, v6, v3
	v_fma_f32 v5, -v1, v4, v5
	v_ashrrev_i32_e32 v1, 31, v0
	s_delay_alu instid0(VALU_DEP_2) | instskip(NEXT) | instid1(VALU_DEP_2)
	v_div_fmas_f32 v3, v5, v3, v4
	v_lshlrev_b64 v[0:1], 2, v[0:1]
	s_delay_alu instid0(VALU_DEP_2) | instskip(NEXT) | instid1(VALU_DEP_2)
	v_div_fixup_f32 v2, v3, v2, 1.0
	v_add_co_u32 v0, vcc_lo, s20, v0
	s_delay_alu instid0(VALU_DEP_3)
	v_add_co_ci_u32_e32 v1, vcc_lo, s21, v1, vcc_lo
.LBB145_11:                             ; =>This Inner Loop Header: Depth=1
	global_load_b32 v3, v[0:1], off
	s_add_i32 s16, s16, -1
	s_delay_alu instid0(SALU_CYCLE_1)
	s_cmp_lg_u32 s16, 0
	s_waitcnt vmcnt(0)
	v_mul_f32_e32 v3, v2, v3
	global_store_b32 v[0:1], v3, off
	v_add_co_u32 v0, vcc_lo, v0, 4
	v_add_co_ci_u32_e32 v1, vcc_lo, 0, v1, vcc_lo
	s_cbranch_scc1 .LBB145_11
.LBB145_12:
	s_nop 0
	s_sendmsg sendmsg(MSG_DEALLOC_VGPRS)
	s_endpgm
	.section	.rodata,"a",@progbits
	.p2align	6, 0x0
	.amdhsa_kernel _ZN4vllm3moe17topkGatingSoftmaxIDF16_Li8ELi8ELi8ELi16ELb0ELi8ELNS0_23SharedExpertScoringFuncE1EEEvPKT_PKbPfiPiS9_iiiiii
		.amdhsa_group_segment_fixed_size 0
		.amdhsa_private_segment_fixed_size 0
		.amdhsa_kernarg_size 72
		.amdhsa_user_sgpr_count 15
		.amdhsa_user_sgpr_dispatch_ptr 0
		.amdhsa_user_sgpr_queue_ptr 0
		.amdhsa_user_sgpr_kernarg_segment_ptr 1
		.amdhsa_user_sgpr_dispatch_id 0
		.amdhsa_user_sgpr_private_segment_size 0
		.amdhsa_wavefront_size32 1
		.amdhsa_uses_dynamic_stack 0
		.amdhsa_enable_private_segment 0
		.amdhsa_system_sgpr_workgroup_id_x 1
		.amdhsa_system_sgpr_workgroup_id_y 0
		.amdhsa_system_sgpr_workgroup_id_z 0
		.amdhsa_system_sgpr_workgroup_info 0
		.amdhsa_system_vgpr_workitem_id 1
		.amdhsa_next_free_vgpr 59
		.amdhsa_next_free_sgpr 27
		.amdhsa_reserve_vcc 1
		.amdhsa_float_round_mode_32 0
		.amdhsa_float_round_mode_16_64 0
		.amdhsa_float_denorm_mode_32 3
		.amdhsa_float_denorm_mode_16_64 3
		.amdhsa_dx10_clamp 1
		.amdhsa_ieee_mode 1
		.amdhsa_fp16_overflow 0
		.amdhsa_workgroup_processor_mode 1
		.amdhsa_memory_ordered 1
		.amdhsa_forward_progress 0
		.amdhsa_shared_vgpr_count 0
		.amdhsa_exception_fp_ieee_invalid_op 0
		.amdhsa_exception_fp_denorm_src 0
		.amdhsa_exception_fp_ieee_div_zero 0
		.amdhsa_exception_fp_ieee_overflow 0
		.amdhsa_exception_fp_ieee_underflow 0
		.amdhsa_exception_fp_ieee_inexact 0
		.amdhsa_exception_int_div_zero 0
	.end_amdhsa_kernel
	.section	.text._ZN4vllm3moe17topkGatingSoftmaxIDF16_Li8ELi8ELi8ELi16ELb0ELi8ELNS0_23SharedExpertScoringFuncE1EEEvPKT_PKbPfiPiS9_iiiiii,"axG",@progbits,_ZN4vllm3moe17topkGatingSoftmaxIDF16_Li8ELi8ELi8ELi16ELb0ELi8ELNS0_23SharedExpertScoringFuncE1EEEvPKT_PKbPfiPiS9_iiiiii,comdat
.Lfunc_end145:
	.size	_ZN4vllm3moe17topkGatingSoftmaxIDF16_Li8ELi8ELi8ELi16ELb0ELi8ELNS0_23SharedExpertScoringFuncE1EEEvPKT_PKbPfiPiS9_iiiiii, .Lfunc_end145-_ZN4vllm3moe17topkGatingSoftmaxIDF16_Li8ELi8ELi8ELi16ELb0ELi8ELNS0_23SharedExpertScoringFuncE1EEEvPKT_PKbPfiPiS9_iiiiii
                                        ; -- End function
	.section	.AMDGPU.csdata,"",@progbits
; Kernel info:
; codeLenInByte = 4044
; NumSgprs: 29
; NumVgprs: 59
; ScratchSize: 0
; MemoryBound: 0
; FloatMode: 240
; IeeeMode: 1
; LDSByteSize: 0 bytes/workgroup (compile time only)
; SGPRBlocks: 3
; VGPRBlocks: 7
; NumSGPRsForWavesPerEU: 29
; NumVGPRsForWavesPerEU: 59
; Occupancy: 16
; WaveLimiterHint : 0
; COMPUTE_PGM_RSRC2:SCRATCH_EN: 0
; COMPUTE_PGM_RSRC2:USER_SGPR: 15
; COMPUTE_PGM_RSRC2:TRAP_HANDLER: 0
; COMPUTE_PGM_RSRC2:TGID_X_EN: 1
; COMPUTE_PGM_RSRC2:TGID_Y_EN: 0
; COMPUTE_PGM_RSRC2:TGID_Z_EN: 0
; COMPUTE_PGM_RSRC2:TIDIG_COMP_CNT: 1
	.section	.text._ZN4vllm3moe17topkGatingSoftmaxIDF16_Li16ELi16ELi8ELi32ELb1ELi0ELNS0_23SharedExpertScoringFuncE0EEEvPKT_PKbPfiPiS9_iiiiii,"axG",@progbits,_ZN4vllm3moe17topkGatingSoftmaxIDF16_Li16ELi16ELi8ELi32ELb1ELi0ELNS0_23SharedExpertScoringFuncE0EEEvPKT_PKbPfiPiS9_iiiiii,comdat
	.protected	_ZN4vllm3moe17topkGatingSoftmaxIDF16_Li16ELi16ELi8ELi32ELb1ELi0ELNS0_23SharedExpertScoringFuncE0EEEvPKT_PKbPfiPiS9_iiiiii ; -- Begin function _ZN4vllm3moe17topkGatingSoftmaxIDF16_Li16ELi16ELi8ELi32ELb1ELi0ELNS0_23SharedExpertScoringFuncE0EEEvPKT_PKbPfiPiS9_iiiiii
	.globl	_ZN4vllm3moe17topkGatingSoftmaxIDF16_Li16ELi16ELi8ELi32ELb1ELi0ELNS0_23SharedExpertScoringFuncE0EEEvPKT_PKbPfiPiS9_iiiiii
	.p2align	8
	.type	_ZN4vllm3moe17topkGatingSoftmaxIDF16_Li16ELi16ELi8ELi32ELb1ELi0ELNS0_23SharedExpertScoringFuncE0EEEvPKT_PKbPfiPiS9_iiiiii,@function
_ZN4vllm3moe17topkGatingSoftmaxIDF16_Li16ELi16ELi8ELi32ELb1ELi0ELNS0_23SharedExpertScoringFuncE0EEEvPKT_PKbPfiPiS9_iiiiii: ; @_ZN4vllm3moe17topkGatingSoftmaxIDF16_Li16ELi16ELi8ELi32ELb1ELi0ELNS0_23SharedExpertScoringFuncE0EEEvPKT_PKbPfiPiS9_iiiiii
; %bb.0:
	s_load_b32 s16, s[0:1], 0x18
	v_bfe_u32 v1, v0, 10, 10
	v_and_b32_e32 v10, 0x3ff, v0
	s_lshl_b32 s19, s15, 8
	s_mov_b32 s2, exec_lo
	s_delay_alu instid0(VALU_DEP_2) | instskip(NEXT) | instid1(VALU_DEP_1)
	v_lshlrev_b32_e32 v9, 5, v1
	v_add3_u32 v6, v9, v10, s19
	s_waitcnt lgkmcnt(0)
	s_delay_alu instid0(VALU_DEP_1)
	v_cmpx_gt_i32_e64 s16, v6
	s_cbranch_execz .LBB146_13
; %bb.1:
	s_clause 0x1
	s_load_b128 s[12:15], s[0:1], 0x0
	s_load_b64 s[2:3], s[0:1], 0x10
	s_waitcnt lgkmcnt(0)
	s_cmp_eq_u64 s[14:15], 0
	s_cbranch_scc1 .LBB146_3
; %bb.2:
	v_ashrrev_i32_e32 v1, 31, v6
	v_add_co_u32 v0, vcc_lo, s14, v6
	s_delay_alu instid0(VALU_DEP_2) | instskip(SKIP_3) | instid1(VALU_DEP_1)
	v_add_co_ci_u32_e32 v1, vcc_lo, s15, v1, vcc_lo
	global_load_u8 v0, v[0:1], off
	s_waitcnt vmcnt(0)
	v_and_b32_e32 v0, 1, v0
	v_cmp_eq_u32_e32 vcc_lo, 1, v0
	s_xor_b32 s4, vcc_lo, -1
	s_delay_alu instid0(SALU_CYCLE_1)
	s_or_not1_b32 s18, s4, exec_lo
	s_branch .LBB146_4
.LBB146_3:
	s_mov_b32 s18, -1
.LBB146_4:
	s_load_b128 s[4:7], s[0:1], 0x30
	s_waitcnt lgkmcnt(0)
	s_cmp_gt_i32 s4, 0
	s_cselect_b32 s17, -1, 0
	s_cmp_lt_i32 s4, 1
	s_cbranch_scc1 .LBB146_9
; %bb.5:
	s_clause 0x1
	s_load_b64 s[14:15], s[0:1], 0x40
	s_load_b128 s[8:11], s[0:1], 0x20
	s_waitcnt lgkmcnt(0)
	v_mul_lo_u32 v0, v6, s15
	s_delay_alu instid0(VALU_DEP_1) | instskip(NEXT) | instid1(VALU_DEP_1)
	v_ashrrev_i32_e32 v1, 31, v0
	v_lshlrev_b64 v[0:1], 1, v[0:1]
	s_delay_alu instid0(VALU_DEP_1) | instskip(NEXT) | instid1(VALU_DEP_2)
	v_add_co_u32 v4, vcc_lo, s12, v0
	v_add_co_ci_u32_e32 v5, vcc_lo, s13, v1, vcc_lo
	s_clause 0x1
	global_load_b128 v[0:3], v[4:5], off
	global_load_b128 v[27:30], v[4:5], off offset:16
	s_waitcnt vmcnt(1)
	v_lshrrev_b32_e32 v4, 16, v0
	v_cvt_f32_f16_e32 v26, v0
	v_cvt_f32_f16_e32 v24, v1
	v_lshrrev_b32_e32 v1, 16, v1
	v_cvt_f32_f16_e32 v22, v2
	v_cvt_f32_f16_e32 v25, v4
	v_cmp_lt_f16_e32 vcc_lo, v0, v4
	v_lshrrev_b32_e32 v2, 16, v2
	v_cvt_f32_f16_e32 v23, v1
	v_cvt_f32_f16_e32 v20, v3
	s_waitcnt vmcnt(0)
	v_cvt_f32_f16_e32 v18, v27
	v_cndmask_b32_e32 v4, v26, v25, vcc_lo
	v_cndmask_b32_e64 v0, 0, 1, vcc_lo
	v_cvt_f32_f16_e32 v21, v2
	v_lshrrev_b32_e32 v2, 16, v3
	v_cvt_f32_f16_e32 v16, v28
	v_cmp_lt_f32_e32 vcc_lo, v4, v24
	v_cvt_f32_f16_e32 v14, v29
	v_cvt_f32_f16_e32 v12, v30
	;; [unrolled: 1-line block ×3, first 2 shown]
	v_lshrrev_b32_e32 v2, 16, v27
	v_cndmask_b32_e32 v1, v4, v24, vcc_lo
	v_cndmask_b32_e64 v0, v0, 2, vcc_lo
	s_delay_alu instid0(VALU_DEP_3) | instskip(NEXT) | instid1(VALU_DEP_3)
	v_cvt_f32_f16_e32 v17, v2
	v_cmp_lt_f32_e32 vcc_lo, v1, v23
	v_lshrrev_b32_e32 v2, 16, v28
	v_mul_lo_u32 v28, v6, s14
	v_cndmask_b32_e32 v1, v1, v23, vcc_lo
	v_cndmask_b32_e64 v0, v0, 3, vcc_lo
	s_delay_alu instid0(VALU_DEP_4) | instskip(SKIP_1) | instid1(VALU_DEP_4)
	v_cvt_f32_f16_e32 v15, v2
	v_lshrrev_b32_e32 v2, 16, v29
	v_cmp_lt_f32_e32 vcc_lo, v1, v22
	s_delay_alu instid0(VALU_DEP_2) | instskip(SKIP_3) | instid1(VALU_DEP_3)
	v_cvt_f32_f16_e32 v13, v2
	v_lshrrev_b32_e32 v2, 16, v30
	v_cndmask_b32_e32 v1, v1, v22, vcc_lo
	v_cndmask_b32_e64 v0, v0, 4, vcc_lo
	v_cvt_f32_f16_e32 v11, v2
	s_delay_alu instid0(VALU_DEP_3) | instskip(SKIP_3) | instid1(VALU_DEP_2)
	v_cmp_lt_f32_e32 vcc_lo, v1, v21
	v_mul_lo_u32 v2, v6, s4
	v_cndmask_b32_e32 v1, v1, v21, vcc_lo
	v_cndmask_b32_e64 v0, v0, 5, vcc_lo
	v_cmp_lt_f32_e32 vcc_lo, v1, v20
	v_cndmask_b32_e32 v1, v1, v20, vcc_lo
	s_delay_alu instid0(VALU_DEP_3) | instskip(NEXT) | instid1(VALU_DEP_2)
	v_cndmask_b32_e64 v0, v0, 6, vcc_lo
	v_cmp_lt_f32_e32 vcc_lo, v1, v19
	v_cndmask_b32_e32 v1, v1, v19, vcc_lo
	s_delay_alu instid0(VALU_DEP_3) | instskip(NEXT) | instid1(VALU_DEP_2)
	;; [unrolled: 4-line block ×9, first 2 shown]
	v_cndmask_b32_e64 v0, v0, 14, vcc_lo
	v_cmp_lt_f32_e32 vcc_lo, v1, v11
	v_cndmask_b32_e32 v7, v1, v11, vcc_lo
	s_delay_alu instid0(VALU_DEP_3) | instskip(SKIP_1) | instid1(VALU_DEP_3)
	v_cndmask_b32_e64 v27, v0, 15, vcc_lo
	v_mul_lo_u32 v0, v6, s7
	v_sub_f32_e32 v8, v7, v7
	s_delay_alu instid0(VALU_DEP_3) | instskip(SKIP_1) | instid1(VALU_DEP_3)
	v_cmp_le_i32_e32 vcc_lo, s5, v27
	v_cmp_gt_i32_e64 s0, s6, v27
	v_mul_f32_e32 v1, 0x3fb8aa3b, v8
	s_delay_alu instid0(VALU_DEP_2) | instskip(SKIP_1) | instid1(VALU_DEP_2)
	s_and_b32 s0, vcc_lo, s0
	v_cmp_ngt_f32_e32 vcc_lo, 0xc2ce8ed0, v8
	v_fma_f32 v3, 0x3fb8aa3b, v8, -v1
	v_rndne_f32_e32 v30, v1
	s_delay_alu instid0(VALU_DEP_1) | instskip(SKIP_1) | instid1(VALU_DEP_2)
	v_dual_fmac_f32 v3, 0x32a5705f, v8 :: v_dual_sub_f32 v4, v1, v30
	v_ashrrev_i32_e32 v1, 31, v0
	v_add_f32_e32 v29, v4, v3
	v_ashrrev_i32_e32 v3, 31, v2
	s_delay_alu instid0(VALU_DEP_3) | instskip(NEXT) | instid1(VALU_DEP_3)
	v_lshlrev_b64 v[4:5], 2, v[0:1]
	v_exp_f32_e32 v31, v29
	s_delay_alu instid0(VALU_DEP_2) | instskip(SKIP_2) | instid1(VALU_DEP_4)
	v_lshlrev_b64 v[0:1], 2, v[2:3]
	v_ashrrev_i32_e32 v29, 31, v28
	v_cvt_i32_f32_e32 v2, v30
	v_add_co_u32 v4, s1, s2, v4
	s_delay_alu instid0(VALU_DEP_1) | instskip(SKIP_4) | instid1(VALU_DEP_3)
	v_add_co_ci_u32_e64 v5, s1, s3, v5, s1
	s_waitcnt_depctr 0xfff
	v_ldexp_f32 v30, v31, v2
	v_lshlrev_b64 v[2:3], 2, v[28:29]
	v_subrev_nc_u32_e32 v31, s5, v27
	v_cndmask_b32_e32 v30, 0, v30, vcc_lo
	s_delay_alu instid0(VALU_DEP_3) | instskip(NEXT) | instid1(VALU_DEP_4)
	v_add_co_u32 v28, vcc_lo, s8, v2
	v_add_co_ci_u32_e32 v29, vcc_lo, s9, v3, vcc_lo
	s_and_b32 vcc_lo, s18, s0
	s_cmp_eq_u32 s4, 1
	v_cndmask_b32_e32 v32, 16, v31, vcc_lo
	v_cmp_nlt_f32_e32 vcc_lo, 0x42b17218, v8
	v_cndmask_b32_e32 v8, 0x7f800000, v30, vcc_lo
	v_add_co_u32 v30, vcc_lo, s10, v0
	v_add_co_ci_u32_e32 v31, vcc_lo, s11, v1, vcc_lo
	global_store_b32 v[28:29], v32, off
	global_store_b32 v[4:5], v8, off
	;; [unrolled: 1-line block ×3, first 2 shown]
	s_cbranch_scc1 .LBB146_8
; %bb.6:
	v_cmp_ne_u32_e32 vcc_lo, 15, v27
	s_add_i32 s19, s19, s16
	s_delay_alu instid0(SALU_CYCLE_1)
	v_add3_u32 v9, s19, v10, v9
	v_cndmask_b32_e32 v11, 0xff800000, v11, vcc_lo
	v_cmp_ne_u32_e32 vcc_lo, 14, v27
	v_cndmask_b32_e32 v12, 0xff800000, v12, vcc_lo
	v_cmp_ne_u32_e32 vcc_lo, 13, v27
	;; [unrolled: 2-line block ×15, first 2 shown]
	v_cndmask_b32_e32 v26, 0xff800000, v26, vcc_lo
	v_add_co_u32 v0, vcc_lo, v0, s10
	v_add_co_ci_u32_e32 v1, vcc_lo, s11, v1, vcc_lo
	v_add_co_u32 v2, vcc_lo, v2, s8
	v_add_co_ci_u32_e32 v3, vcc_lo, s9, v3, vcc_lo
	s_delay_alu instid0(VALU_DEP_4) | instskip(NEXT) | instid1(VALU_DEP_4)
	v_add_co_u32 v0, vcc_lo, v0, 4
	v_add_co_ci_u32_e32 v1, vcc_lo, 0, v1, vcc_lo
	s_delay_alu instid0(VALU_DEP_4) | instskip(NEXT) | instid1(VALU_DEP_4)
	v_add_co_u32 v2, vcc_lo, v2, 4
	v_add_co_ci_u32_e32 v3, vcc_lo, 0, v3, vcc_lo
	v_add_co_u32 v4, vcc_lo, v4, 4
	v_add_co_ci_u32_e32 v5, vcc_lo, 0, v5, vcc_lo
	s_add_i32 s8, s4, -1
.LBB146_7:                              ; =>This Inner Loop Header: Depth=1
	v_cmp_gt_f32_e32 vcc_lo, v25, v26
	s_add_i32 s8, s8, -1
	v_cndmask_b32_e32 v10, v26, v25, vcc_lo
	v_cndmask_b32_e64 v27, 0, 1, vcc_lo
	s_delay_alu instid0(VALU_DEP_2) | instskip(SKIP_1) | instid1(VALU_DEP_3)
	v_cmp_gt_f32_e32 vcc_lo, v24, v10
	v_cndmask_b32_e32 v10, v10, v24, vcc_lo
	v_cndmask_b32_e64 v27, v27, 2, vcc_lo
	s_delay_alu instid0(VALU_DEP_2) | instskip(SKIP_1) | instid1(VALU_DEP_3)
	v_cmp_gt_f32_e32 vcc_lo, v23, v10
	v_cndmask_b32_e32 v10, v10, v23, vcc_lo
	v_cndmask_b32_e64 v27, v27, 3, vcc_lo
	s_delay_alu instid0(VALU_DEP_2) | instskip(SKIP_1) | instid1(VALU_DEP_3)
	v_cmp_gt_f32_e32 vcc_lo, v22, v10
	v_cndmask_b32_e32 v10, v10, v22, vcc_lo
	v_cndmask_b32_e64 v27, v27, 4, vcc_lo
	s_delay_alu instid0(VALU_DEP_2) | instskip(SKIP_1) | instid1(VALU_DEP_3)
	v_cmp_gt_f32_e32 vcc_lo, v21, v10
	v_cndmask_b32_e32 v10, v10, v21, vcc_lo
	v_cndmask_b32_e64 v27, v27, 5, vcc_lo
	s_delay_alu instid0(VALU_DEP_2) | instskip(SKIP_1) | instid1(VALU_DEP_3)
	v_cmp_gt_f32_e32 vcc_lo, v20, v10
	v_cndmask_b32_e32 v10, v10, v20, vcc_lo
	v_cndmask_b32_e64 v27, v27, 6, vcc_lo
	s_delay_alu instid0(VALU_DEP_2) | instskip(SKIP_1) | instid1(VALU_DEP_3)
	v_cmp_gt_f32_e32 vcc_lo, v19, v10
	v_cndmask_b32_e32 v10, v10, v19, vcc_lo
	v_cndmask_b32_e64 v27, v27, 7, vcc_lo
	s_delay_alu instid0(VALU_DEP_2) | instskip(SKIP_1) | instid1(VALU_DEP_3)
	v_cmp_gt_f32_e32 vcc_lo, v18, v10
	v_cndmask_b32_e32 v10, v10, v18, vcc_lo
	v_cndmask_b32_e64 v27, v27, 8, vcc_lo
	s_delay_alu instid0(VALU_DEP_2) | instskip(SKIP_1) | instid1(VALU_DEP_3)
	v_cmp_gt_f32_e32 vcc_lo, v17, v10
	v_cndmask_b32_e32 v10, v10, v17, vcc_lo
	v_cndmask_b32_e64 v27, v27, 9, vcc_lo
	s_delay_alu instid0(VALU_DEP_2) | instskip(SKIP_1) | instid1(VALU_DEP_3)
	v_cmp_gt_f32_e32 vcc_lo, v16, v10
	v_cndmask_b32_e32 v10, v10, v16, vcc_lo
	v_cndmask_b32_e64 v27, v27, 10, vcc_lo
	s_delay_alu instid0(VALU_DEP_2) | instskip(SKIP_1) | instid1(VALU_DEP_3)
	v_cmp_gt_f32_e32 vcc_lo, v15, v10
	v_cndmask_b32_e32 v10, v10, v15, vcc_lo
	v_cndmask_b32_e64 v27, v27, 11, vcc_lo
	s_delay_alu instid0(VALU_DEP_2) | instskip(SKIP_1) | instid1(VALU_DEP_3)
	v_cmp_gt_f32_e32 vcc_lo, v14, v10
	v_cndmask_b32_e32 v10, v10, v14, vcc_lo
	v_cndmask_b32_e64 v27, v27, 12, vcc_lo
	s_delay_alu instid0(VALU_DEP_2) | instskip(SKIP_1) | instid1(VALU_DEP_3)
	v_cmp_gt_f32_e32 vcc_lo, v13, v10
	v_cndmask_b32_e32 v10, v10, v13, vcc_lo
	v_cndmask_b32_e64 v27, v27, 13, vcc_lo
	s_delay_alu instid0(VALU_DEP_2) | instskip(SKIP_1) | instid1(VALU_DEP_3)
	v_cmp_gt_f32_e32 vcc_lo, v12, v10
	v_cndmask_b32_e32 v10, v10, v12, vcc_lo
	v_cndmask_b32_e64 v27, v27, 14, vcc_lo
	s_delay_alu instid0(VALU_DEP_2) | instskip(NEXT) | instid1(VALU_DEP_2)
	v_cmp_gt_f32_e32 vcc_lo, v11, v10
	v_cndmask_b32_e64 v27, v27, 15, vcc_lo
	v_cndmask_b32_e32 v10, v10, v11, vcc_lo
	s_delay_alu instid0(VALU_DEP_2) | instskip(NEXT) | instid1(VALU_DEP_2)
	v_cmp_ne_u32_e64 s1, 15, v27
	v_sub_f32_e32 v10, v10, v7
	v_cmp_le_i32_e32 vcc_lo, s5, v27
	v_cmp_gt_i32_e64 s0, s6, v27
	v_subrev_nc_u32_e32 v29, s5, v27
	v_cndmask_b32_e64 v11, 0xff800000, v11, s1
	v_cmp_ne_u32_e64 s1, 14, v27
	v_mul_f32_e32 v28, 0x3fb8aa3b, v10
	s_and_b32 s0, vcc_lo, s0
	s_delay_alu instid0(SALU_CYCLE_1) | instskip(NEXT) | instid1(VALU_DEP_2)
	s_and_b32 vcc_lo, s18, s0
	v_cndmask_b32_e64 v12, 0xff800000, v12, s1
	v_cmp_ne_u32_e64 s1, 13, v27
	v_rndne_f32_e32 v30, v28
	v_cndmask_b32_e32 v29, 16, v29, vcc_lo
	global_store_b32 v[2:3], v29, off
	global_store_b32 v[0:1], v9, off
	v_cndmask_b32_e64 v13, 0xff800000, v13, s1
	v_cmp_ne_u32_e64 s1, 12, v27
	v_add_co_u32 v0, vcc_lo, v0, 4
	v_add_co_ci_u32_e32 v1, vcc_lo, 0, v1, vcc_lo
	s_delay_alu instid0(VALU_DEP_3) | instskip(SKIP_3) | instid1(VALU_DEP_3)
	v_cndmask_b32_e64 v14, 0xff800000, v14, s1
	v_cmp_ne_u32_e64 s1, 11, v27
	v_add_co_u32 v2, vcc_lo, v2, 4
	v_add_co_ci_u32_e32 v3, vcc_lo, 0, v3, vcc_lo
	v_cndmask_b32_e64 v15, 0xff800000, v15, s1
	v_cmp_ne_u32_e64 s1, 10, v27
	v_cmp_ngt_f32_e32 vcc_lo, 0xc2ce8ed0, v10
	v_add_nc_u32_e32 v9, s16, v9
	s_cmp_eq_u32 s8, 0
	s_delay_alu instid0(VALU_DEP_3) | instskip(SKIP_1) | instid1(VALU_DEP_1)
	v_cndmask_b32_e64 v16, 0xff800000, v16, s1
	v_cmp_ne_u32_e64 s1, 9, v27
	v_cndmask_b32_e64 v17, 0xff800000, v17, s1
	v_cmp_ne_u32_e64 s1, 8, v27
	s_delay_alu instid0(VALU_DEP_1) | instskip(SKIP_1) | instid1(VALU_DEP_1)
	v_cndmask_b32_e64 v18, 0xff800000, v18, s1
	v_cmp_ne_u32_e64 s1, 7, v27
	v_cndmask_b32_e64 v19, 0xff800000, v19, s1
	v_cmp_ne_u32_e64 s1, 6, v27
	s_delay_alu instid0(VALU_DEP_1) | instskip(SKIP_1) | instid1(VALU_DEP_1)
	;; [unrolled: 5-line block ×4, first 2 shown]
	v_cndmask_b32_e64 v24, 0xff800000, v24, s1
	v_cmp_ne_u32_e64 s1, 1, v27
	v_cndmask_b32_e64 v25, 0xff800000, v25, s1
	v_cmp_ne_u32_e64 s1, 0, v27
	v_fma_f32 v27, 0x3fb8aa3b, v10, -v28
	v_sub_f32_e32 v28, v28, v30
	v_cvt_i32_f32_e32 v30, v30
	s_delay_alu instid0(VALU_DEP_4) | instskip(NEXT) | instid1(VALU_DEP_4)
	v_cndmask_b32_e64 v26, 0xff800000, v26, s1
	v_fmac_f32_e32 v27, 0x32a5705f, v10
	s_delay_alu instid0(VALU_DEP_1) | instskip(NEXT) | instid1(VALU_DEP_1)
	v_add_f32_e32 v27, v28, v27
	v_exp_f32_e32 v27, v27
	s_waitcnt_depctr 0xfff
	v_ldexp_f32 v27, v27, v30
	s_delay_alu instid0(VALU_DEP_1) | instskip(SKIP_1) | instid1(VALU_DEP_2)
	v_cndmask_b32_e32 v27, 0, v27, vcc_lo
	v_cmp_nlt_f32_e32 vcc_lo, 0x42b17218, v10
	v_cndmask_b32_e32 v10, 0x7f800000, v27, vcc_lo
	global_store_b32 v[4:5], v10, off
	v_add_co_u32 v4, vcc_lo, v4, 4
	v_add_f32_e32 v8, v8, v10
	v_add_co_ci_u32_e32 v5, vcc_lo, 0, v5, vcc_lo
	s_cbranch_scc0 .LBB146_7
.LBB146_8:
	s_delay_alu instid0(VALU_DEP_2)
	v_cmp_neq_f32_e32 vcc_lo, 0, v8
	s_and_b32 exec_lo, exec_lo, vcc_lo
	s_cbranch_execnz .LBB146_10
	s_branch .LBB146_13
.LBB146_9:
	v_mov_b32_e32 v8, 0
	s_delay_alu instid0(VALU_DEP_1)
	v_cmp_neq_f32_e32 vcc_lo, 0, v8
	s_and_b32 exec_lo, exec_lo, vcc_lo
	s_cbranch_execz .LBB146_13
.LBB146_10:
	s_and_not1_b32 vcc_lo, exec_lo, s17
	s_cbranch_vccnz .LBB146_13
; %bb.11:
	v_div_scale_f32 v1, null, v8, v8, 1.0
	v_div_scale_f32 v3, vcc_lo, 1.0, v8, 1.0
	s_delay_alu instid0(VALU_DEP_2) | instskip(SKIP_2) | instid1(VALU_DEP_1)
	v_rcp_f32_e32 v2, v1
	s_waitcnt_depctr 0xfff
	v_fma_f32 v0, -v1, v2, 1.0
	v_fmac_f32_e32 v2, v0, v2
	v_mul_lo_u32 v0, v6, s7
	s_delay_alu instid0(VALU_DEP_2) | instskip(NEXT) | instid1(VALU_DEP_1)
	v_mul_f32_e32 v4, v3, v2
	v_fma_f32 v5, -v1, v4, v3
	s_delay_alu instid0(VALU_DEP_1) | instskip(NEXT) | instid1(VALU_DEP_1)
	v_fmac_f32_e32 v4, v5, v2
	v_fma_f32 v3, -v1, v4, v3
	v_ashrrev_i32_e32 v1, 31, v0
	s_delay_alu instid0(VALU_DEP_2) | instskip(NEXT) | instid1(VALU_DEP_2)
	v_div_fmas_f32 v2, v3, v2, v4
	v_lshlrev_b64 v[0:1], 2, v[0:1]
	s_delay_alu instid0(VALU_DEP_2) | instskip(NEXT) | instid1(VALU_DEP_2)
	v_div_fixup_f32 v2, v2, v8, 1.0
	v_add_co_u32 v0, vcc_lo, s2, v0
	s_delay_alu instid0(VALU_DEP_3)
	v_add_co_ci_u32_e32 v1, vcc_lo, s3, v1, vcc_lo
.LBB146_12:                             ; =>This Inner Loop Header: Depth=1
	global_load_b32 v3, v[0:1], off
	s_add_i32 s4, s4, -1
	s_delay_alu instid0(SALU_CYCLE_1)
	s_cmp_lg_u32 s4, 0
	s_waitcnt vmcnt(0)
	v_mul_f32_e32 v3, v2, v3
	global_store_b32 v[0:1], v3, off
	v_add_co_u32 v0, vcc_lo, v0, 4
	v_add_co_ci_u32_e32 v1, vcc_lo, 0, v1, vcc_lo
	s_cbranch_scc1 .LBB146_12
.LBB146_13:
	s_nop 0
	s_sendmsg sendmsg(MSG_DEALLOC_VGPRS)
	s_endpgm
	.section	.rodata,"a",@progbits
	.p2align	6, 0x0
	.amdhsa_kernel _ZN4vllm3moe17topkGatingSoftmaxIDF16_Li16ELi16ELi8ELi32ELb1ELi0ELNS0_23SharedExpertScoringFuncE0EEEvPKT_PKbPfiPiS9_iiiiii
		.amdhsa_group_segment_fixed_size 0
		.amdhsa_private_segment_fixed_size 0
		.amdhsa_kernarg_size 72
		.amdhsa_user_sgpr_count 15
		.amdhsa_user_sgpr_dispatch_ptr 0
		.amdhsa_user_sgpr_queue_ptr 0
		.amdhsa_user_sgpr_kernarg_segment_ptr 1
		.amdhsa_user_sgpr_dispatch_id 0
		.amdhsa_user_sgpr_private_segment_size 0
		.amdhsa_wavefront_size32 1
		.amdhsa_uses_dynamic_stack 0
		.amdhsa_enable_private_segment 0
		.amdhsa_system_sgpr_workgroup_id_x 1
		.amdhsa_system_sgpr_workgroup_id_y 0
		.amdhsa_system_sgpr_workgroup_id_z 0
		.amdhsa_system_sgpr_workgroup_info 0
		.amdhsa_system_vgpr_workitem_id 1
		.amdhsa_next_free_vgpr 33
		.amdhsa_next_free_sgpr 20
		.amdhsa_reserve_vcc 1
		.amdhsa_float_round_mode_32 0
		.amdhsa_float_round_mode_16_64 0
		.amdhsa_float_denorm_mode_32 3
		.amdhsa_float_denorm_mode_16_64 3
		.amdhsa_dx10_clamp 1
		.amdhsa_ieee_mode 1
		.amdhsa_fp16_overflow 0
		.amdhsa_workgroup_processor_mode 1
		.amdhsa_memory_ordered 1
		.amdhsa_forward_progress 0
		.amdhsa_shared_vgpr_count 0
		.amdhsa_exception_fp_ieee_invalid_op 0
		.amdhsa_exception_fp_denorm_src 0
		.amdhsa_exception_fp_ieee_div_zero 0
		.amdhsa_exception_fp_ieee_overflow 0
		.amdhsa_exception_fp_ieee_underflow 0
		.amdhsa_exception_fp_ieee_inexact 0
		.amdhsa_exception_int_div_zero 0
	.end_amdhsa_kernel
	.section	.text._ZN4vllm3moe17topkGatingSoftmaxIDF16_Li16ELi16ELi8ELi32ELb1ELi0ELNS0_23SharedExpertScoringFuncE0EEEvPKT_PKbPfiPiS9_iiiiii,"axG",@progbits,_ZN4vllm3moe17topkGatingSoftmaxIDF16_Li16ELi16ELi8ELi32ELb1ELi0ELNS0_23SharedExpertScoringFuncE0EEEvPKT_PKbPfiPiS9_iiiiii,comdat
.Lfunc_end146:
	.size	_ZN4vllm3moe17topkGatingSoftmaxIDF16_Li16ELi16ELi8ELi32ELb1ELi0ELNS0_23SharedExpertScoringFuncE0EEEvPKT_PKbPfiPiS9_iiiiii, .Lfunc_end146-_ZN4vllm3moe17topkGatingSoftmaxIDF16_Li16ELi16ELi8ELi32ELb1ELi0ELNS0_23SharedExpertScoringFuncE0EEEvPKT_PKbPfiPiS9_iiiiii
                                        ; -- End function
	.section	.AMDGPU.csdata,"",@progbits
; Kernel info:
; codeLenInByte = 2336
; NumSgprs: 22
; NumVgprs: 33
; ScratchSize: 0
; MemoryBound: 0
; FloatMode: 240
; IeeeMode: 1
; LDSByteSize: 0 bytes/workgroup (compile time only)
; SGPRBlocks: 2
; VGPRBlocks: 4
; NumSGPRsForWavesPerEU: 22
; NumVGPRsForWavesPerEU: 33
; Occupancy: 16
; WaveLimiterHint : 0
; COMPUTE_PGM_RSRC2:SCRATCH_EN: 0
; COMPUTE_PGM_RSRC2:USER_SGPR: 15
; COMPUTE_PGM_RSRC2:TRAP_HANDLER: 0
; COMPUTE_PGM_RSRC2:TGID_X_EN: 1
; COMPUTE_PGM_RSRC2:TGID_Y_EN: 0
; COMPUTE_PGM_RSRC2:TGID_Z_EN: 0
; COMPUTE_PGM_RSRC2:TIDIG_COMP_CNT: 1
	.section	.text._ZN4vllm3moe17topkGatingSoftmaxIDF16_Li16ELi16ELi8ELi32ELb0ELi0ELNS0_23SharedExpertScoringFuncE0EEEvPKT_PKbPfiPiS9_iiiiii,"axG",@progbits,_ZN4vllm3moe17topkGatingSoftmaxIDF16_Li16ELi16ELi8ELi32ELb0ELi0ELNS0_23SharedExpertScoringFuncE0EEEvPKT_PKbPfiPiS9_iiiiii,comdat
	.protected	_ZN4vllm3moe17topkGatingSoftmaxIDF16_Li16ELi16ELi8ELi32ELb0ELi0ELNS0_23SharedExpertScoringFuncE0EEEvPKT_PKbPfiPiS9_iiiiii ; -- Begin function _ZN4vllm3moe17topkGatingSoftmaxIDF16_Li16ELi16ELi8ELi32ELb0ELi0ELNS0_23SharedExpertScoringFuncE0EEEvPKT_PKbPfiPiS9_iiiiii
	.globl	_ZN4vllm3moe17topkGatingSoftmaxIDF16_Li16ELi16ELi8ELi32ELb0ELi0ELNS0_23SharedExpertScoringFuncE0EEEvPKT_PKbPfiPiS9_iiiiii
	.p2align	8
	.type	_ZN4vllm3moe17topkGatingSoftmaxIDF16_Li16ELi16ELi8ELi32ELb0ELi0ELNS0_23SharedExpertScoringFuncE0EEEvPKT_PKbPfiPiS9_iiiiii,@function
_ZN4vllm3moe17topkGatingSoftmaxIDF16_Li16ELi16ELi8ELi32ELb0ELi0ELNS0_23SharedExpertScoringFuncE0EEEvPKT_PKbPfiPiS9_iiiiii: ; @_ZN4vllm3moe17topkGatingSoftmaxIDF16_Li16ELi16ELi8ELi32ELb0ELi0ELNS0_23SharedExpertScoringFuncE0EEEvPKT_PKbPfiPiS9_iiiiii
; %bb.0:
	s_load_b32 s24, s[0:1], 0x18
	v_bfe_u32 v1, v0, 10, 10
	v_and_b32_e32 v26, 0x3ff, v0
	s_lshl_b32 s26, s15, 8
	s_mov_b32 s2, exec_lo
	s_delay_alu instid0(VALU_DEP_2) | instskip(NEXT) | instid1(VALU_DEP_1)
	v_lshlrev_b32_e32 v25, 5, v1
	v_add3_u32 v6, v25, v26, s26
	s_waitcnt lgkmcnt(0)
	s_delay_alu instid0(VALU_DEP_1)
	v_cmpx_gt_i32_e64 s24, v6
	s_cbranch_execz .LBB147_13
; %bb.1:
	s_clause 0x1
	s_load_b128 s[4:7], s[0:1], 0x0
	s_load_b64 s[20:21], s[0:1], 0x10
	s_waitcnt lgkmcnt(0)
	s_cmp_eq_u64 s[6:7], 0
	s_cbranch_scc1 .LBB147_3
; %bb.2:
	v_ashrrev_i32_e32 v1, 31, v6
	v_add_co_u32 v0, vcc_lo, s6, v6
	s_delay_alu instid0(VALU_DEP_2) | instskip(SKIP_3) | instid1(VALU_DEP_1)
	v_add_co_ci_u32_e32 v1, vcc_lo, s7, v1, vcc_lo
	global_load_u8 v0, v[0:1], off
	s_waitcnt vmcnt(0)
	v_and_b32_e32 v0, 1, v0
	v_cmp_eq_u32_e32 vcc_lo, 1, v0
	s_xor_b32 s2, vcc_lo, -1
	s_delay_alu instid0(SALU_CYCLE_1)
	s_or_not1_b32 s25, s2, exec_lo
	s_branch .LBB147_4
.LBB147_3:
	s_mov_b32 s25, -1
.LBB147_4:
	s_clause 0x1
	s_load_b64 s[22:23], s[0:1], 0x40
	s_load_b128 s[16:19], s[0:1], 0x30
	s_waitcnt lgkmcnt(0)
	v_mul_lo_u32 v0, v6, s23
	s_cmp_gt_i32 s16, 0
	s_cselect_b32 s23, -1, 0
	s_cmp_lt_i32 s16, 1
	s_delay_alu instid0(VALU_DEP_1) | instskip(NEXT) | instid1(VALU_DEP_1)
	v_ashrrev_i32_e32 v1, 31, v0
	v_lshlrev_b64 v[0:1], 1, v[0:1]
	s_delay_alu instid0(VALU_DEP_1) | instskip(NEXT) | instid1(VALU_DEP_2)
	v_add_co_u32 v4, vcc_lo, s4, v0
	v_add_co_ci_u32_e32 v5, vcc_lo, s5, v1, vcc_lo
	s_clause 0x1
	global_load_b128 v[0:3], v[4:5], off
	global_load_b128 v[27:30], v[4:5], off offset:16
	s_waitcnt vmcnt(1)
	v_lshrrev_b32_e32 v4, 16, v0
	v_cvt_f32_f16_e32 v24, v0
	v_cvt_f32_f16_e32 v21, v1
	v_lshrrev_b32_e32 v1, 16, v1
	v_cvt_f32_f16_e32 v20, v2
	v_cvt_f32_f16_e32 v23, v4
	v_cmp_lt_f16_e64 s10, v0, v4
	v_cvt_f32_f16_e32 v18, v3
	v_cvt_f32_f16_e32 v22, v1
	v_lshrrev_b32_e32 v1, 16, v2
	s_waitcnt vmcnt(0)
	v_cvt_f32_f16_e32 v16, v27
	v_cndmask_b32_e64 v0, v24, v23, s10
	v_cvt_f32_f16_e32 v14, v28
	v_cvt_f32_f16_e32 v11, v29
	;; [unrolled: 1-line block ×3, first 2 shown]
	v_lshrrev_b32_e32 v1, 16, v3
	v_cmp_lt_f32_e64 s11, v0, v21
	v_cvt_f32_f16_e32 v9, v30
	s_delay_alu instid0(VALU_DEP_3) | instskip(NEXT) | instid1(VALU_DEP_3)
	v_cvt_f32_f16_e32 v17, v1
	v_cndmask_b32_e64 v0, v0, v21, s11
	v_lshrrev_b32_e32 v1, 16, v27
	s_delay_alu instid0(VALU_DEP_2) | instskip(NEXT) | instid1(VALU_DEP_2)
	v_cmp_lt_f32_e64 s12, v0, v22
	v_cvt_f32_f16_e32 v15, v1
	v_lshrrev_b32_e32 v1, 16, v28
	s_delay_alu instid0(VALU_DEP_3) | instskip(NEXT) | instid1(VALU_DEP_2)
	v_cndmask_b32_e64 v0, v0, v22, s12
	v_cvt_f32_f16_e32 v13, v1
	v_lshrrev_b32_e32 v1, 16, v29
	s_delay_alu instid0(VALU_DEP_3) | instskip(NEXT) | instid1(VALU_DEP_2)
	v_cmp_lt_f32_e64 s13, v0, v20
	v_cvt_f32_f16_e32 v10, v1
	v_lshrrev_b32_e32 v1, 16, v30
	s_delay_alu instid0(VALU_DEP_3) | instskip(NEXT) | instid1(VALU_DEP_2)
	v_cndmask_b32_e64 v0, v0, v20, s13
	v_cvt_f32_f16_e32 v7, v1
	s_delay_alu instid0(VALU_DEP_2) | instskip(NEXT) | instid1(VALU_DEP_1)
	v_cmp_lt_f32_e64 s14, v0, v19
	v_cndmask_b32_e64 v0, v0, v19, s14
	s_delay_alu instid0(VALU_DEP_1) | instskip(NEXT) | instid1(VALU_DEP_1)
	v_cmp_lt_f32_e64 s15, v0, v18
	v_cndmask_b32_e64 v0, v0, v18, s15
	s_delay_alu instid0(VALU_DEP_1) | instskip(NEXT) | instid1(VALU_DEP_1)
	;; [unrolled: 3-line block ×8, first 2 shown]
	v_cmp_lt_f32_e64 s3, v0, v10
	v_cndmask_b32_e64 v0, v0, v10, s3
	s_delay_alu instid0(VALU_DEP_1) | instskip(SKIP_1) | instid1(VALU_DEP_1)
	v_cmp_lt_f32_e32 vcc_lo, v0, v9
	v_cndmask_b32_e32 v0, v0, v9, vcc_lo
	v_cmp_lt_f32_e64 s2, v0, v7
	s_delay_alu instid0(VALU_DEP_1)
	v_cndmask_b32_e64 v8, v0, v7, s2
	s_cbranch_scc1 .LBB147_8
; %bb.5:
	v_cndmask_b32_e64 v0, 0, 1, s10
	s_delay_alu instid0(VALU_DEP_2) | instskip(SKIP_1) | instid1(VALU_DEP_3)
	v_sub_f32_e32 v12, v8, v8
	v_mul_lo_u32 v4, v6, s16
	v_cndmask_b32_e64 v0, v0, 2, s11
	s_delay_alu instid0(VALU_DEP_3) | instskip(NEXT) | instid1(VALU_DEP_2)
	v_mul_f32_e32 v1, 0x3fb8aa3b, v12
	v_cndmask_b32_e64 v0, v0, 3, s12
	s_delay_alu instid0(VALU_DEP_2) | instskip(SKIP_1) | instid1(VALU_DEP_3)
	v_rndne_f32_e32 v29, v1
	v_fma_f32 v3, 0x3fb8aa3b, v12, -v1
	v_cndmask_b32_e64 v0, v0, 4, s13
	s_delay_alu instid0(VALU_DEP_3) | instskip(NEXT) | instid1(VALU_DEP_3)
	v_sub_f32_e32 v1, v1, v29
	v_fmac_f32_e32 v3, 0x32a5705f, v12
	v_cvt_i32_f32_e32 v29, v29
	s_delay_alu instid0(VALU_DEP_4) | instskip(NEXT) | instid1(VALU_DEP_3)
	v_cndmask_b32_e64 v0, v0, 5, s14
	v_add_f32_e32 v27, v1, v3
	s_delay_alu instid0(VALU_DEP_2) | instskip(NEXT) | instid1(VALU_DEP_2)
	v_cndmask_b32_e64 v0, v0, 6, s15
	v_exp_f32_e32 v30, v27
	s_delay_alu instid0(VALU_DEP_1) | instskip(NEXT) | instid1(VALU_DEP_1)
	v_cndmask_b32_e64 v0, v0, 7, s7
	v_cndmask_b32_e64 v2, v0, 8, s9
	v_mul_lo_u32 v0, v6, s19
	s_waitcnt_depctr 0xfff
	v_ldexp_f32 v29, v30, v29
	v_cndmask_b32_e64 v5, v2, 9, s8
	s_load_b128 s[8:11], s[0:1], 0x20
	v_mul_lo_u32 v2, v6, s22
	v_ashrrev_i32_e32 v1, 31, v0
	s_delay_alu instid0(VALU_DEP_3) | instskip(NEXT) | instid1(VALU_DEP_3)
	v_cndmask_b32_e64 v5, v5, 10, s5
	v_ashrrev_i32_e32 v3, 31, v2
	s_delay_alu instid0(VALU_DEP_2) | instskip(SKIP_1) | instid1(VALU_DEP_2)
	v_cndmask_b32_e64 v28, v5, 11, s6
	v_ashrrev_i32_e32 v5, 31, v4
	v_cndmask_b32_e64 v31, v28, 12, s4
	v_lshlrev_b64 v[27:28], 2, v[0:1]
	v_lshlrev_b64 v[0:1], 2, v[2:3]
	s_delay_alu instid0(VALU_DEP_4) | instskip(NEXT) | instid1(VALU_DEP_4)
	v_lshlrev_b64 v[2:3], 2, v[4:5]
	v_cndmask_b32_e64 v31, v31, 13, s3
	s_delay_alu instid0(VALU_DEP_4) | instskip(NEXT) | instid1(VALU_DEP_1)
	v_add_co_u32 v4, s0, s20, v27
	v_add_co_ci_u32_e64 v5, s0, s21, v28, s0
	s_delay_alu instid0(VALU_DEP_3) | instskip(SKIP_3) | instid1(VALU_DEP_3)
	v_cndmask_b32_e64 v30, v31, 14, vcc_lo
	s_waitcnt lgkmcnt(0)
	v_add_co_u32 v27, vcc_lo, s8, v0
	v_add_co_ci_u32_e32 v28, vcc_lo, s9, v1, vcc_lo
	v_cndmask_b32_e64 v32, v30, 15, s2
	v_cmp_ngt_f32_e32 vcc_lo, 0xc2ce8ed0, v12
	s_delay_alu instid0(VALU_DEP_2) | instskip(SKIP_3) | instid1(VALU_DEP_4)
	v_cmp_ne_u32_e64 s1, 15, v32
	v_cndmask_b32_e32 v31, 0, v29, vcc_lo
	v_add_co_u32 v29, vcc_lo, s10, v2
	v_add_co_ci_u32_e32 v30, vcc_lo, s11, v3, vcc_lo
	v_cndmask_b32_e64 v7, 0xff800000, v7, s1
	v_cmp_ne_u32_e64 s1, 14, v32
	v_cmp_nlt_f32_e32 vcc_lo, 0x42b17218, v12
	v_cmp_gt_i32_e64 s0, s18, v32
	s_delay_alu instid0(VALU_DEP_3) | instskip(SKIP_4) | instid1(VALU_DEP_4)
	v_cndmask_b32_e64 v9, 0xff800000, v9, s1
	v_cmp_ne_u32_e64 s1, 13, v32
	v_cndmask_b32_e32 v12, 0x7f800000, v31, vcc_lo
	v_cmp_le_i32_e32 vcc_lo, s17, v32
	v_subrev_nc_u32_e32 v31, s17, v32
	v_cndmask_b32_e64 v10, 0xff800000, v10, s1
	v_cmp_ne_u32_e64 s1, 12, v32
	s_and_b32 s0, vcc_lo, s0
	v_cmp_ne_u32_e32 vcc_lo, 3, v32
	global_store_b32 v[4:5], v12, off
	v_cndmask_b32_e64 v11, 0xff800000, v11, s1
	v_cmp_ne_u32_e64 s1, 11, v32
	v_cndmask_b32_e32 v22, 0xff800000, v22, vcc_lo
	s_and_b32 vcc_lo, s25, s0
	s_cmp_eq_u32 s16, 1
	v_cndmask_b32_e32 v31, 16, v31, vcc_lo
	v_cndmask_b32_e64 v13, 0xff800000, v13, s1
	v_cmp_ne_u32_e64 s1, 10, v32
	v_cmp_ne_u32_e32 vcc_lo, 2, v32
	global_store_b32 v[27:28], v31, off
	global_store_b32 v[29:30], v6, off
	v_cndmask_b32_e64 v14, 0xff800000, v14, s1
	v_cmp_ne_u32_e64 s1, 9, v32
	v_cndmask_b32_e32 v21, 0xff800000, v21, vcc_lo
	v_cmp_ne_u32_e32 vcc_lo, 1, v32
	s_delay_alu instid0(VALU_DEP_3) | instskip(SKIP_3) | instid1(VALU_DEP_3)
	v_cndmask_b32_e64 v15, 0xff800000, v15, s1
	v_cmp_ne_u32_e64 s1, 8, v32
	v_cndmask_b32_e32 v23, 0xff800000, v23, vcc_lo
	v_cmp_ne_u32_e32 vcc_lo, 0, v32
	v_cndmask_b32_e64 v16, 0xff800000, v16, s1
	v_cmp_ne_u32_e64 s1, 7, v32
	v_cndmask_b32_e32 v24, 0xff800000, v24, vcc_lo
	s_delay_alu instid0(VALU_DEP_2) | instskip(SKIP_1) | instid1(VALU_DEP_1)
	v_cndmask_b32_e64 v17, 0xff800000, v17, s1
	v_cmp_ne_u32_e64 s1, 6, v32
	v_cndmask_b32_e64 v18, 0xff800000, v18, s1
	v_cmp_ne_u32_e64 s1, 5, v32
	s_delay_alu instid0(VALU_DEP_1) | instskip(SKIP_1) | instid1(VALU_DEP_1)
	v_cndmask_b32_e64 v19, 0xff800000, v19, s1
	v_cmp_ne_u32_e64 s1, 4, v32
	v_cndmask_b32_e64 v20, 0xff800000, v20, s1
	s_cbranch_scc1 .LBB147_9
; %bb.6:
	v_add_co_u32 v2, vcc_lo, v2, s10
	v_add_co_ci_u32_e32 v3, vcc_lo, s11, v3, vcc_lo
	v_add_co_u32 v27, vcc_lo, v0, s8
	v_add_co_ci_u32_e32 v28, vcc_lo, s9, v1, vcc_lo
	s_delay_alu instid0(VALU_DEP_4) | instskip(NEXT) | instid1(VALU_DEP_4)
	v_add_co_u32 v0, vcc_lo, v2, 4
	v_add_co_ci_u32_e32 v1, vcc_lo, 0, v3, vcc_lo
	s_delay_alu instid0(VALU_DEP_4) | instskip(NEXT) | instid1(VALU_DEP_4)
	v_add_co_u32 v2, vcc_lo, v27, 4
	v_add_co_ci_u32_e32 v3, vcc_lo, 0, v28, vcc_lo
	s_add_i32 s26, s26, s24
	v_add_co_u32 v4, vcc_lo, v4, 4
	v_add_co_ci_u32_e32 v5, vcc_lo, 0, v5, vcc_lo
	v_add3_u32 v25, s26, v26, v25
	s_add_i32 s2, s16, -1
.LBB147_7:                              ; =>This Inner Loop Header: Depth=1
	v_cmp_gt_f32_e32 vcc_lo, v23, v24
	s_add_i32 s2, s2, -1
	v_cndmask_b32_e32 v26, v24, v23, vcc_lo
	v_cndmask_b32_e64 v27, 0, 1, vcc_lo
	s_delay_alu instid0(VALU_DEP_2) | instskip(SKIP_1) | instid1(VALU_DEP_3)
	v_cmp_gt_f32_e32 vcc_lo, v21, v26
	v_cndmask_b32_e32 v26, v26, v21, vcc_lo
	v_cndmask_b32_e64 v27, v27, 2, vcc_lo
	s_delay_alu instid0(VALU_DEP_2) | instskip(SKIP_1) | instid1(VALU_DEP_3)
	v_cmp_gt_f32_e32 vcc_lo, v22, v26
	;; [unrolled: 4-line block ×13, first 2 shown]
	v_cndmask_b32_e32 v26, v26, v9, vcc_lo
	v_cndmask_b32_e64 v27, v27, 14, vcc_lo
	s_delay_alu instid0(VALU_DEP_2) | instskip(NEXT) | instid1(VALU_DEP_2)
	v_cmp_gt_f32_e32 vcc_lo, v7, v26
	v_cndmask_b32_e64 v27, v27, 15, vcc_lo
	v_cndmask_b32_e32 v26, v26, v7, vcc_lo
	s_delay_alu instid0(VALU_DEP_2) | instskip(NEXT) | instid1(VALU_DEP_2)
	v_cmp_ne_u32_e64 s1, 15, v27
	v_sub_f32_e32 v26, v26, v8
	v_cmp_le_i32_e32 vcc_lo, s17, v27
	v_cmp_gt_i32_e64 s0, s18, v27
	v_subrev_nc_u32_e32 v29, s17, v27
	v_cndmask_b32_e64 v7, 0xff800000, v7, s1
	v_cmp_ne_u32_e64 s1, 14, v27
	v_mul_f32_e32 v28, 0x3fb8aa3b, v26
	s_and_b32 s0, vcc_lo, s0
	s_delay_alu instid0(SALU_CYCLE_1) | instskip(NEXT) | instid1(VALU_DEP_2)
	s_and_b32 vcc_lo, s25, s0
	v_cndmask_b32_e64 v9, 0xff800000, v9, s1
	v_cmp_ne_u32_e64 s1, 13, v27
	v_rndne_f32_e32 v30, v28
	v_cndmask_b32_e32 v29, 16, v29, vcc_lo
	global_store_b32 v[2:3], v29, off
	global_store_b32 v[0:1], v25, off
	v_cndmask_b32_e64 v10, 0xff800000, v10, s1
	v_cmp_ne_u32_e64 s1, 12, v27
	v_add_co_u32 v0, vcc_lo, v0, 4
	v_add_co_ci_u32_e32 v1, vcc_lo, 0, v1, vcc_lo
	s_delay_alu instid0(VALU_DEP_3) | instskip(SKIP_3) | instid1(VALU_DEP_3)
	v_cndmask_b32_e64 v11, 0xff800000, v11, s1
	v_cmp_ne_u32_e64 s1, 11, v27
	v_add_co_u32 v2, vcc_lo, v2, 4
	v_add_co_ci_u32_e32 v3, vcc_lo, 0, v3, vcc_lo
	v_cndmask_b32_e64 v13, 0xff800000, v13, s1
	v_cmp_ne_u32_e64 s1, 10, v27
	v_cmp_ngt_f32_e32 vcc_lo, 0xc2ce8ed0, v26
	v_add_nc_u32_e32 v25, s24, v25
	s_cmp_eq_u32 s2, 0
	s_delay_alu instid0(VALU_DEP_3) | instskip(SKIP_1) | instid1(VALU_DEP_1)
	v_cndmask_b32_e64 v14, 0xff800000, v14, s1
	v_cmp_ne_u32_e64 s1, 9, v27
	v_cndmask_b32_e64 v15, 0xff800000, v15, s1
	v_cmp_ne_u32_e64 s1, 8, v27
	s_delay_alu instid0(VALU_DEP_1) | instskip(SKIP_1) | instid1(VALU_DEP_1)
	v_cndmask_b32_e64 v16, 0xff800000, v16, s1
	v_cmp_ne_u32_e64 s1, 7, v27
	v_cndmask_b32_e64 v17, 0xff800000, v17, s1
	v_cmp_ne_u32_e64 s1, 6, v27
	s_delay_alu instid0(VALU_DEP_1) | instskip(SKIP_1) | instid1(VALU_DEP_1)
	;; [unrolled: 5-line block ×4, first 2 shown]
	v_cndmask_b32_e64 v21, 0xff800000, v21, s1
	v_cmp_ne_u32_e64 s1, 1, v27
	v_cndmask_b32_e64 v23, 0xff800000, v23, s1
	v_cmp_ne_u32_e64 s1, 0, v27
	v_fma_f32 v27, 0x3fb8aa3b, v26, -v28
	v_sub_f32_e32 v28, v28, v30
	v_cvt_i32_f32_e32 v30, v30
	s_delay_alu instid0(VALU_DEP_4) | instskip(NEXT) | instid1(VALU_DEP_4)
	v_cndmask_b32_e64 v24, 0xff800000, v24, s1
	v_fmac_f32_e32 v27, 0x32a5705f, v26
	s_delay_alu instid0(VALU_DEP_1) | instskip(NEXT) | instid1(VALU_DEP_1)
	v_add_f32_e32 v27, v28, v27
	v_exp_f32_e32 v27, v27
	s_waitcnt_depctr 0xfff
	v_ldexp_f32 v27, v27, v30
	s_delay_alu instid0(VALU_DEP_1) | instskip(SKIP_1) | instid1(VALU_DEP_2)
	v_cndmask_b32_e32 v27, 0, v27, vcc_lo
	v_cmp_nlt_f32_e32 vcc_lo, 0x42b17218, v26
	v_cndmask_b32_e32 v26, 0x7f800000, v27, vcc_lo
	global_store_b32 v[4:5], v26, off
	v_add_co_u32 v4, vcc_lo, v4, 4
	v_add_f32_e32 v12, v12, v26
	v_add_co_ci_u32_e32 v5, vcc_lo, 0, v5, vcc_lo
	s_cbranch_scc0 .LBB147_7
	s_branch .LBB147_9
.LBB147_8:
	v_mov_b32_e32 v12, 0
.LBB147_9:
	s_delay_alu instid0(VALU_DEP_2) | instskip(SKIP_4) | instid1(VALU_DEP_4)
	v_sub_f32_e32 v3, v21, v8
	v_sub_f32_e32 v0, v24, v8
	;; [unrolled: 1-line block ×5, first 2 shown]
	v_dual_mul_f32 v25, 0x3fb8aa3b, v3 :: v_dual_mul_f32 v2, 0x3fb8aa3b, v0
	v_cmp_ngt_f32_e32 vcc_lo, 0xc2ce8ed0, v0
	v_sub_f32_e32 v19, v19, v8
	v_sub_f32_e32 v17, v17, v8
	;; [unrolled: 1-line block ×3, first 2 shown]
	v_rndne_f32_e32 v22, v2
	v_sub_f32_e32 v1, v23, v8
	v_fma_f32 v21, 0x3fb8aa3b, v0, -v2
	v_sub_f32_e32 v10, v10, v8
	s_delay_alu instid0(VALU_DEP_4) | instskip(NEXT) | instid1(VALU_DEP_4)
	v_sub_f32_e32 v2, v2, v22
	v_mul_f32_e32 v4, 0x3fb8aa3b, v1
	v_cvt_i32_f32_e32 v22, v22
	s_delay_alu instid0(VALU_DEP_2) | instskip(SKIP_1) | instid1(VALU_DEP_2)
	v_fma_f32 v23, 0x3fb8aa3b, v1, -v4
	v_rndne_f32_e32 v24, v4
	v_dual_sub_f32 v20, v20, v8 :: v_dual_fmac_f32 v23, 0x32a5705f, v1
	s_delay_alu instid0(VALU_DEP_2) | instskip(NEXT) | instid1(VALU_DEP_2)
	v_sub_f32_e32 v4, v4, v24
	v_mul_f32_e32 v27, 0x3fb8aa3b, v20
	v_cvt_i32_f32_e32 v24, v24
	s_delay_alu instid0(VALU_DEP_3) | instskip(SKIP_2) | instid1(VALU_DEP_3)
	v_add_f32_e32 v4, v4, v23
	v_mul_f32_e32 v26, 0x3fb8aa3b, v5
	v_rndne_f32_e32 v23, v25
	v_exp_f32_e32 v4, v4
	s_delay_alu instid0(VALU_DEP_2) | instskip(SKIP_2) | instid1(VALU_DEP_3)
	v_fma_f32 v28, 0x3fb8aa3b, v5, -v26
	v_fmac_f32_e32 v21, 0x32a5705f, v0
	v_rndne_f32_e32 v29, v26
	v_fmac_f32_e32 v28, 0x32a5705f, v5
	s_delay_alu instid0(VALU_DEP_3) | instskip(SKIP_2) | instid1(TRANS32_DEP_1)
	v_add_f32_e32 v2, v2, v21
	v_fma_f32 v21, 0x3fb8aa3b, v3, -v25
	v_sub_f32_e32 v25, v25, v23
	v_ldexp_f32 v4, v4, v24
	v_cvt_i32_f32_e32 v23, v23
	v_exp_f32_e32 v2, v2
	v_fmac_f32_e32 v21, 0x32a5705f, v3
	s_waitcnt_depctr 0xfff
	v_ldexp_f32 v2, v2, v22
	s_delay_alu instid0(VALU_DEP_1) | instskip(SKIP_1) | instid1(VALU_DEP_2)
	v_dual_add_f32 v21, v25, v21 :: v_dual_cndmask_b32 v2, 0, v2
	v_cmp_ngt_f32_e32 vcc_lo, 0xc2ce8ed0, v1
	v_exp_f32_e32 v21, v21
	v_cndmask_b32_e32 v4, 0, v4, vcc_lo
	v_cmp_nlt_f32_e32 vcc_lo, 0x42b17218, v0
	v_cndmask_b32_e32 v0, 0x7f800000, v2, vcc_lo
	v_cmp_nlt_f32_e32 vcc_lo, 0x42b17218, v1
	v_fma_f32 v2, 0x3fb8aa3b, v20, -v27
	v_cndmask_b32_e32 v1, 0x7f800000, v4, vcc_lo
	s_delay_alu instid0(TRANS32_DEP_1) | instskip(SKIP_3) | instid1(VALU_DEP_4)
	v_ldexp_f32 v4, v21, v23
	v_cmp_ngt_f32_e32 vcc_lo, 0xc2ce8ed0, v3
	v_sub_f32_e32 v22, v26, v29
	v_rndne_f32_e32 v21, v27
	v_dual_add_f32 v0, v0, v1 :: v_dual_cndmask_b32 v1, 0, v4
	v_cmp_nlt_f32_e32 vcc_lo, 0x42b17218, v3
	s_delay_alu instid0(VALU_DEP_4) | instskip(SKIP_3) | instid1(VALU_DEP_4)
	v_add_f32_e32 v22, v22, v28
	v_cvt_i32_f32_e32 v4, v29
	v_sub_f32_e32 v23, v27, v21
	v_cndmask_b32_e32 v1, 0x7f800000, v1, vcc_lo
	v_exp_f32_e32 v22, v22
	v_cmp_ngt_f32_e32 vcc_lo, 0xc2ce8ed0, v5
	s_delay_alu instid0(VALU_DEP_2) | instskip(SKIP_3) | instid1(VALU_DEP_2)
	v_add_f32_e32 v0, v0, v1
	s_waitcnt_depctr 0xfff
	v_ldexp_f32 v3, v22, v4
	v_mul_f32_e32 v4, 0x3fb8aa3b, v19
	v_cndmask_b32_e32 v1, 0, v3, vcc_lo
	v_cmp_nlt_f32_e32 vcc_lo, 0x42b17218, v5
	v_cvt_i32_f32_e32 v5, v21
	v_mul_f32_e32 v21, 0x3fb8aa3b, v18
	v_fma_f32 v3, 0x3fb8aa3b, v19, -v4
	v_fmac_f32_e32 v2, 0x32a5705f, v20
	v_cndmask_b32_e32 v1, 0x7f800000, v1, vcc_lo
	v_rndne_f32_e32 v22, v4
	v_cmp_ngt_f32_e32 vcc_lo, 0xc2ce8ed0, v20
	s_delay_alu instid0(VALU_DEP_4) | instskip(NEXT) | instid1(VALU_DEP_4)
	v_dual_fmac_f32 v3, 0x32a5705f, v19 :: v_dual_add_f32 v2, v23, v2
	v_add_f32_e32 v0, v0, v1
	s_delay_alu instid0(VALU_DEP_4) | instskip(NEXT) | instid1(VALU_DEP_3)
	v_sub_f32_e32 v4, v4, v22
	v_exp_f32_e32 v2, v2
	s_waitcnt_depctr 0xfff
	v_ldexp_f32 v1, v2, v5
	s_delay_alu instid0(VALU_DEP_1)
	v_cndmask_b32_e32 v1, 0, v1, vcc_lo
	v_cmp_nlt_f32_e32 vcc_lo, 0x42b17218, v20
	v_add_f32_e32 v2, v4, v3
	v_fma_f32 v3, 0x3fb8aa3b, v18, -v21
	v_rndne_f32_e32 v4, v21
	v_cvt_i32_f32_e32 v20, v22
	v_cndmask_b32_e32 v1, 0x7f800000, v1, vcc_lo
	v_exp_f32_e32 v2, v2
	v_fmac_f32_e32 v3, 0x32a5705f, v18
	v_sub_f32_e32 v5, v21, v4
	v_cmp_ngt_f32_e32 vcc_lo, 0xc2ce8ed0, v19
	v_add_f32_e32 v0, v0, v1
	v_cvt_i32_f32_e32 v4, v4
	s_delay_alu instid0(VALU_DEP_4) | instskip(SKIP_1) | instid1(TRANS32_DEP_1)
	v_add_f32_e32 v3, v5, v3
	v_mul_f32_e32 v5, 0x3fb8aa3b, v17
	v_ldexp_f32 v1, v2, v20
	s_delay_alu instid0(VALU_DEP_3)
	v_exp_f32_e32 v2, v3
	s_waitcnt_depctr 0xfff
	v_ldexp_f32 v2, v2, v4
	v_dual_sub_f32 v4, v16, v8 :: v_dual_cndmask_b32 v1, 0, v1
	v_cmp_nlt_f32_e32 vcc_lo, 0x42b17218, v19
	v_fma_f32 v3, 0x3fb8aa3b, v17, -v5
	v_rndne_f32_e32 v20, v5
	s_delay_alu instid0(VALU_DEP_4) | instskip(SKIP_1) | instid1(VALU_DEP_4)
	v_cndmask_b32_e32 v1, 0x7f800000, v1, vcc_lo
	v_cmp_ngt_f32_e32 vcc_lo, 0xc2ce8ed0, v18
	v_fmac_f32_e32 v3, 0x32a5705f, v17
	s_delay_alu instid0(VALU_DEP_3) | instskip(SKIP_2) | instid1(VALU_DEP_2)
	v_dual_sub_f32 v5, v5, v20 :: v_dual_add_f32 v0, v0, v1
	v_cndmask_b32_e32 v1, 0, v2, vcc_lo
	v_cmp_nlt_f32_e32 vcc_lo, 0x42b17218, v18
	v_cndmask_b32_e32 v1, 0x7f800000, v1, vcc_lo
	s_delay_alu instid0(VALU_DEP_4)
	v_add_f32_e32 v3, v5, v3
	v_sub_f32_e32 v5, v15, v8
	v_cvt_i32_f32_e32 v15, v20
	v_cmp_ngt_f32_e32 vcc_lo, 0xc2ce8ed0, v17
	v_add_f32_e32 v0, v0, v1
	v_exp_f32_e32 v2, v3
	v_mul_f32_e32 v19, 0x3fb8aa3b, v5
	s_waitcnt_depctr 0xfff
	v_ldexp_f32 v1, v2, v15
	v_rndne_f32_e32 v15, v19
	v_mul_f32_e32 v3, 0x3fb8aa3b, v4
	s_delay_alu instid0(VALU_DEP_3) | instskip(SKIP_1) | instid1(VALU_DEP_3)
	v_cndmask_b32_e32 v1, 0, v1, vcc_lo
	v_cmp_nlt_f32_e32 vcc_lo, 0x42b17218, v17
	v_fma_f32 v16, 0x3fb8aa3b, v4, -v3
	v_rndne_f32_e32 v18, v3
	s_delay_alu instid0(VALU_DEP_4) | instskip(NEXT) | instid1(VALU_DEP_3)
	v_cndmask_b32_e32 v1, 0x7f800000, v1, vcc_lo
	v_fmac_f32_e32 v16, 0x32a5705f, v4
	s_delay_alu instid0(VALU_DEP_3) | instskip(SKIP_1) | instid1(VALU_DEP_4)
	v_sub_f32_e32 v2, v3, v18
	v_fma_f32 v3, 0x3fb8aa3b, v5, -v19
	v_dual_sub_f32 v13, v13, v8 :: v_dual_add_f32 v0, v0, v1
	v_cvt_i32_f32_e32 v18, v18
	s_delay_alu instid0(VALU_DEP_3) | instskip(SKIP_1) | instid1(VALU_DEP_4)
	v_dual_add_f32 v2, v2, v16 :: v_dual_fmac_f32 v3, 0x32a5705f, v5
	v_dual_sub_f32 v16, v19, v15 :: v_dual_mul_f32 v19, 0x3fb8aa3b, v14
	v_mul_f32_e32 v20, 0x3fb8aa3b, v13
	s_delay_alu instid0(VALU_DEP_3) | instskip(SKIP_1) | instid1(VALU_DEP_3)
	v_exp_f32_e32 v2, v2
	v_cmp_ngt_f32_e32 vcc_lo, 0xc2ce8ed0, v4
	v_add_f32_e32 v3, v16, v3
	v_fma_f32 v16, 0x3fb8aa3b, v14, -v19
	v_rndne_f32_e32 v17, v19
	s_delay_alu instid0(VALU_DEP_1) | instskip(SKIP_4) | instid1(VALU_DEP_3)
	v_dual_fmac_f32 v16, 0x32a5705f, v14 :: v_dual_sub_f32 v19, v19, v17
	s_waitcnt_depctr 0xfff
	v_ldexp_f32 v1, v2, v18
	v_cvt_i32_f32_e32 v2, v15
	v_rndne_f32_e32 v18, v20
	v_cndmask_b32_e32 v1, 0, v1, vcc_lo
	v_cmp_nlt_f32_e32 vcc_lo, 0x42b17218, v4
	v_cvt_i32_f32_e32 v4, v17
	s_delay_alu instid0(VALU_DEP_3) | instskip(SKIP_3) | instid1(VALU_DEP_4)
	v_cndmask_b32_e32 v1, 0x7f800000, v1, vcc_lo
	v_add_f32_e32 v15, v19, v16
	v_fma_f32 v16, 0x3fb8aa3b, v13, -v20
	v_cmp_ngt_f32_e32 vcc_lo, 0xc2ce8ed0, v5
	v_add_f32_e32 v0, v0, v1
	s_delay_alu instid0(VALU_DEP_3) | instskip(SKIP_4) | instid1(VALU_DEP_1)
	v_fmac_f32_e32 v16, 0x32a5705f, v13
	v_exp_f32_e32 v3, v3
	s_waitcnt_depctr 0xfff
	v_ldexp_f32 v2, v3, v2
	v_exp_f32_e32 v3, v15
	v_cndmask_b32_e32 v2, 0, v2, vcc_lo
	v_cmp_nlt_f32_e32 vcc_lo, 0x42b17218, v5
	s_waitcnt_depctr 0xfff
	v_ldexp_f32 v1, v3, v4
	v_cndmask_b32_e32 v2, 0x7f800000, v2, vcc_lo
	v_cmp_ngt_f32_e32 vcc_lo, 0xc2ce8ed0, v14
	v_dual_sub_f32 v4, v11, v8 :: v_dual_mul_f32 v11, 0x3fb8aa3b, v10
	v_sub_f32_e32 v15, v20, v18
	s_delay_alu instid0(VALU_DEP_4) | instskip(SKIP_3) | instid1(VALU_DEP_4)
	v_dual_add_f32 v0, v0, v2 :: v_dual_cndmask_b32 v1, 0, v1
	v_cmp_nlt_f32_e32 vcc_lo, 0x42b17218, v14
	v_cvt_i32_f32_e32 v2, v18
	v_mul_f32_e32 v5, 0x3fb8aa3b, v4
	v_cndmask_b32_e32 v1, 0x7f800000, v1, vcc_lo
	v_add_f32_e32 v15, v15, v16
	v_cmp_ngt_f32_e32 vcc_lo, 0xc2ce8ed0, v13
	s_delay_alu instid0(VALU_DEP_3) | instskip(NEXT) | instid1(VALU_DEP_3)
	v_add_f32_e32 v0, v0, v1
	v_exp_f32_e32 v3, v15
	v_fma_f32 v1, 0x3fb8aa3b, v4, -v5
	s_delay_alu instid0(VALU_DEP_1) | instskip(SKIP_3) | instid1(VALU_DEP_2)
	v_fmac_f32_e32 v1, 0x32a5705f, v4
	s_waitcnt_depctr 0xfff
	v_ldexp_f32 v2, v3, v2
	v_rndne_f32_e32 v3, v5
	v_cndmask_b32_e32 v2, 0, v2, vcc_lo
	v_cmp_nlt_f32_e32 vcc_lo, 0x42b17218, v13
	s_delay_alu instid0(VALU_DEP_3) | instskip(SKIP_1) | instid1(VALU_DEP_2)
	v_sub_f32_e32 v5, v5, v3
	v_cvt_i32_f32_e32 v3, v3
	v_dual_cndmask_b32 v2, 0x7f800000, v2 :: v_dual_add_f32 v1, v5, v1
	v_cmp_ngt_f32_e32 vcc_lo, 0xc2ce8ed0, v4
	v_rndne_f32_e32 v5, v11
	s_delay_alu instid0(VALU_DEP_3) | instskip(NEXT) | instid1(VALU_DEP_4)
	v_add_f32_e32 v0, v0, v2
	v_exp_f32_e32 v1, v1
	v_fma_f32 v2, 0x3fb8aa3b, v10, -v11
	s_delay_alu instid0(VALU_DEP_1) | instskip(SKIP_2) | instid1(VALU_DEP_1)
	v_fmac_f32_e32 v2, 0x32a5705f, v10
	s_waitcnt_depctr 0xfff
	v_ldexp_f32 v1, v1, v3
	v_cndmask_b32_e32 v1, 0, v1, vcc_lo
	v_cmp_nlt_f32_e32 vcc_lo, 0x42b17218, v4
	s_delay_alu instid0(VALU_DEP_2) | instskip(SKIP_3) | instid1(VALU_DEP_4)
	v_cndmask_b32_e32 v1, 0x7f800000, v1, vcc_lo
	v_dual_sub_f32 v9, v9, v8 :: v_dual_sub_f32 v8, v11, v5
	v_cvt_i32_f32_e32 v5, v5
	v_cmp_ngt_f32_e32 vcc_lo, 0xc2ce8ed0, v10
	v_add_f32_e32 v0, v0, v1
	s_delay_alu instid0(VALU_DEP_4) | instskip(NEXT) | instid1(VALU_DEP_1)
	v_add_f32_e32 v2, v8, v2
	v_exp_f32_e32 v2, v2
	s_waitcnt_depctr 0xfff
	v_ldexp_f32 v2, v2, v5
	s_delay_alu instid0(VALU_DEP_1) | instskip(SKIP_1) | instid1(VALU_DEP_2)
	v_cndmask_b32_e32 v2, 0, v2, vcc_lo
	v_cmp_nlt_f32_e32 vcc_lo, 0x42b17218, v10
	v_cndmask_b32_e32 v2, 0x7f800000, v2, vcc_lo
	v_mul_f32_e32 v13, 0x3fb8aa3b, v9
	v_cmp_ngt_f32_e32 vcc_lo, 0xc2ce8ed0, v9
	s_delay_alu instid0(VALU_DEP_3) | instskip(NEXT) | instid1(VALU_DEP_3)
	v_add_f32_e32 v0, v0, v2
	v_fma_f32 v11, 0x3fb8aa3b, v9, -v13
	v_rndne_f32_e32 v14, v13
	s_delay_alu instid0(VALU_DEP_1) | instskip(SKIP_1) | instid1(VALU_DEP_2)
	v_dual_fmac_f32 v11, 0x32a5705f, v9 :: v_dual_sub_f32 v8, v13, v14
	v_cvt_i32_f32_e32 v4, v14
	v_add_f32_e32 v3, v8, v11
	s_delay_alu instid0(VALU_DEP_1) | instskip(SKIP_2) | instid1(VALU_DEP_1)
	v_exp_f32_e32 v3, v3
	s_waitcnt_depctr 0xfff
	v_ldexp_f32 v1, v3, v4
	v_cndmask_b32_e32 v1, 0, v1, vcc_lo
	v_cmp_nlt_f32_e32 vcc_lo, 0x42b17218, v9
	s_delay_alu instid0(VALU_DEP_2) | instskip(SKIP_2) | instid1(VALU_DEP_3)
	v_cndmask_b32_e32 v1, 0x7f800000, v1, vcc_lo
	v_mul_f32_e32 v15, 0x3fb8aa3b, v7
	v_cmp_ngt_f32_e32 vcc_lo, 0xc2ce8ed0, v7
	v_add_f32_e32 v0, v0, v1
	s_delay_alu instid0(VALU_DEP_3) | instskip(SKIP_1) | instid1(VALU_DEP_1)
	v_fma_f32 v13, 0x3fb8aa3b, v7, -v15
	v_rndne_f32_e32 v16, v15
	v_dual_fmac_f32 v13, 0x32a5705f, v7 :: v_dual_sub_f32 v8, v15, v16
	v_cvt_i32_f32_e32 v3, v16
	s_delay_alu instid0(VALU_DEP_2) | instskip(NEXT) | instid1(VALU_DEP_1)
	v_add_f32_e32 v8, v8, v13
	v_exp_f32_e32 v5, v8
	s_waitcnt_depctr 0xfff
	v_ldexp_f32 v3, v5, v3
	s_delay_alu instid0(VALU_DEP_1) | instskip(SKIP_1) | instid1(VALU_DEP_2)
	v_cndmask_b32_e32 v2, 0, v3, vcc_lo
	v_cmp_nlt_f32_e32 vcc_lo, 0x42b17218, v7
	v_cndmask_b32_e32 v1, 0x7f800000, v2, vcc_lo
	s_delay_alu instid0(VALU_DEP_1) | instskip(NEXT) | instid1(VALU_DEP_1)
	v_add_f32_e32 v0, v0, v1
	v_add_f32_e32 v0, v12, v0
	s_delay_alu instid0(VALU_DEP_1)
	v_cmp_neq_f32_e32 vcc_lo, 0, v0
	s_and_b32 exec_lo, exec_lo, vcc_lo
	s_cbranch_execz .LBB147_13
; %bb.10:
	s_and_not1_b32 vcc_lo, exec_lo, s23
	s_cbranch_vccnz .LBB147_13
; %bb.11:
	v_div_scale_f32 v2, null, v0, v0, 1.0
	v_div_scale_f32 v4, vcc_lo, 1.0, v0, 1.0
	s_delay_alu instid0(VALU_DEP_2) | instskip(SKIP_2) | instid1(VALU_DEP_1)
	v_rcp_f32_e32 v3, v2
	s_waitcnt_depctr 0xfff
	v_fma_f32 v1, -v2, v3, 1.0
	v_fmac_f32_e32 v3, v1, v3
	v_mul_lo_u32 v1, v6, s19
	s_delay_alu instid0(VALU_DEP_2) | instskip(NEXT) | instid1(VALU_DEP_1)
	v_mul_f32_e32 v5, v4, v3
	v_fma_f32 v7, -v2, v5, v4
	s_delay_alu instid0(VALU_DEP_1) | instskip(NEXT) | instid1(VALU_DEP_1)
	v_fmac_f32_e32 v5, v7, v3
	v_fma_f32 v4, -v2, v5, v4
	v_ashrrev_i32_e32 v2, 31, v1
	s_delay_alu instid0(VALU_DEP_2) | instskip(NEXT) | instid1(VALU_DEP_2)
	v_div_fmas_f32 v5, v4, v3, v5
	v_lshlrev_b64 v[3:4], 2, v[1:2]
	s_delay_alu instid0(VALU_DEP_2) | instskip(NEXT) | instid1(VALU_DEP_2)
	v_div_fixup_f32 v2, v5, v0, 1.0
	v_add_co_u32 v0, vcc_lo, s20, v3
	s_delay_alu instid0(VALU_DEP_3)
	v_add_co_ci_u32_e32 v1, vcc_lo, s21, v4, vcc_lo
.LBB147_12:                             ; =>This Inner Loop Header: Depth=1
	global_load_b32 v3, v[0:1], off
	s_add_i32 s16, s16, -1
	s_delay_alu instid0(SALU_CYCLE_1)
	s_cmp_lg_u32 s16, 0
	s_waitcnt vmcnt(0)
	v_mul_f32_e32 v3, v2, v3
	global_store_b32 v[0:1], v3, off
	v_add_co_u32 v0, vcc_lo, v0, 4
	v_add_co_ci_u32_e32 v1, vcc_lo, 0, v1, vcc_lo
	s_cbranch_scc1 .LBB147_12
.LBB147_13:
	s_nop 0
	s_sendmsg sendmsg(MSG_DEALLOC_VGPRS)
	s_endpgm
	.section	.rodata,"a",@progbits
	.p2align	6, 0x0
	.amdhsa_kernel _ZN4vllm3moe17topkGatingSoftmaxIDF16_Li16ELi16ELi8ELi32ELb0ELi0ELNS0_23SharedExpertScoringFuncE0EEEvPKT_PKbPfiPiS9_iiiiii
		.amdhsa_group_segment_fixed_size 0
		.amdhsa_private_segment_fixed_size 0
		.amdhsa_kernarg_size 72
		.amdhsa_user_sgpr_count 15
		.amdhsa_user_sgpr_dispatch_ptr 0
		.amdhsa_user_sgpr_queue_ptr 0
		.amdhsa_user_sgpr_kernarg_segment_ptr 1
		.amdhsa_user_sgpr_dispatch_id 0
		.amdhsa_user_sgpr_private_segment_size 0
		.amdhsa_wavefront_size32 1
		.amdhsa_uses_dynamic_stack 0
		.amdhsa_enable_private_segment 0
		.amdhsa_system_sgpr_workgroup_id_x 1
		.amdhsa_system_sgpr_workgroup_id_y 0
		.amdhsa_system_sgpr_workgroup_id_z 0
		.amdhsa_system_sgpr_workgroup_info 0
		.amdhsa_system_vgpr_workitem_id 1
		.amdhsa_next_free_vgpr 33
		.amdhsa_next_free_sgpr 27
		.amdhsa_reserve_vcc 1
		.amdhsa_float_round_mode_32 0
		.amdhsa_float_round_mode_16_64 0
		.amdhsa_float_denorm_mode_32 3
		.amdhsa_float_denorm_mode_16_64 3
		.amdhsa_dx10_clamp 1
		.amdhsa_ieee_mode 1
		.amdhsa_fp16_overflow 0
		.amdhsa_workgroup_processor_mode 1
		.amdhsa_memory_ordered 1
		.amdhsa_forward_progress 0
		.amdhsa_shared_vgpr_count 0
		.amdhsa_exception_fp_ieee_invalid_op 0
		.amdhsa_exception_fp_denorm_src 0
		.amdhsa_exception_fp_ieee_div_zero 0
		.amdhsa_exception_fp_ieee_overflow 0
		.amdhsa_exception_fp_ieee_underflow 0
		.amdhsa_exception_fp_ieee_inexact 0
		.amdhsa_exception_int_div_zero 0
	.end_amdhsa_kernel
	.section	.text._ZN4vllm3moe17topkGatingSoftmaxIDF16_Li16ELi16ELi8ELi32ELb0ELi0ELNS0_23SharedExpertScoringFuncE0EEEvPKT_PKbPfiPiS9_iiiiii,"axG",@progbits,_ZN4vllm3moe17topkGatingSoftmaxIDF16_Li16ELi16ELi8ELi32ELb0ELi0ELNS0_23SharedExpertScoringFuncE0EEEvPKT_PKbPfiPiS9_iiiiii,comdat
.Lfunc_end147:
	.size	_ZN4vllm3moe17topkGatingSoftmaxIDF16_Li16ELi16ELi8ELi32ELb0ELi0ELNS0_23SharedExpertScoringFuncE0EEEvPKT_PKbPfiPiS9_iiiiii, .Lfunc_end147-_ZN4vllm3moe17topkGatingSoftmaxIDF16_Li16ELi16ELi8ELi32ELb0ELi0ELNS0_23SharedExpertScoringFuncE0EEEvPKT_PKbPfiPiS9_iiiiii
                                        ; -- End function
	.section	.AMDGPU.csdata,"",@progbits
; Kernel info:
; codeLenInByte = 4268
; NumSgprs: 29
; NumVgprs: 33
; ScratchSize: 0
; MemoryBound: 0
; FloatMode: 240
; IeeeMode: 1
; LDSByteSize: 0 bytes/workgroup (compile time only)
; SGPRBlocks: 3
; VGPRBlocks: 4
; NumSGPRsForWavesPerEU: 29
; NumVGPRsForWavesPerEU: 33
; Occupancy: 16
; WaveLimiterHint : 0
; COMPUTE_PGM_RSRC2:SCRATCH_EN: 0
; COMPUTE_PGM_RSRC2:USER_SGPR: 15
; COMPUTE_PGM_RSRC2:TRAP_HANDLER: 0
; COMPUTE_PGM_RSRC2:TGID_X_EN: 1
; COMPUTE_PGM_RSRC2:TGID_Y_EN: 0
; COMPUTE_PGM_RSRC2:TGID_Z_EN: 0
; COMPUTE_PGM_RSRC2:TIDIG_COMP_CNT: 1
	.section	.text._ZN4vllm3moe17topkGatingSoftmaxIDF16_Li16ELi16ELi8ELi32ELb1ELi1ELNS0_23SharedExpertScoringFuncE1EEEvPKT_PKbPfiPiS9_iiiiii,"axG",@progbits,_ZN4vllm3moe17topkGatingSoftmaxIDF16_Li16ELi16ELi8ELi32ELb1ELi1ELNS0_23SharedExpertScoringFuncE1EEEvPKT_PKbPfiPiS9_iiiiii,comdat
	.protected	_ZN4vllm3moe17topkGatingSoftmaxIDF16_Li16ELi16ELi8ELi32ELb1ELi1ELNS0_23SharedExpertScoringFuncE1EEEvPKT_PKbPfiPiS9_iiiiii ; -- Begin function _ZN4vllm3moe17topkGatingSoftmaxIDF16_Li16ELi16ELi8ELi32ELb1ELi1ELNS0_23SharedExpertScoringFuncE1EEEvPKT_PKbPfiPiS9_iiiiii
	.globl	_ZN4vllm3moe17topkGatingSoftmaxIDF16_Li16ELi16ELi8ELi32ELb1ELi1ELNS0_23SharedExpertScoringFuncE1EEEvPKT_PKbPfiPiS9_iiiiii
	.p2align	8
	.type	_ZN4vllm3moe17topkGatingSoftmaxIDF16_Li16ELi16ELi8ELi32ELb1ELi1ELNS0_23SharedExpertScoringFuncE1EEEvPKT_PKbPfiPiS9_iiiiii,@function
_ZN4vllm3moe17topkGatingSoftmaxIDF16_Li16ELi16ELi8ELi32ELb1ELi1ELNS0_23SharedExpertScoringFuncE1EEEvPKT_PKbPfiPiS9_iiiiii: ; @_ZN4vllm3moe17topkGatingSoftmaxIDF16_Li16ELi16ELi8ELi32ELb1ELi1ELNS0_23SharedExpertScoringFuncE1EEEvPKT_PKbPfiPiS9_iiiiii
; %bb.0:
	s_load_b32 s12, s[0:1], 0x18
	v_bfe_u32 v1, v0, 10, 10
	v_and_b32_e32 v12, 0x3ff, v0
	s_lshl_b32 s14, s15, 8
	s_mov_b32 s2, exec_lo
	s_delay_alu instid0(VALU_DEP_2) | instskip(NEXT) | instid1(VALU_DEP_1)
	v_lshlrev_b32_e32 v11, 5, v1
	v_add3_u32 v13, v11, v12, s14
	s_waitcnt lgkmcnt(0)
	s_delay_alu instid0(VALU_DEP_1)
	v_cmpx_gt_i32_e64 s12, v13
	s_cbranch_execz .LBB148_12
; %bb.1:
	s_clause 0x1
	s_load_b128 s[4:7], s[0:1], 0x0
	s_load_b64 s[2:3], s[0:1], 0x10
	s_waitcnt lgkmcnt(0)
	s_cmp_eq_u64 s[6:7], 0
	s_cbranch_scc1 .LBB148_3
; %bb.2:
	v_ashrrev_i32_e32 v1, 31, v13
	v_add_co_u32 v0, vcc_lo, s6, v13
	s_delay_alu instid0(VALU_DEP_2) | instskip(SKIP_3) | instid1(VALU_DEP_1)
	v_add_co_ci_u32_e32 v1, vcc_lo, s7, v1, vcc_lo
	global_load_u8 v0, v[0:1], off
	s_waitcnt vmcnt(0)
	v_and_b32_e32 v0, 1, v0
	v_cmp_eq_u32_e32 vcc_lo, 1, v0
	s_xor_b32 s6, vcc_lo, -1
	s_delay_alu instid0(SALU_CYCLE_1)
	s_or_not1_b32 s13, s6, exec_lo
	s_branch .LBB148_4
.LBB148_3:
	s_mov_b32 s13, -1
.LBB148_4:
	s_load_b64 s[8:9], s[0:1], 0x40
	s_waitcnt lgkmcnt(0)
	v_mul_lo_u32 v0, v13, s9
	s_delay_alu instid0(VALU_DEP_1) | instskip(NEXT) | instid1(VALU_DEP_1)
	v_ashrrev_i32_e32 v1, 31, v0
	v_lshlrev_b64 v[0:1], 1, v[0:1]
	s_delay_alu instid0(VALU_DEP_1) | instskip(NEXT) | instid1(VALU_DEP_2)
	v_add_co_u32 v4, vcc_lo, s4, v0
	v_add_co_ci_u32_e32 v5, vcc_lo, s5, v1, vcc_lo
	s_mov_b32 s4, 0x3fb8aa3b
	s_clause 0x2
	global_load_u16 v8, v[4:5], off offset:32
	global_load_b128 v[0:3], v[4:5], off offset:16
	global_load_b128 v[4:7], v[4:5], off
	s_waitcnt vmcnt(2)
	v_cvt_f32_f16_e64 v9, -v8
	s_delay_alu instid0(VALU_DEP_1) | instskip(SKIP_1) | instid1(VALU_DEP_2)
	v_mul_f32_e32 v10, 0x3fb8aa3b, v9
	v_cmp_ngt_f32_e32 vcc_lo, 0xc2ce8ed0, v9
	v_fma_mix_f32 v14, -v8, s4, -v10 op_sel_hi:[1,0,0]
	v_rndne_f32_e32 v15, v10
	s_mov_b32 s4, 0x32a5705f
	s_delay_alu instid0(VALU_DEP_2) | instid1(SALU_CYCLE_1)
	v_fma_mix_f32 v8, -v8, s4, v14 op_sel_hi:[1,0,0]
	s_load_b128 s[4:7], s[0:1], 0x30
	s_delay_alu instid0(VALU_DEP_2) | instskip(NEXT) | instid1(VALU_DEP_1)
	v_sub_f32_e32 v10, v10, v15
	v_add_f32_e32 v8, v10, v8
	v_cvt_i32_f32_e32 v10, v15
	s_delay_alu instid0(VALU_DEP_2) | instskip(SKIP_4) | instid1(VALU_DEP_1)
	v_exp_f32_e32 v8, v8
	s_waitcnt lgkmcnt(0)
	s_cmp_gt_i32 s4, 0
	s_waitcnt_depctr 0xfff
	v_ldexp_f32 v8, v8, v10
	v_cndmask_b32_e32 v8, 0, v8, vcc_lo
	v_cmp_nlt_f32_e32 vcc_lo, 0x42b17218, v9
	s_delay_alu instid0(VALU_DEP_2) | instskip(NEXT) | instid1(VALU_DEP_1)
	v_cndmask_b32_e32 v8, 0x7f800000, v8, vcc_lo
	v_add_f32_e32 v16, 1.0, v8
	s_delay_alu instid0(VALU_DEP_1) | instskip(SKIP_1) | instid1(VALU_DEP_2)
	v_div_scale_f32 v14, null, v16, v16, 1.0
	v_div_scale_f32 v17, vcc_lo, 1.0, v16, 1.0
	v_rcp_f32_e32 v15, v14
	s_waitcnt_depctr 0xfff
	v_fma_f32 v8, -v14, v15, 1.0
	s_delay_alu instid0(VALU_DEP_1) | instskip(SKIP_3) | instid1(VALU_DEP_1)
	v_fmac_f32_e32 v15, v8, v15
	v_mul_lo_u32 v8, v13, s7
	s_cselect_b32 s7, -1, 0
	s_cmp_lt_i32 s4, 1
	v_dual_mul_f32 v18, v17, v15 :: v_dual_add_nc_u32 v9, s4, v8
	s_delay_alu instid0(VALU_DEP_1) | instskip(NEXT) | instid1(VALU_DEP_1)
	v_fma_f32 v10, -v14, v18, v17
	v_fmac_f32_e32 v18, v10, v15
	s_delay_alu instid0(VALU_DEP_3) | instskip(NEXT) | instid1(VALU_DEP_2)
	v_ashrrev_i32_e32 v10, 31, v9
	v_fma_f32 v14, -v14, v18, v17
	s_delay_alu instid0(VALU_DEP_2) | instskip(NEXT) | instid1(VALU_DEP_2)
	v_lshlrev_b64 v[9:10], 2, v[9:10]
	v_div_fmas_f32 v17, v14, v15, v18
	s_delay_alu instid0(VALU_DEP_2) | instskip(NEXT) | instid1(VALU_DEP_3)
	v_add_co_u32 v14, vcc_lo, s2, v9
	v_add_co_ci_u32_e32 v15, vcc_lo, s3, v10, vcc_lo
	s_delay_alu instid0(VALU_DEP_3)
	v_div_fixup_f32 v9, v17, v16, 1.0
	v_mov_b32_e32 v10, 0
	global_store_b32 v[14:15], v9, off
	s_cbranch_scc1 .LBB148_8
; %bb.5:
	s_waitcnt vmcnt(0)
	v_lshrrev_b32_e32 v9, 16, v4
	v_cvt_f32_f16_e32 v26, v4
	v_cvt_f32_f16_e32 v24, v5
	;; [unrolled: 1-line block ×3, first 2 shown]
	v_lshrrev_b32_e32 v5, 16, v5
	v_cvt_f32_f16_e32 v25, v9
	v_cmp_lt_f16_e32 vcc_lo, v4, v9
	v_lshrrev_b32_e32 v0, 16, v0
	v_cvt_f32_f16_e32 v22, v6
	v_cvt_f32_f16_e32 v23, v5
	v_lshrrev_b32_e32 v6, 16, v6
	v_cndmask_b32_e32 v9, v26, v25, vcc_lo
	v_cndmask_b32_e64 v4, 0, 1, vcc_lo
	v_cvt_f32_f16_e32 v17, v0
	v_cvt_f32_f16_e32 v20, v7
	;; [unrolled: 1-line block ×3, first 2 shown]
	v_cmp_lt_f32_e32 vcc_lo, v9, v24
	v_lshrrev_b32_e32 v6, 16, v7
	v_cvt_f32_f16_e32 v16, v1
	v_lshrrev_b32_e32 v1, 16, v1
	v_cvt_f32_f16_e32 v14, v2
	v_cndmask_b32_e32 v5, v9, v24, vcc_lo
	v_cndmask_b32_e64 v4, v4, 2, vcc_lo
	v_cvt_f32_f16_e32 v19, v6
	v_cvt_f32_f16_e32 v15, v1
	v_lshrrev_b32_e32 v2, 16, v2
	v_cmp_lt_f32_e32 vcc_lo, v5, v23
	v_cvt_f32_f16_e32 v29, v3
	v_ashrrev_i32_e32 v9, 31, v8
	s_delay_alu instid0(VALU_DEP_4) | instskip(SKIP_3) | instid1(VALU_DEP_3)
	v_cvt_f32_f16_e32 v28, v2
	v_cndmask_b32_e32 v5, v5, v23, vcc_lo
	v_cndmask_b32_e64 v4, v4, 3, vcc_lo
	v_lshrrev_b32_e32 v2, 16, v3
	v_cmp_lt_f32_e32 vcc_lo, v5, v22
	s_delay_alu instid0(VALU_DEP_2) | instskip(SKIP_3) | instid1(VALU_DEP_2)
	v_cvt_f32_f16_e32 v7, v2
	v_mul_lo_u32 v2, v13, s4
	v_cndmask_b32_e32 v5, v5, v22, vcc_lo
	v_cndmask_b32_e64 v4, v4, 4, vcc_lo
	v_cmp_lt_f32_e32 vcc_lo, v5, v21
	v_cndmask_b32_e32 v5, v5, v21, vcc_lo
	s_delay_alu instid0(VALU_DEP_3) | instskip(NEXT) | instid1(VALU_DEP_2)
	v_cndmask_b32_e64 v4, v4, 5, vcc_lo
	v_cmp_lt_f32_e32 vcc_lo, v5, v20
	v_cndmask_b32_e32 v5, v5, v20, vcc_lo
	s_delay_alu instid0(VALU_DEP_3) | instskip(NEXT) | instid1(VALU_DEP_2)
	;; [unrolled: 4-line block ×3, first 2 shown]
	v_cndmask_b32_e64 v4, v4, 7, vcc_lo
	v_cmp_lt_f32_e32 vcc_lo, v5, v18
	s_delay_alu instid0(VALU_DEP_2) | instskip(SKIP_1) | instid1(VALU_DEP_1)
	v_cndmask_b32_e64 v0, v4, 8, vcc_lo
	v_cndmask_b32_e32 v4, v5, v18, vcc_lo
	v_cmp_lt_f32_e32 vcc_lo, v4, v17
	v_cndmask_b32_e32 v4, v4, v17, vcc_lo
	s_delay_alu instid0(VALU_DEP_4) | instskip(NEXT) | instid1(VALU_DEP_2)
	v_cndmask_b32_e64 v0, v0, 9, vcc_lo
	v_cmp_lt_f32_e32 vcc_lo, v4, v16
	v_cndmask_b32_e32 v1, v4, v16, vcc_lo
	s_delay_alu instid0(VALU_DEP_3) | instskip(SKIP_1) | instid1(VALU_DEP_3)
	v_cndmask_b32_e64 v0, v0, 10, vcc_lo
	v_lshlrev_b64 v[4:5], 2, v[8:9]
	v_cmp_lt_f32_e32 vcc_lo, v1, v15
	v_cndmask_b32_e32 v1, v1, v15, vcc_lo
	s_delay_alu instid0(VALU_DEP_4) | instskip(NEXT) | instid1(VALU_DEP_2)
	v_cndmask_b32_e64 v0, v0, 11, vcc_lo
	v_cmp_lt_f32_e32 vcc_lo, v1, v14
	v_cndmask_b32_e32 v1, v1, v14, vcc_lo
	s_delay_alu instid0(VALU_DEP_3) | instskip(NEXT) | instid1(VALU_DEP_2)
	v_cndmask_b32_e64 v0, v0, 12, vcc_lo
	v_cmp_lt_f32_e32 vcc_lo, v1, v28
	v_cndmask_b32_e32 v1, v1, v28, vcc_lo
	s_delay_alu instid0(VALU_DEP_3) | instskip(NEXT) | instid1(VALU_DEP_2)
	;; [unrolled: 4-line block ×3, first 2 shown]
	v_cndmask_b32_e64 v0, v0, 14, vcc_lo
	v_cmp_lt_f32_e32 vcc_lo, v1, v7
	v_cndmask_b32_e32 v6, v1, v7, vcc_lo
	s_delay_alu instid0(VALU_DEP_3) | instskip(SKIP_2) | instid1(VALU_DEP_4)
	v_cndmask_b32_e64 v27, v0, 15, vcc_lo
	v_add_co_u32 v4, vcc_lo, s2, v4
	v_add_co_ci_u32_e32 v5, vcc_lo, s3, v5, vcc_lo
	v_sub_f32_e32 v10, v6, v6
	s_delay_alu instid0(VALU_DEP_4) | instskip(SKIP_1) | instid1(VALU_DEP_3)
	v_cmp_le_i32_e32 vcc_lo, s5, v27
	v_subrev_nc_u32_e32 v32, s5, v27
	v_mul_f32_e32 v0, 0x3fb8aa3b, v10
	s_delay_alu instid0(VALU_DEP_1) | instskip(SKIP_1) | instid1(VALU_DEP_2)
	v_fma_f32 v1, 0x3fb8aa3b, v10, -v0
	v_rndne_f32_e32 v30, v0
	v_fmac_f32_e32 v1, 0x32a5705f, v10
	s_delay_alu instid0(VALU_DEP_2)
	v_sub_f32_e32 v3, v0, v30
	v_mul_lo_u32 v0, v13, s8
	s_load_b128 s[8:11], s[0:1], 0x20
	v_cvt_i32_f32_e32 v30, v30
	v_cmp_gt_i32_e64 s0, s6, v27
	v_add_f32_e32 v3, v3, v1
	s_delay_alu instid0(VALU_DEP_4) | instskip(NEXT) | instid1(VALU_DEP_2)
	v_ashrrev_i32_e32 v1, 31, v0
	v_exp_f32_e32 v9, v3
	s_delay_alu instid0(VALU_DEP_3) | instskip(SKIP_3) | instid1(VALU_DEP_2)
	s_and_b32 s0, vcc_lo, s0
	v_cmp_ngt_f32_e32 vcc_lo, 0xc2ce8ed0, v10
	v_ashrrev_i32_e32 v3, 31, v2
	v_lshlrev_b64 v[0:1], 2, v[0:1]
	v_lshlrev_b64 v[2:3], 2, v[2:3]
	s_waitcnt_depctr 0xfff
	v_ldexp_f32 v9, v9, v30
	s_delay_alu instid0(VALU_DEP_1)
	v_cndmask_b32_e32 v9, 0, v9, vcc_lo
	s_waitcnt lgkmcnt(0)
	v_add_co_u32 v30, vcc_lo, s8, v0
	v_add_co_ci_u32_e32 v31, vcc_lo, s9, v1, vcc_lo
	s_and_b32 vcc_lo, s13, s0
	s_cmp_eq_u32 s4, 1
	v_cndmask_b32_e32 v34, 16, v32, vcc_lo
	v_cmp_nlt_f32_e32 vcc_lo, 0x42b17218, v10
	v_cndmask_b32_e32 v10, 0x7f800000, v9, vcc_lo
	v_add_co_u32 v32, vcc_lo, s10, v2
	v_add_co_ci_u32_e32 v33, vcc_lo, s11, v3, vcc_lo
	global_store_b32 v[30:31], v34, off
	global_store_b32 v[4:5], v10, off
	;; [unrolled: 1-line block ×3, first 2 shown]
	s_cbranch_scc1 .LBB148_8
; %bb.6:
	v_cmp_ne_u32_e32 vcc_lo, 15, v27
	s_add_i32 s14, s14, s12
	s_delay_alu instid0(SALU_CYCLE_1)
	v_add3_u32 v11, s14, v12, v11
	v_cndmask_b32_e32 v7, 0xff800000, v7, vcc_lo
	v_cmp_ne_u32_e32 vcc_lo, 14, v27
	v_cndmask_b32_e32 v9, 0xff800000, v29, vcc_lo
	v_cmp_ne_u32_e32 vcc_lo, 13, v27
	;; [unrolled: 2-line block ×15, first 2 shown]
	v_cndmask_b32_e32 v26, 0xff800000, v26, vcc_lo
	v_add_co_u32 v2, vcc_lo, v2, s10
	v_add_co_ci_u32_e32 v3, vcc_lo, s11, v3, vcc_lo
	v_add_co_u32 v27, vcc_lo, v0, s8
	v_add_co_ci_u32_e32 v28, vcc_lo, s9, v1, vcc_lo
	s_delay_alu instid0(VALU_DEP_4) | instskip(NEXT) | instid1(VALU_DEP_4)
	v_add_co_u32 v0, vcc_lo, v2, 4
	v_add_co_ci_u32_e32 v1, vcc_lo, 0, v3, vcc_lo
	s_delay_alu instid0(VALU_DEP_4) | instskip(NEXT) | instid1(VALU_DEP_4)
	v_add_co_u32 v2, vcc_lo, v27, 4
	v_add_co_ci_u32_e32 v3, vcc_lo, 0, v28, vcc_lo
	v_add_co_u32 v4, vcc_lo, v4, 4
	v_add_co_ci_u32_e32 v5, vcc_lo, 0, v5, vcc_lo
	s_add_i32 s8, s4, -1
.LBB148_7:                              ; =>This Inner Loop Header: Depth=1
	v_cmp_gt_f32_e32 vcc_lo, v25, v26
	s_add_i32 s8, s8, -1
	v_cndmask_b32_e32 v12, v26, v25, vcc_lo
	v_cndmask_b32_e64 v27, 0, 1, vcc_lo
	s_delay_alu instid0(VALU_DEP_2) | instskip(SKIP_1) | instid1(VALU_DEP_3)
	v_cmp_gt_f32_e32 vcc_lo, v24, v12
	v_cndmask_b32_e32 v12, v12, v24, vcc_lo
	v_cndmask_b32_e64 v27, v27, 2, vcc_lo
	s_delay_alu instid0(VALU_DEP_2) | instskip(SKIP_1) | instid1(VALU_DEP_3)
	v_cmp_gt_f32_e32 vcc_lo, v23, v12
	;; [unrolled: 4-line block ×13, first 2 shown]
	v_cndmask_b32_e32 v12, v12, v9, vcc_lo
	v_cndmask_b32_e64 v27, v27, 14, vcc_lo
	s_delay_alu instid0(VALU_DEP_2) | instskip(NEXT) | instid1(VALU_DEP_2)
	v_cmp_gt_f32_e32 vcc_lo, v7, v12
	v_cndmask_b32_e64 v27, v27, 15, vcc_lo
	v_cndmask_b32_e32 v12, v12, v7, vcc_lo
	s_delay_alu instid0(VALU_DEP_2) | instskip(NEXT) | instid1(VALU_DEP_2)
	v_cmp_ne_u32_e64 s1, 15, v27
	v_sub_f32_e32 v12, v12, v6
	v_cmp_le_i32_e32 vcc_lo, s5, v27
	v_cmp_gt_i32_e64 s0, s6, v27
	v_subrev_nc_u32_e32 v29, s5, v27
	v_cndmask_b32_e64 v7, 0xff800000, v7, s1
	v_cmp_ne_u32_e64 s1, 14, v27
	v_mul_f32_e32 v28, 0x3fb8aa3b, v12
	s_and_b32 s0, vcc_lo, s0
	s_delay_alu instid0(SALU_CYCLE_1) | instskip(NEXT) | instid1(VALU_DEP_2)
	s_and_b32 vcc_lo, s13, s0
	v_cndmask_b32_e64 v9, 0xff800000, v9, s1
	v_cmp_ne_u32_e64 s1, 13, v27
	v_rndne_f32_e32 v30, v28
	v_cndmask_b32_e32 v29, 16, v29, vcc_lo
	global_store_b32 v[2:3], v29, off
	global_store_b32 v[0:1], v11, off
	v_cndmask_b32_e64 v13, 0xff800000, v13, s1
	v_cmp_ne_u32_e64 s1, 12, v27
	v_add_co_u32 v0, vcc_lo, v0, 4
	v_add_co_ci_u32_e32 v1, vcc_lo, 0, v1, vcc_lo
	s_delay_alu instid0(VALU_DEP_3) | instskip(SKIP_3) | instid1(VALU_DEP_3)
	v_cndmask_b32_e64 v14, 0xff800000, v14, s1
	v_cmp_ne_u32_e64 s1, 11, v27
	v_add_co_u32 v2, vcc_lo, v2, 4
	v_add_co_ci_u32_e32 v3, vcc_lo, 0, v3, vcc_lo
	v_cndmask_b32_e64 v15, 0xff800000, v15, s1
	v_cmp_ne_u32_e64 s1, 10, v27
	v_cmp_ngt_f32_e32 vcc_lo, 0xc2ce8ed0, v12
	v_add_nc_u32_e32 v11, s12, v11
	s_cmp_eq_u32 s8, 0
	s_delay_alu instid0(VALU_DEP_3) | instskip(SKIP_1) | instid1(VALU_DEP_1)
	v_cndmask_b32_e64 v16, 0xff800000, v16, s1
	v_cmp_ne_u32_e64 s1, 9, v27
	v_cndmask_b32_e64 v17, 0xff800000, v17, s1
	v_cmp_ne_u32_e64 s1, 8, v27
	s_delay_alu instid0(VALU_DEP_1) | instskip(SKIP_1) | instid1(VALU_DEP_1)
	v_cndmask_b32_e64 v18, 0xff800000, v18, s1
	v_cmp_ne_u32_e64 s1, 7, v27
	v_cndmask_b32_e64 v19, 0xff800000, v19, s1
	v_cmp_ne_u32_e64 s1, 6, v27
	s_delay_alu instid0(VALU_DEP_1) | instskip(SKIP_1) | instid1(VALU_DEP_1)
	;; [unrolled: 5-line block ×4, first 2 shown]
	v_cndmask_b32_e64 v24, 0xff800000, v24, s1
	v_cmp_ne_u32_e64 s1, 1, v27
	v_cndmask_b32_e64 v25, 0xff800000, v25, s1
	v_cmp_ne_u32_e64 s1, 0, v27
	v_fma_f32 v27, 0x3fb8aa3b, v12, -v28
	v_sub_f32_e32 v28, v28, v30
	v_cvt_i32_f32_e32 v30, v30
	s_delay_alu instid0(VALU_DEP_4) | instskip(NEXT) | instid1(VALU_DEP_4)
	v_cndmask_b32_e64 v26, 0xff800000, v26, s1
	v_fmac_f32_e32 v27, 0x32a5705f, v12
	s_delay_alu instid0(VALU_DEP_1) | instskip(NEXT) | instid1(VALU_DEP_1)
	v_add_f32_e32 v27, v28, v27
	v_exp_f32_e32 v27, v27
	s_waitcnt_depctr 0xfff
	v_ldexp_f32 v27, v27, v30
	s_delay_alu instid0(VALU_DEP_1) | instskip(SKIP_1) | instid1(VALU_DEP_2)
	v_cndmask_b32_e32 v27, 0, v27, vcc_lo
	v_cmp_nlt_f32_e32 vcc_lo, 0x42b17218, v12
	v_cndmask_b32_e32 v12, 0x7f800000, v27, vcc_lo
	global_store_b32 v[4:5], v12, off
	v_add_co_u32 v4, vcc_lo, v4, 4
	v_add_f32_e32 v10, v10, v12
	v_add_co_ci_u32_e32 v5, vcc_lo, 0, v5, vcc_lo
	s_cbranch_scc0 .LBB148_7
.LBB148_8:
	s_delay_alu instid0(VALU_DEP_2)
	v_cmp_neq_f32_e32 vcc_lo, 0, v10
	s_and_b32 exec_lo, exec_lo, vcc_lo
	s_cbranch_execz .LBB148_12
; %bb.9:
	s_and_not1_b32 vcc_lo, exec_lo, s7
	s_cbranch_vccnz .LBB148_12
; %bb.10:
	s_waitcnt vmcnt(1)
	v_div_scale_f32 v0, null, v10, v10, 1.0
	v_div_scale_f32 v3, vcc_lo, 1.0, v10, 1.0
	v_ashrrev_i32_e32 v9, 31, v8
	s_delay_alu instid0(VALU_DEP_3) | instskip(SKIP_2) | instid1(VALU_DEP_1)
	v_rcp_f32_e32 v1, v0
	s_waitcnt_depctr 0xfff
	v_fma_f32 v2, -v0, v1, 1.0
	v_fmac_f32_e32 v1, v2, v1
	s_delay_alu instid0(VALU_DEP_1) | instskip(SKIP_1) | instid1(VALU_DEP_1)
	v_mul_f32_e32 v2, v3, v1
	s_waitcnt vmcnt(0)
	v_fma_f32 v4, -v0, v2, v3
	s_delay_alu instid0(VALU_DEP_1) | instskip(NEXT) | instid1(VALU_DEP_1)
	v_fmac_f32_e32 v2, v4, v1
	v_fma_f32 v0, -v0, v2, v3
	s_delay_alu instid0(VALU_DEP_1) | instskip(SKIP_1) | instid1(VALU_DEP_2)
	v_div_fmas_f32 v2, v0, v1, v2
	v_lshlrev_b64 v[0:1], 2, v[8:9]
	v_div_fixup_f32 v2, v2, v10, 1.0
	s_delay_alu instid0(VALU_DEP_2) | instskip(NEXT) | instid1(VALU_DEP_3)
	v_add_co_u32 v0, vcc_lo, s2, v0
	v_add_co_ci_u32_e32 v1, vcc_lo, s3, v1, vcc_lo
.LBB148_11:                             ; =>This Inner Loop Header: Depth=1
	global_load_b32 v3, v[0:1], off
	s_add_i32 s4, s4, -1
	s_delay_alu instid0(SALU_CYCLE_1)
	s_cmp_lg_u32 s4, 0
	s_waitcnt vmcnt(0)
	v_mul_f32_e32 v3, v2, v3
	global_store_b32 v[0:1], v3, off
	v_add_co_u32 v0, vcc_lo, v0, 4
	v_add_co_ci_u32_e32 v1, vcc_lo, 0, v1, vcc_lo
	s_cbranch_scc1 .LBB148_11
.LBB148_12:
	s_nop 0
	s_sendmsg sendmsg(MSG_DEALLOC_VGPRS)
	s_endpgm
	.section	.rodata,"a",@progbits
	.p2align	6, 0x0
	.amdhsa_kernel _ZN4vllm3moe17topkGatingSoftmaxIDF16_Li16ELi16ELi8ELi32ELb1ELi1ELNS0_23SharedExpertScoringFuncE1EEEvPKT_PKbPfiPiS9_iiiiii
		.amdhsa_group_segment_fixed_size 0
		.amdhsa_private_segment_fixed_size 0
		.amdhsa_kernarg_size 72
		.amdhsa_user_sgpr_count 15
		.amdhsa_user_sgpr_dispatch_ptr 0
		.amdhsa_user_sgpr_queue_ptr 0
		.amdhsa_user_sgpr_kernarg_segment_ptr 1
		.amdhsa_user_sgpr_dispatch_id 0
		.amdhsa_user_sgpr_private_segment_size 0
		.amdhsa_wavefront_size32 1
		.amdhsa_uses_dynamic_stack 0
		.amdhsa_enable_private_segment 0
		.amdhsa_system_sgpr_workgroup_id_x 1
		.amdhsa_system_sgpr_workgroup_id_y 0
		.amdhsa_system_sgpr_workgroup_id_z 0
		.amdhsa_system_sgpr_workgroup_info 0
		.amdhsa_system_vgpr_workitem_id 1
		.amdhsa_next_free_vgpr 35
		.amdhsa_next_free_sgpr 16
		.amdhsa_reserve_vcc 1
		.amdhsa_float_round_mode_32 0
		.amdhsa_float_round_mode_16_64 0
		.amdhsa_float_denorm_mode_32 3
		.amdhsa_float_denorm_mode_16_64 3
		.amdhsa_dx10_clamp 1
		.amdhsa_ieee_mode 1
		.amdhsa_fp16_overflow 0
		.amdhsa_workgroup_processor_mode 1
		.amdhsa_memory_ordered 1
		.amdhsa_forward_progress 0
		.amdhsa_shared_vgpr_count 0
		.amdhsa_exception_fp_ieee_invalid_op 0
		.amdhsa_exception_fp_denorm_src 0
		.amdhsa_exception_fp_ieee_div_zero 0
		.amdhsa_exception_fp_ieee_overflow 0
		.amdhsa_exception_fp_ieee_underflow 0
		.amdhsa_exception_fp_ieee_inexact 0
		.amdhsa_exception_int_div_zero 0
	.end_amdhsa_kernel
	.section	.text._ZN4vllm3moe17topkGatingSoftmaxIDF16_Li16ELi16ELi8ELi32ELb1ELi1ELNS0_23SharedExpertScoringFuncE1EEEvPKT_PKbPfiPiS9_iiiiii,"axG",@progbits,_ZN4vllm3moe17topkGatingSoftmaxIDF16_Li16ELi16ELi8ELi32ELb1ELi1ELNS0_23SharedExpertScoringFuncE1EEEvPKT_PKbPfiPiS9_iiiiii,comdat
.Lfunc_end148:
	.size	_ZN4vllm3moe17topkGatingSoftmaxIDF16_Li16ELi16ELi8ELi32ELb1ELi1ELNS0_23SharedExpertScoringFuncE1EEEvPKT_PKbPfiPiS9_iiiiii, .Lfunc_end148-_ZN4vllm3moe17topkGatingSoftmaxIDF16_Li16ELi16ELi8ELi32ELb1ELi1ELNS0_23SharedExpertScoringFuncE1EEEvPKT_PKbPfiPiS9_iiiiii
                                        ; -- End function
	.section	.AMDGPU.csdata,"",@progbits
; Kernel info:
; codeLenInByte = 2580
; NumSgprs: 18
; NumVgprs: 35
; ScratchSize: 0
; MemoryBound: 0
; FloatMode: 240
; IeeeMode: 1
; LDSByteSize: 0 bytes/workgroup (compile time only)
; SGPRBlocks: 2
; VGPRBlocks: 4
; NumSGPRsForWavesPerEU: 18
; NumVGPRsForWavesPerEU: 35
; Occupancy: 16
; WaveLimiterHint : 0
; COMPUTE_PGM_RSRC2:SCRATCH_EN: 0
; COMPUTE_PGM_RSRC2:USER_SGPR: 15
; COMPUTE_PGM_RSRC2:TRAP_HANDLER: 0
; COMPUTE_PGM_RSRC2:TGID_X_EN: 1
; COMPUTE_PGM_RSRC2:TGID_Y_EN: 0
; COMPUTE_PGM_RSRC2:TGID_Z_EN: 0
; COMPUTE_PGM_RSRC2:TIDIG_COMP_CNT: 1
	.section	.text._ZN4vllm3moe17topkGatingSoftmaxIDF16_Li16ELi16ELi8ELi32ELb0ELi1ELNS0_23SharedExpertScoringFuncE1EEEvPKT_PKbPfiPiS9_iiiiii,"axG",@progbits,_ZN4vllm3moe17topkGatingSoftmaxIDF16_Li16ELi16ELi8ELi32ELb0ELi1ELNS0_23SharedExpertScoringFuncE1EEEvPKT_PKbPfiPiS9_iiiiii,comdat
	.protected	_ZN4vllm3moe17topkGatingSoftmaxIDF16_Li16ELi16ELi8ELi32ELb0ELi1ELNS0_23SharedExpertScoringFuncE1EEEvPKT_PKbPfiPiS9_iiiiii ; -- Begin function _ZN4vllm3moe17topkGatingSoftmaxIDF16_Li16ELi16ELi8ELi32ELb0ELi1ELNS0_23SharedExpertScoringFuncE1EEEvPKT_PKbPfiPiS9_iiiiii
	.globl	_ZN4vllm3moe17topkGatingSoftmaxIDF16_Li16ELi16ELi8ELi32ELb0ELi1ELNS0_23SharedExpertScoringFuncE1EEEvPKT_PKbPfiPiS9_iiiiii
	.p2align	8
	.type	_ZN4vllm3moe17topkGatingSoftmaxIDF16_Li16ELi16ELi8ELi32ELb0ELi1ELNS0_23SharedExpertScoringFuncE1EEEvPKT_PKbPfiPiS9_iiiiii,@function
_ZN4vllm3moe17topkGatingSoftmaxIDF16_Li16ELi16ELi8ELi32ELb0ELi1ELNS0_23SharedExpertScoringFuncE1EEEvPKT_PKbPfiPiS9_iiiiii: ; @_ZN4vllm3moe17topkGatingSoftmaxIDF16_Li16ELi16ELi8ELi32ELb0ELi1ELNS0_23SharedExpertScoringFuncE1EEEvPKT_PKbPfiPiS9_iiiiii
; %bb.0:
	s_load_b32 s24, s[0:1], 0x18
	v_bfe_u32 v1, v0, 10, 10
	v_and_b32_e32 v26, 0x3ff, v0
	s_lshl_b32 s26, s15, 8
	s_mov_b32 s2, exec_lo
	s_delay_alu instid0(VALU_DEP_2) | instskip(NEXT) | instid1(VALU_DEP_1)
	v_lshlrev_b32_e32 v25, 5, v1
	v_add3_u32 v27, v25, v26, s26
	s_waitcnt lgkmcnt(0)
	s_delay_alu instid0(VALU_DEP_1)
	v_cmpx_gt_i32_e64 s24, v27
	s_cbranch_execz .LBB149_12
; %bb.1:
	s_clause 0x1
	s_load_b128 s[4:7], s[0:1], 0x0
	s_load_b64 s[20:21], s[0:1], 0x10
	s_waitcnt lgkmcnt(0)
	s_cmp_eq_u64 s[6:7], 0
	s_cbranch_scc1 .LBB149_3
; %bb.2:
	v_ashrrev_i32_e32 v1, 31, v27
	v_add_co_u32 v0, vcc_lo, s6, v27
	s_delay_alu instid0(VALU_DEP_2) | instskip(SKIP_3) | instid1(VALU_DEP_1)
	v_add_co_ci_u32_e32 v1, vcc_lo, s7, v1, vcc_lo
	global_load_u8 v0, v[0:1], off
	s_waitcnt vmcnt(0)
	v_and_b32_e32 v0, 1, v0
	v_cmp_eq_u32_e32 vcc_lo, 1, v0
	s_xor_b32 s2, vcc_lo, -1
	s_delay_alu instid0(SALU_CYCLE_1)
	s_or_not1_b32 s25, s2, exec_lo
	s_branch .LBB149_4
.LBB149_3:
	s_mov_b32 s25, -1
.LBB149_4:
	s_clause 0x1
	s_load_b64 s[22:23], s[0:1], 0x40
	s_load_b128 s[16:19], s[0:1], 0x30
	s_mov_b32 s2, 0x3fb8aa3b
	s_waitcnt lgkmcnt(0)
	v_mul_lo_u32 v0, v27, s23
	s_cmp_gt_i32 s16, 0
	s_delay_alu instid0(VALU_DEP_1) | instskip(NEXT) | instid1(VALU_DEP_1)
	v_ashrrev_i32_e32 v1, 31, v0
	v_lshlrev_b64 v[0:1], 1, v[0:1]
	s_delay_alu instid0(VALU_DEP_1) | instskip(NEXT) | instid1(VALU_DEP_2)
	v_add_co_u32 v4, vcc_lo, s4, v0
	v_add_co_ci_u32_e32 v5, vcc_lo, s5, v1, vcc_lo
	s_clause 0x2
	global_load_u16 v8, v[4:5], off offset:32
	global_load_b128 v[0:3], v[4:5], off
	global_load_b128 v[4:7], v[4:5], off offset:16
	s_waitcnt vmcnt(2)
	v_cvt_f32_f16_e64 v9, -v8
	s_waitcnt vmcnt(1)
	v_lshrrev_b32_e32 v13, 16, v0
	v_cvt_f32_f16_e32 v24, v0
	v_cvt_f32_f16_e32 v20, v1
	v_lshrrev_b32_e32 v1, 16, v1
	v_mul_f32_e32 v10, 0x3fb8aa3b, v9
	v_cvt_f32_f16_e32 v22, v13
	v_cmp_lt_f16_e64 s5, v0, v13
	v_cvt_f32_f16_e32 v21, v2
	v_cvt_f32_f16_e32 v23, v1
	v_fma_mix_f32 v11, -v8, s2, -v10 op_sel_hi:[1,0,0]
	v_rndne_f32_e32 v12, v10
	v_cndmask_b32_e64 v0, v24, v22, s5
	v_lshrrev_b32_e32 v2, 16, v2
	s_mov_b32 s2, 0x32a5705f
	v_cmp_ngt_f32_e32 vcc_lo, 0xc2ce8ed0, v9
	v_fma_mix_f32 v8, -v8, s2, v11 op_sel_hi:[1,0,0]
	v_cmp_lt_f32_e64 s6, v0, v20
	v_sub_f32_e32 v10, v10, v12
	v_cvt_f32_f16_e32 v19, v2
	v_cvt_f32_f16_e32 v18, v3
	v_cvt_i32_f32_e32 v1, v12
	v_cndmask_b32_e64 v0, v0, v20, s6
	v_add_f32_e32 v8, v10, v8
	v_lshrrev_b32_e32 v2, 16, v3
	s_waitcnt vmcnt(0)
	v_cvt_f32_f16_e32 v16, v4
	v_cvt_f32_f16_e32 v14, v5
	v_cmp_lt_f32_e64 s8, v0, v23
	v_exp_f32_e32 v8, v8
	v_cvt_f32_f16_e32 v17, v2
	v_lshrrev_b32_e32 v2, 16, v5
	v_cvt_f32_f16_e32 v11, v6
	v_cndmask_b32_e64 v0, v0, v23, s8
	s_delay_alu instid0(VALU_DEP_3) | instskip(SKIP_1) | instid1(VALU_DEP_3)
	v_cvt_f32_f16_e32 v13, v2
	v_lshrrev_b32_e32 v2, 16, v6
	v_cmp_lt_f32_e64 s11, v0, v21
	s_delay_alu instid0(TRANS32_DEP_1) | instskip(NEXT) | instid1(VALU_DEP_3)
	v_ldexp_f32 v1, v8, v1
	v_cvt_f32_f16_e32 v10, v2
	s_delay_alu instid0(VALU_DEP_3) | instskip(NEXT) | instid1(VALU_DEP_3)
	v_cndmask_b32_e64 v0, v0, v21, s11
	v_cndmask_b32_e32 v1, 0, v1, vcc_lo
	v_cmp_nlt_f32_e32 vcc_lo, 0x42b17218, v9
	v_cvt_f32_f16_e32 v9, v7
	v_lshrrev_b32_e32 v7, 16, v7
	v_cmp_lt_f32_e64 s14, v0, v19
	v_cndmask_b32_e32 v1, 0x7f800000, v1, vcc_lo
	s_delay_alu instid0(VALU_DEP_3) | instskip(NEXT) | instid1(VALU_DEP_3)
	v_cvt_f32_f16_e32 v7, v7
	v_cndmask_b32_e64 v0, v0, v19, s14
	s_delay_alu instid0(VALU_DEP_3) | instskip(SKIP_1) | instid1(VALU_DEP_3)
	v_add_f32_e32 v3, 1.0, v1
	v_lshrrev_b32_e32 v1, 16, v4
	v_cmp_lt_f32_e64 s15, v0, v18
	s_delay_alu instid0(VALU_DEP_3) | instskip(NEXT) | instid1(VALU_DEP_3)
	v_div_scale_f32 v8, null, v3, v3, 1.0
	v_cvt_f32_f16_e32 v15, v1
	s_delay_alu instid0(VALU_DEP_3) | instskip(NEXT) | instid1(VALU_DEP_3)
	v_cndmask_b32_e64 v0, v0, v18, s15
	v_rcp_f32_e32 v4, v8
	s_delay_alu instid0(VALU_DEP_1) | instskip(NEXT) | instid1(VALU_DEP_1)
	v_cmp_lt_f32_e64 s9, v0, v17
	v_cndmask_b32_e64 v0, v0, v17, s9
	s_waitcnt_depctr 0xfff
	v_fma_f32 v5, -v8, v4, 1.0
	v_cmp_lt_f32_e64 s10, v0, v16
	s_delay_alu instid0(VALU_DEP_2) | instskip(SKIP_1) | instid1(VALU_DEP_3)
	v_fmac_f32_e32 v4, v5, v4
	v_div_scale_f32 v12, vcc_lo, 1.0, v3, 1.0
	v_cndmask_b32_e64 v1, v0, v16, s10
	v_mul_lo_u32 v0, v27, s19
	s_cselect_b32 s19, -1, 0
	s_delay_alu instid0(VALU_DEP_3) | instskip(SKIP_2) | instid1(VALU_DEP_2)
	v_mul_f32_e32 v5, v12, v4
	s_cmp_lt_i32 s16, 1
	v_cmp_lt_f32_e64 s12, v1, v15
	v_fma_f32 v28, -v8, v5, v12
	s_delay_alu instid0(VALU_DEP_2) | instskip(NEXT) | instid1(VALU_DEP_2)
	v_cndmask_b32_e64 v1, v1, v15, s12
	v_fmac_f32_e32 v5, v28, v4
	s_delay_alu instid0(VALU_DEP_2) | instskip(NEXT) | instid1(VALU_DEP_2)
	v_cmp_lt_f32_e64 s13, v1, v14
	v_fma_f32 v8, -v8, v5, v12
	v_mov_b32_e32 v12, 0
	s_delay_alu instid0(VALU_DEP_3) | instskip(NEXT) | instid1(VALU_DEP_3)
	v_cndmask_b32_e64 v1, v1, v14, s13
	v_div_fmas_f32 v4, v8, v4, v5
	s_delay_alu instid0(VALU_DEP_2) | instskip(NEXT) | instid1(VALU_DEP_2)
	v_cmp_lt_f32_e64 s7, v1, v13
	v_div_fixup_f32 v3, v4, v3, 1.0
	s_delay_alu instid0(VALU_DEP_2) | instskip(NEXT) | instid1(VALU_DEP_1)
	v_cndmask_b32_e64 v6, v1, v13, s7
	v_cmp_lt_f32_e64 s4, v6, v11
	s_delay_alu instid0(VALU_DEP_1) | instskip(NEXT) | instid1(VALU_DEP_1)
	v_cndmask_b32_e64 v6, v6, v11, s4
	v_cmp_lt_f32_e64 s3, v6, v10
	s_delay_alu instid0(VALU_DEP_1) | instskip(NEXT) | instid1(VALU_DEP_1)
	v_cndmask_b32_e64 v6, v6, v10, s3
	v_cmp_lt_f32_e64 s2, v6, v9
	s_delay_alu instid0(VALU_DEP_1) | instskip(SKIP_1) | instid1(VALU_DEP_1)
	v_cndmask_b32_e64 v6, v6, v9, s2
	v_add_nc_u32_e32 v1, s16, v0
	v_ashrrev_i32_e32 v2, 31, v1
	s_delay_alu instid0(VALU_DEP_1) | instskip(NEXT) | instid1(VALU_DEP_1)
	v_lshlrev_b64 v[1:2], 2, v[1:2]
	v_add_co_u32 v1, vcc_lo, s20, v1
	s_delay_alu instid0(VALU_DEP_2)
	v_add_co_ci_u32_e32 v2, vcc_lo, s21, v2, vcc_lo
	v_cmp_lt_f32_e32 vcc_lo, v6, v7
	global_store_b32 v[1:2], v3, off
	v_cndmask_b32_e32 v8, v6, v7, vcc_lo
	s_cbranch_scc1 .LBB149_8
; %bb.5:
	v_cndmask_b32_e64 v1, 0, 1, s5
	s_delay_alu instid0(VALU_DEP_2) | instskip(SKIP_2) | instid1(VALU_DEP_4)
	v_sub_f32_e32 v12, v8, v8
	v_mul_lo_u32 v2, v27, s22
	v_mul_lo_u32 v28, v27, s16
	v_cndmask_b32_e64 v1, v1, 2, s6
	s_delay_alu instid0(VALU_DEP_4) | instskip(NEXT) | instid1(VALU_DEP_2)
	v_mul_f32_e32 v3, 0x3fb8aa3b, v12
	v_cndmask_b32_e64 v1, v1, 3, s8
	s_delay_alu instid0(VALU_DEP_2) | instskip(SKIP_1) | instid1(VALU_DEP_3)
	v_rndne_f32_e32 v4, v3
	v_fma_f32 v5, 0x3fb8aa3b, v12, -v3
	v_cndmask_b32_e64 v1, v1, 4, s11
	s_delay_alu instid0(VALU_DEP_3) | instskip(NEXT) | instid1(VALU_DEP_3)
	v_sub_f32_e32 v3, v3, v4
	v_fmac_f32_e32 v5, 0x32a5705f, v12
	v_cvt_i32_f32_e32 v32, v4
	s_delay_alu instid0(VALU_DEP_4) | instskip(NEXT) | instid1(VALU_DEP_3)
	v_cndmask_b32_e64 v1, v1, 5, s14
	v_add_f32_e32 v30, v3, v5
	v_ashrrev_i32_e32 v3, 31, v2
	s_delay_alu instid0(VALU_DEP_3) | instskip(NEXT) | instid1(VALU_DEP_3)
	v_cndmask_b32_e64 v1, v1, 6, s15
	v_exp_f32_e32 v30, v30
	s_delay_alu instid0(VALU_DEP_1) | instskip(NEXT) | instid1(VALU_DEP_1)
	v_cndmask_b32_e64 v1, v1, 7, s9
	v_cndmask_b32_e64 v1, v1, 8, s10
	s_load_b128 s[8:11], s[0:1], 0x20
	s_waitcnt_depctr 0xfff
	v_ldexp_f32 v30, v30, v32
	v_cndmask_b32_e64 v1, v1, 9, s12
	s_delay_alu instid0(VALU_DEP_1) | instskip(SKIP_1) | instid1(VALU_DEP_2)
	v_cndmask_b32_e64 v6, v1, 10, s13
	v_ashrrev_i32_e32 v1, 31, v0
	v_cndmask_b32_e64 v29, v6, 11, s7
	s_delay_alu instid0(VALU_DEP_2) | instskip(SKIP_1) | instid1(VALU_DEP_3)
	v_lshlrev_b64 v[5:6], 2, v[0:1]
	v_lshlrev_b64 v[1:2], 2, v[2:3]
	v_cndmask_b32_e64 v31, v29, 12, s4
	v_ashrrev_i32_e32 v29, 31, v28
	s_delay_alu instid0(VALU_DEP_4) | instskip(NEXT) | instid1(VALU_DEP_1)
	v_add_co_u32 v5, s0, s20, v5
	v_add_co_ci_u32_e64 v6, s0, s21, v6, s0
	s_delay_alu instid0(VALU_DEP_4) | instskip(NEXT) | instid1(VALU_DEP_4)
	v_cndmask_b32_e64 v31, v31, 13, s3
	v_lshlrev_b64 v[3:4], 2, v[28:29]
	s_waitcnt lgkmcnt(0)
	v_add_co_u32 v28, s0, s8, v1
	s_delay_alu instid0(VALU_DEP_1) | instskip(SKIP_2) | instid1(VALU_DEP_2)
	v_add_co_ci_u32_e64 v29, s0, s9, v2, s0
	v_cndmask_b32_e64 v31, v31, 14, s2
	v_cmp_ngt_f32_e64 s0, 0xc2ce8ed0, v12
	v_cndmask_b32_e64 v33, v31, 15, vcc_lo
	s_delay_alu instid0(VALU_DEP_2) | instskip(SKIP_2) | instid1(VALU_DEP_4)
	v_cndmask_b32_e64 v32, 0, v30, s0
	v_add_co_u32 v30, vcc_lo, s10, v3
	v_add_co_ci_u32_e32 v31, vcc_lo, s11, v4, vcc_lo
	v_cmp_ne_u32_e64 s1, 15, v33
	v_cmp_nlt_f32_e32 vcc_lo, 0x42b17218, v12
	v_cmp_gt_i32_e64 s0, s18, v33
	s_delay_alu instid0(VALU_DEP_3) | instskip(SKIP_4) | instid1(VALU_DEP_4)
	v_cndmask_b32_e64 v7, 0xff800000, v7, s1
	v_cmp_ne_u32_e64 s1, 14, v33
	v_cndmask_b32_e32 v12, 0x7f800000, v32, vcc_lo
	v_cmp_le_i32_e32 vcc_lo, s17, v33
	v_subrev_nc_u32_e32 v32, s17, v33
	v_cndmask_b32_e64 v9, 0xff800000, v9, s1
	v_cmp_ne_u32_e64 s1, 13, v33
	s_and_b32 s0, vcc_lo, s0
	v_cmp_ne_u32_e32 vcc_lo, 3, v33
	global_store_b32 v[5:6], v12, off
	v_cndmask_b32_e64 v10, 0xff800000, v10, s1
	v_cmp_ne_u32_e64 s1, 12, v33
	v_cndmask_b32_e32 v23, 0xff800000, v23, vcc_lo
	s_and_b32 vcc_lo, s25, s0
	s_cmp_eq_u32 s16, 1
	v_cndmask_b32_e32 v32, 16, v32, vcc_lo
	v_cndmask_b32_e64 v11, 0xff800000, v11, s1
	v_cmp_ne_u32_e64 s1, 11, v33
	v_cmp_ne_u32_e32 vcc_lo, 2, v33
	global_store_b32 v[28:29], v32, off
	global_store_b32 v[30:31], v27, off
	v_cndmask_b32_e64 v13, 0xff800000, v13, s1
	v_cmp_ne_u32_e64 s1, 10, v33
	v_cndmask_b32_e32 v20, 0xff800000, v20, vcc_lo
	v_cmp_ne_u32_e32 vcc_lo, 1, v33
	s_delay_alu instid0(VALU_DEP_3) | instskip(SKIP_3) | instid1(VALU_DEP_3)
	v_cndmask_b32_e64 v14, 0xff800000, v14, s1
	v_cmp_ne_u32_e64 s1, 9, v33
	v_cndmask_b32_e32 v22, 0xff800000, v22, vcc_lo
	v_cmp_ne_u32_e32 vcc_lo, 0, v33
	v_cndmask_b32_e64 v15, 0xff800000, v15, s1
	v_cmp_ne_u32_e64 s1, 8, v33
	v_cndmask_b32_e32 v24, 0xff800000, v24, vcc_lo
	s_delay_alu instid0(VALU_DEP_2) | instskip(SKIP_1) | instid1(VALU_DEP_1)
	v_cndmask_b32_e64 v16, 0xff800000, v16, s1
	v_cmp_ne_u32_e64 s1, 7, v33
	v_cndmask_b32_e64 v17, 0xff800000, v17, s1
	v_cmp_ne_u32_e64 s1, 6, v33
	s_delay_alu instid0(VALU_DEP_1) | instskip(SKIP_1) | instid1(VALU_DEP_1)
	v_cndmask_b32_e64 v18, 0xff800000, v18, s1
	v_cmp_ne_u32_e64 s1, 5, v33
	v_cndmask_b32_e64 v19, 0xff800000, v19, s1
	v_cmp_ne_u32_e64 s1, 4, v33
	s_delay_alu instid0(VALU_DEP_1)
	v_cndmask_b32_e64 v21, 0xff800000, v21, s1
	s_cbranch_scc1 .LBB149_8
; %bb.6:
	v_add_co_u32 v3, vcc_lo, v3, s10
	v_add_co_ci_u32_e32 v4, vcc_lo, s11, v4, vcc_lo
	v_add_co_u32 v27, vcc_lo, v1, s8
	v_add_co_ci_u32_e32 v28, vcc_lo, s9, v2, vcc_lo
	s_delay_alu instid0(VALU_DEP_4) | instskip(NEXT) | instid1(VALU_DEP_4)
	v_add_co_u32 v1, vcc_lo, v3, 4
	v_add_co_ci_u32_e32 v2, vcc_lo, 0, v4, vcc_lo
	s_delay_alu instid0(VALU_DEP_4) | instskip(NEXT) | instid1(VALU_DEP_4)
	v_add_co_u32 v3, vcc_lo, v27, 4
	v_add_co_ci_u32_e32 v4, vcc_lo, 0, v28, vcc_lo
	s_add_i32 s26, s26, s24
	v_add_co_u32 v5, vcc_lo, v5, 4
	v_add_co_ci_u32_e32 v6, vcc_lo, 0, v6, vcc_lo
	v_add3_u32 v25, s26, v26, v25
	s_add_i32 s2, s16, -1
.LBB149_7:                              ; =>This Inner Loop Header: Depth=1
	v_cmp_gt_f32_e32 vcc_lo, v22, v24
	s_add_i32 s2, s2, -1
	v_cndmask_b32_e32 v26, v24, v22, vcc_lo
	v_cndmask_b32_e64 v27, 0, 1, vcc_lo
	s_delay_alu instid0(VALU_DEP_2) | instskip(SKIP_1) | instid1(VALU_DEP_3)
	v_cmp_gt_f32_e32 vcc_lo, v20, v26
	v_cndmask_b32_e32 v26, v26, v20, vcc_lo
	v_cndmask_b32_e64 v27, v27, 2, vcc_lo
	s_delay_alu instid0(VALU_DEP_2) | instskip(SKIP_1) | instid1(VALU_DEP_3)
	v_cmp_gt_f32_e32 vcc_lo, v23, v26
	;; [unrolled: 4-line block ×13, first 2 shown]
	v_cndmask_b32_e32 v26, v26, v9, vcc_lo
	v_cndmask_b32_e64 v27, v27, 14, vcc_lo
	s_delay_alu instid0(VALU_DEP_2) | instskip(NEXT) | instid1(VALU_DEP_2)
	v_cmp_gt_f32_e32 vcc_lo, v7, v26
	v_cndmask_b32_e64 v27, v27, 15, vcc_lo
	v_cndmask_b32_e32 v26, v26, v7, vcc_lo
	s_delay_alu instid0(VALU_DEP_2) | instskip(NEXT) | instid1(VALU_DEP_2)
	v_cmp_ne_u32_e64 s1, 15, v27
	v_sub_f32_e32 v26, v26, v8
	v_cmp_le_i32_e32 vcc_lo, s17, v27
	v_cmp_gt_i32_e64 s0, s18, v27
	v_subrev_nc_u32_e32 v29, s17, v27
	v_cndmask_b32_e64 v7, 0xff800000, v7, s1
	v_cmp_ne_u32_e64 s1, 14, v27
	v_mul_f32_e32 v28, 0x3fb8aa3b, v26
	s_and_b32 s0, vcc_lo, s0
	s_delay_alu instid0(SALU_CYCLE_1) | instskip(NEXT) | instid1(VALU_DEP_2)
	s_and_b32 vcc_lo, s25, s0
	v_cndmask_b32_e64 v9, 0xff800000, v9, s1
	v_cmp_ne_u32_e64 s1, 13, v27
	v_rndne_f32_e32 v30, v28
	v_cndmask_b32_e32 v29, 16, v29, vcc_lo
	global_store_b32 v[3:4], v29, off
	global_store_b32 v[1:2], v25, off
	v_cndmask_b32_e64 v10, 0xff800000, v10, s1
	v_cmp_ne_u32_e64 s1, 12, v27
	v_add_co_u32 v1, vcc_lo, v1, 4
	v_add_co_ci_u32_e32 v2, vcc_lo, 0, v2, vcc_lo
	s_delay_alu instid0(VALU_DEP_3) | instskip(SKIP_3) | instid1(VALU_DEP_3)
	v_cndmask_b32_e64 v11, 0xff800000, v11, s1
	v_cmp_ne_u32_e64 s1, 11, v27
	v_add_co_u32 v3, vcc_lo, v3, 4
	v_add_co_ci_u32_e32 v4, vcc_lo, 0, v4, vcc_lo
	v_cndmask_b32_e64 v13, 0xff800000, v13, s1
	v_cmp_ne_u32_e64 s1, 10, v27
	v_cmp_ngt_f32_e32 vcc_lo, 0xc2ce8ed0, v26
	v_add_nc_u32_e32 v25, s24, v25
	s_cmp_eq_u32 s2, 0
	s_delay_alu instid0(VALU_DEP_3) | instskip(SKIP_1) | instid1(VALU_DEP_1)
	v_cndmask_b32_e64 v14, 0xff800000, v14, s1
	v_cmp_ne_u32_e64 s1, 9, v27
	v_cndmask_b32_e64 v15, 0xff800000, v15, s1
	v_cmp_ne_u32_e64 s1, 8, v27
	s_delay_alu instid0(VALU_DEP_1) | instskip(SKIP_1) | instid1(VALU_DEP_1)
	v_cndmask_b32_e64 v16, 0xff800000, v16, s1
	v_cmp_ne_u32_e64 s1, 7, v27
	v_cndmask_b32_e64 v17, 0xff800000, v17, s1
	v_cmp_ne_u32_e64 s1, 6, v27
	s_delay_alu instid0(VALU_DEP_1) | instskip(SKIP_1) | instid1(VALU_DEP_1)
	;; [unrolled: 5-line block ×4, first 2 shown]
	v_cndmask_b32_e64 v20, 0xff800000, v20, s1
	v_cmp_ne_u32_e64 s1, 1, v27
	v_cndmask_b32_e64 v22, 0xff800000, v22, s1
	v_cmp_ne_u32_e64 s1, 0, v27
	v_fma_f32 v27, 0x3fb8aa3b, v26, -v28
	v_sub_f32_e32 v28, v28, v30
	v_cvt_i32_f32_e32 v30, v30
	s_delay_alu instid0(VALU_DEP_4) | instskip(NEXT) | instid1(VALU_DEP_4)
	v_cndmask_b32_e64 v24, 0xff800000, v24, s1
	v_fmac_f32_e32 v27, 0x32a5705f, v26
	s_delay_alu instid0(VALU_DEP_1) | instskip(NEXT) | instid1(VALU_DEP_1)
	v_add_f32_e32 v27, v28, v27
	v_exp_f32_e32 v27, v27
	s_waitcnt_depctr 0xfff
	v_ldexp_f32 v27, v27, v30
	s_delay_alu instid0(VALU_DEP_1) | instskip(SKIP_1) | instid1(VALU_DEP_2)
	v_cndmask_b32_e32 v27, 0, v27, vcc_lo
	v_cmp_nlt_f32_e32 vcc_lo, 0x42b17218, v26
	v_cndmask_b32_e32 v26, 0x7f800000, v27, vcc_lo
	global_store_b32 v[5:6], v26, off
	v_add_co_u32 v5, vcc_lo, v5, 4
	v_add_f32_e32 v12, v12, v26
	v_add_co_ci_u32_e32 v6, vcc_lo, 0, v6, vcc_lo
	s_cbranch_scc0 .LBB149_7
.LBB149_8:
	s_delay_alu instid0(VALU_DEP_1) | instskip(SKIP_3) | instid1(VALU_DEP_4)
	v_sub_f32_e32 v6, v23, v8
	v_sub_f32_e32 v1, v24, v8
	;; [unrolled: 1-line block ×4, first 2 shown]
	v_dual_sub_f32 v7, v7, v8 :: v_dual_mul_f32 v26, 0x3fb8aa3b, v6
	s_delay_alu instid0(VALU_DEP_4) | instskip(SKIP_2) | instid1(VALU_DEP_4)
	v_dual_sub_f32 v2, v22, v8 :: v_dual_mul_f32 v3, 0x3fb8aa3b, v1
	v_sub_f32_e32 v4, v20, v8
	v_cmp_ngt_f32_e32 vcc_lo, 0xc2ce8ed0, v1
	v_rndne_f32_e32 v29, v26
	s_delay_alu instid0(VALU_DEP_4)
	v_mul_f32_e32 v5, 0x3fb8aa3b, v2
	v_rndne_f32_e32 v22, v3
	v_sub_f32_e32 v20, v21, v8
	v_fma_f32 v21, 0x3fb8aa3b, v1, -v3
	v_mul_f32_e32 v25, 0x3fb8aa3b, v4
	v_fma_f32 v23, 0x3fb8aa3b, v2, -v5
	v_sub_f32_e32 v3, v3, v22
	v_rndne_f32_e32 v24, v5
	v_fmac_f32_e32 v21, 0x32a5705f, v1
	v_fma_f32 v28, 0x3fb8aa3b, v6, -v26
	v_cvt_i32_f32_e32 v22, v22
	v_sub_f32_e32 v18, v18, v8
	v_sub_f32_e32 v5, v5, v24
	s_delay_alu instid0(VALU_DEP_4) | instskip(SKIP_3) | instid1(VALU_DEP_4)
	v_dual_add_f32 v3, v3, v21 :: v_dual_fmac_f32 v28, 0x32a5705f, v6
	v_cvt_i32_f32_e32 v24, v24
	v_sub_f32_e32 v14, v14, v8
	v_sub_f32_e32 v13, v13, v8
	v_exp_f32_e32 v3, v3
	v_sub_f32_e32 v10, v10, v8
	s_waitcnt_depctr 0xfff
	v_ldexp_f32 v3, v3, v22
	v_dual_sub_f32 v22, v26, v29 :: v_dual_fmac_f32 v23, 0x32a5705f, v2
	v_fma_f32 v21, 0x3fb8aa3b, v4, -v25
	s_delay_alu instid0(VALU_DEP_2) | instskip(NEXT) | instid1(VALU_DEP_3)
	v_dual_cndmask_b32 v3, 0, v3 :: v_dual_add_f32 v22, v22, v28
	v_add_f32_e32 v5, v5, v23
	v_cmp_ngt_f32_e32 vcc_lo, 0xc2ce8ed0, v2
	v_rndne_f32_e32 v23, v25
	v_fmac_f32_e32 v21, 0x32a5705f, v4
	v_exp_f32_e32 v22, v22
	v_exp_f32_e32 v5, v5
	s_waitcnt_depctr 0xfff
	v_ldexp_f32 v5, v5, v24
	s_delay_alu instid0(VALU_DEP_1)
	v_cndmask_b32_e32 v5, 0, v5, vcc_lo
	v_cmp_nlt_f32_e32 vcc_lo, 0x42b17218, v1
	v_cndmask_b32_e32 v1, 0x7f800000, v3, vcc_lo
	v_cmp_nlt_f32_e32 vcc_lo, 0x42b17218, v2
	v_sub_f32_e32 v25, v25, v23
	v_cvt_i32_f32_e32 v23, v23
	v_cndmask_b32_e32 v2, 0x7f800000, v5, vcc_lo
	s_delay_alu instid0(VALU_DEP_3) | instskip(SKIP_1) | instid1(VALU_DEP_3)
	v_add_f32_e32 v21, v25, v21
	v_cmp_ngt_f32_e32 vcc_lo, 0xc2ce8ed0, v4
	v_add_f32_e32 v1, v1, v2
	s_delay_alu instid0(VALU_DEP_3) | instskip(SKIP_2) | instid1(VALU_DEP_1)
	v_exp_f32_e32 v21, v21
	s_waitcnt_depctr 0xfff
	v_ldexp_f32 v5, v21, v23
	v_dual_mul_f32 v27, 0x3fb8aa3b, v20 :: v_dual_cndmask_b32 v2, 0, v5
	v_cvt_i32_f32_e32 v5, v29
	v_cmp_nlt_f32_e32 vcc_lo, 0x42b17218, v4
	s_delay_alu instid0(VALU_DEP_3) | instskip(SKIP_1) | instid1(VALU_DEP_4)
	v_fma_f32 v3, 0x3fb8aa3b, v20, -v27
	v_rndne_f32_e32 v21, v27
	v_ldexp_f32 v4, v22, v5
	v_cndmask_b32_e32 v2, 0x7f800000, v2, vcc_lo
	v_cmp_ngt_f32_e32 vcc_lo, 0xc2ce8ed0, v6
	v_fmac_f32_e32 v3, 0x32a5705f, v20
	s_delay_alu instid0(VALU_DEP_3) | instskip(SKIP_3) | instid1(VALU_DEP_2)
	v_dual_add_f32 v1, v1, v2 :: v_dual_cndmask_b32 v2, 0, v4
	v_cmp_nlt_f32_e32 vcc_lo, 0x42b17218, v6
	v_sub_f32_e32 v23, v27, v21
	v_cvt_i32_f32_e32 v6, v21
	v_dual_cndmask_b32 v2, 0x7f800000, v2 :: v_dual_add_f32 v3, v23, v3
	v_cmp_ngt_f32_e32 vcc_lo, 0xc2ce8ed0, v20
	s_delay_alu instid0(VALU_DEP_2) | instskip(NEXT) | instid1(VALU_DEP_3)
	v_add_f32_e32 v1, v1, v2
	v_exp_f32_e32 v3, v3
	s_waitcnt_depctr 0xfff
	v_ldexp_f32 v2, v3, v6
	s_delay_alu instid0(VALU_DEP_1) | instskip(SKIP_1) | instid1(VALU_DEP_2)
	v_cndmask_b32_e32 v2, 0, v2, vcc_lo
	v_cmp_nlt_f32_e32 vcc_lo, 0x42b17218, v20
	v_cndmask_b32_e32 v2, 0x7f800000, v2, vcc_lo
	v_mul_f32_e32 v5, 0x3fb8aa3b, v19
	v_cmp_ngt_f32_e32 vcc_lo, 0xc2ce8ed0, v19
	s_delay_alu instid0(VALU_DEP_3) | instskip(NEXT) | instid1(VALU_DEP_3)
	v_add_f32_e32 v1, v1, v2
	v_fma_f32 v4, 0x3fb8aa3b, v19, -v5
	v_rndne_f32_e32 v22, v5
	s_delay_alu instid0(VALU_DEP_1) | instskip(SKIP_1) | instid1(VALU_DEP_2)
	v_dual_fmac_f32 v4, 0x32a5705f, v19 :: v_dual_sub_f32 v5, v5, v22
	v_cvt_i32_f32_e32 v20, v22
	v_add_f32_e32 v3, v5, v4
	s_delay_alu instid0(VALU_DEP_1) | instskip(SKIP_2) | instid1(VALU_DEP_1)
	v_exp_f32_e32 v3, v3
	s_waitcnt_depctr 0xfff
	v_ldexp_f32 v2, v3, v20
	v_cndmask_b32_e32 v2, 0, v2, vcc_lo
	v_cmp_nlt_f32_e32 vcc_lo, 0x42b17218, v19
	s_delay_alu instid0(VALU_DEP_2) | instskip(SKIP_2) | instid1(VALU_DEP_3)
	v_cndmask_b32_e32 v2, 0x7f800000, v2, vcc_lo
	v_cmp_ngt_f32_e32 vcc_lo, 0xc2ce8ed0, v18
	v_mul_f32_e32 v21, 0x3fb8aa3b, v18
	v_add_f32_e32 v1, v1, v2
	s_delay_alu instid0(VALU_DEP_2) | instskip(SKIP_1) | instid1(VALU_DEP_2)
	v_fma_f32 v4, 0x3fb8aa3b, v18, -v21
	v_rndne_f32_e32 v5, v21
	v_fmac_f32_e32 v4, 0x32a5705f, v18
	s_delay_alu instid0(VALU_DEP_2) | instskip(SKIP_1) | instid1(VALU_DEP_2)
	v_sub_f32_e32 v6, v21, v5
	v_cvt_i32_f32_e32 v5, v5
	v_add_f32_e32 v4, v6, v4
	s_delay_alu instid0(VALU_DEP_1) | instskip(SKIP_2) | instid1(VALU_DEP_1)
	v_exp_f32_e32 v3, v4
	s_waitcnt_depctr 0xfff
	v_ldexp_f32 v3, v3, v5
	v_cndmask_b32_e32 v2, 0, v3, vcc_lo
	v_cmp_nlt_f32_e32 vcc_lo, 0x42b17218, v18
	s_delay_alu instid0(VALU_DEP_2) | instskip(SKIP_2) | instid1(VALU_DEP_2)
	v_cndmask_b32_e32 v2, 0x7f800000, v2, vcc_lo
	v_mul_f32_e32 v6, 0x3fb8aa3b, v17
	v_cmp_ngt_f32_e32 vcc_lo, 0xc2ce8ed0, v17
	v_fma_f32 v4, 0x3fb8aa3b, v17, -v6
	v_rndne_f32_e32 v20, v6
	s_delay_alu instid0(VALU_DEP_2) | instskip(NEXT) | instid1(VALU_DEP_2)
	v_fmac_f32_e32 v4, 0x32a5705f, v17
	v_sub_f32_e32 v6, v6, v20
	s_delay_alu instid0(VALU_DEP_1) | instskip(SKIP_3) | instid1(VALU_DEP_4)
	v_add_f32_e32 v4, v6, v4
	v_sub_f32_e32 v6, v15, v8
	v_cvt_i32_f32_e32 v15, v20
	v_mul_f32_e32 v20, 0x3fb8aa3b, v13
	v_exp_f32_e32 v3, v4
	s_delay_alu instid0(VALU_DEP_3)
	v_mul_f32_e32 v19, 0x3fb8aa3b, v6
	v_add_f32_e32 v1, v1, v2
	s_waitcnt_depctr 0xfff
	v_ldexp_f32 v2, v3, v15
	v_sub_f32_e32 v5, v16, v8
	v_rndne_f32_e32 v15, v19
	s_delay_alu instid0(VALU_DEP_3) | instskip(NEXT) | instid1(VALU_DEP_3)
	v_cndmask_b32_e32 v2, 0, v2, vcc_lo
	v_mul_f32_e32 v4, 0x3fb8aa3b, v5
	v_cmp_nlt_f32_e32 vcc_lo, 0x42b17218, v17
	s_delay_alu instid0(VALU_DEP_2) | instskip(SKIP_3) | instid1(VALU_DEP_3)
	v_fma_f32 v16, 0x3fb8aa3b, v5, -v4
	v_rndne_f32_e32 v18, v4
	v_cndmask_b32_e32 v2, 0x7f800000, v2, vcc_lo
	v_cmp_ngt_f32_e32 vcc_lo, 0xc2ce8ed0, v5
	v_dual_fmac_f32 v16, 0x32a5705f, v5 :: v_dual_sub_f32 v3, v4, v18
	v_fma_f32 v4, 0x3fb8aa3b, v6, -v19
	v_cvt_i32_f32_e32 v18, v18
	s_delay_alu instid0(VALU_DEP_2) | instskip(SKIP_2) | instid1(VALU_DEP_3)
	v_dual_add_f32 v3, v3, v16 :: v_dual_fmac_f32 v4, 0x32a5705f, v6
	v_dual_sub_f32 v16, v19, v15 :: v_dual_mul_f32 v19, 0x3fb8aa3b, v14
	v_add_f32_e32 v1, v1, v2
	v_exp_f32_e32 v3, v3
	s_delay_alu instid0(VALU_DEP_2) | instskip(NEXT) | instid1(VALU_DEP_3)
	v_add_f32_e32 v4, v16, v4
	v_fma_f32 v16, 0x3fb8aa3b, v14, -v19
	v_rndne_f32_e32 v17, v19
	s_delay_alu instid0(VALU_DEP_3) | instskip(NEXT) | instid1(VALU_DEP_1)
	v_exp_f32_e32 v4, v4
	v_dual_fmac_f32 v16, 0x32a5705f, v14 :: v_dual_sub_f32 v19, v19, v17
	s_waitcnt_depctr 0xfff
	v_ldexp_f32 v2, v3, v18
	v_cvt_i32_f32_e32 v3, v15
	v_rndne_f32_e32 v18, v20
	s_delay_alu instid0(VALU_DEP_3) | instskip(SKIP_1) | instid1(VALU_DEP_4)
	v_dual_add_f32 v15, v19, v16 :: v_dual_cndmask_b32 v2, 0, v2
	v_fma_f32 v16, 0x3fb8aa3b, v13, -v20
	v_ldexp_f32 v3, v4, v3
	v_cmp_nlt_f32_e32 vcc_lo, 0x42b17218, v5
	s_delay_alu instid0(VALU_DEP_4) | instskip(SKIP_4) | instid1(VALU_DEP_2)
	v_exp_f32_e32 v4, v15
	v_cvt_i32_f32_e32 v5, v17
	v_fmac_f32_e32 v16, 0x32a5705f, v13
	v_cndmask_b32_e32 v2, 0x7f800000, v2, vcc_lo
	v_cmp_ngt_f32_e32 vcc_lo, 0xc2ce8ed0, v6
	v_add_f32_e32 v1, v1, v2
	s_waitcnt_depctr 0xfff
	v_ldexp_f32 v2, v4, v5
	v_cndmask_b32_e32 v3, 0, v3, vcc_lo
	v_cmp_nlt_f32_e32 vcc_lo, 0x42b17218, v6
	v_sub_f32_e32 v5, v11, v8
	s_delay_alu instid0(VALU_DEP_1) | instskip(NEXT) | instid1(VALU_DEP_1)
	v_dual_sub_f32 v15, v20, v18 :: v_dual_mul_f32 v6, 0x3fb8aa3b, v5
	v_add_f32_e32 v15, v15, v16
	v_cndmask_b32_e32 v3, 0x7f800000, v3, vcc_lo
	v_cmp_ngt_f32_e32 vcc_lo, 0xc2ce8ed0, v14
	s_delay_alu instid0(VALU_DEP_3) | instskip(SKIP_2) | instid1(VALU_DEP_2)
	v_exp_f32_e32 v4, v15
	v_dual_mul_f32 v15, 0x3fb8aa3b, v7 :: v_dual_cndmask_b32 v2, 0, v2
	v_cmp_nlt_f32_e32 vcc_lo, 0x42b17218, v14
	v_rndne_f32_e32 v16, v15
	v_mul_f32_e32 v11, 0x3fb8aa3b, v10
	s_delay_alu instid0(VALU_DEP_4) | instskip(SKIP_2) | instid1(VALU_DEP_3)
	v_dual_cndmask_b32 v2, 0x7f800000, v2 :: v_dual_add_f32 v1, v1, v3
	v_cvt_i32_f32_e32 v3, v18
	v_cmp_ngt_f32_e32 vcc_lo, 0xc2ce8ed0, v13
	v_add_f32_e32 v1, v1, v2
	s_delay_alu instid0(TRANS32_DEP_1) | instid1(VALU_DEP_3)
	v_ldexp_f32 v3, v4, v3
	v_fma_f32 v2, 0x3fb8aa3b, v5, -v6
	v_rndne_f32_e32 v4, v6
	s_delay_alu instid0(VALU_DEP_2) | instskip(NEXT) | instid1(VALU_DEP_2)
	v_fmac_f32_e32 v2, 0x32a5705f, v5
	v_dual_sub_f32 v6, v6, v4 :: v_dual_cndmask_b32 v3, 0, v3
	v_cmp_nlt_f32_e32 vcc_lo, 0x42b17218, v13
	v_cvt_i32_f32_e32 v4, v4
	s_delay_alu instid0(VALU_DEP_3) | instskip(SKIP_3) | instid1(VALU_DEP_4)
	v_add_f32_e32 v2, v6, v2
	v_rndne_f32_e32 v6, v11
	v_cndmask_b32_e32 v3, 0x7f800000, v3, vcc_lo
	v_cmp_ngt_f32_e32 vcc_lo, 0xc2ce8ed0, v5
	v_exp_f32_e32 v2, v2
	s_waitcnt_depctr 0xfff
	v_ldexp_f32 v2, v2, v4
	v_dual_sub_f32 v9, v9, v8 :: v_dual_sub_f32 v8, v11, v6
	v_add_f32_e32 v1, v1, v3
	v_fma_f32 v3, 0x3fb8aa3b, v10, -v11
	s_delay_alu instid0(VALU_DEP_4) | instskip(SKIP_2) | instid1(VALU_DEP_4)
	v_cndmask_b32_e32 v2, 0, v2, vcc_lo
	v_cmp_nlt_f32_e32 vcc_lo, 0x42b17218, v5
	v_cvt_i32_f32_e32 v6, v6
	v_fmac_f32_e32 v3, 0x32a5705f, v10
	s_delay_alu instid0(VALU_DEP_4) | instskip(SKIP_1) | instid1(VALU_DEP_3)
	v_cndmask_b32_e32 v2, 0x7f800000, v2, vcc_lo
	v_cmp_ngt_f32_e32 vcc_lo, 0xc2ce8ed0, v10
	v_add_f32_e32 v3, v8, v3
	s_delay_alu instid0(VALU_DEP_1) | instskip(SKIP_2) | instid1(VALU_DEP_1)
	v_exp_f32_e32 v3, v3
	s_waitcnt_depctr 0xfff
	v_ldexp_f32 v3, v3, v6
	v_cndmask_b32_e32 v3, 0, v3, vcc_lo
	v_cmp_nlt_f32_e32 vcc_lo, 0x42b17218, v10
	s_delay_alu instid0(VALU_DEP_2) | instskip(SKIP_2) | instid1(VALU_DEP_1)
	v_cndmask_b32_e32 v3, 0x7f800000, v3, vcc_lo
	v_cmp_ngt_f32_e32 vcc_lo, 0xc2ce8ed0, v9
	v_mul_f32_e32 v13, 0x3fb8aa3b, v9
	v_fma_f32 v11, 0x3fb8aa3b, v9, -v13
	v_rndne_f32_e32 v14, v13
	s_delay_alu instid0(VALU_DEP_1) | instskip(SKIP_2) | instid1(VALU_DEP_3)
	v_dual_fmac_f32 v11, 0x32a5705f, v9 :: v_dual_sub_f32 v8, v13, v14
	v_fma_f32 v13, 0x3fb8aa3b, v7, -v15
	v_cvt_i32_f32_e32 v5, v14
	v_add_f32_e32 v4, v8, v11
	s_delay_alu instid0(VALU_DEP_3) | instskip(NEXT) | instid1(VALU_DEP_2)
	v_dual_fmac_f32 v13, 0x32a5705f, v7 :: v_dual_sub_f32 v8, v15, v16
	v_exp_f32_e32 v4, v4
	s_delay_alu instid0(VALU_DEP_1) | instskip(NEXT) | instid1(VALU_DEP_1)
	v_dual_add_f32 v8, v8, v13 :: v_dual_add_f32 v1, v1, v2
	v_exp_f32_e32 v6, v8
	s_waitcnt_depctr 0xfff
	v_ldexp_f32 v2, v4, v5
	v_cvt_i32_f32_e32 v4, v16
	s_delay_alu instid0(VALU_DEP_2) | instskip(SKIP_1) | instid1(VALU_DEP_3)
	v_cndmask_b32_e32 v2, 0, v2, vcc_lo
	v_cmp_nlt_f32_e32 vcc_lo, 0x42b17218, v9
	v_ldexp_f32 v4, v6, v4
	s_delay_alu instid0(VALU_DEP_3) | instskip(SKIP_1) | instid1(VALU_DEP_2)
	v_dual_add_f32 v1, v1, v3 :: v_dual_cndmask_b32 v2, 0x7f800000, v2
	v_cmp_ngt_f32_e32 vcc_lo, 0xc2ce8ed0, v7
	v_add_f32_e32 v1, v1, v2
	s_delay_alu instid0(VALU_DEP_4) | instskip(SKIP_1) | instid1(VALU_DEP_2)
	v_cndmask_b32_e32 v3, 0, v4, vcc_lo
	v_cmp_nlt_f32_e32 vcc_lo, 0x42b17218, v7
	v_cndmask_b32_e32 v2, 0x7f800000, v3, vcc_lo
	s_delay_alu instid0(VALU_DEP_1) | instskip(NEXT) | instid1(VALU_DEP_1)
	v_add_f32_e32 v1, v1, v2
	v_add_f32_e32 v2, v12, v1
	s_delay_alu instid0(VALU_DEP_1)
	v_cmp_neq_f32_e32 vcc_lo, 0, v2
	s_and_b32 exec_lo, exec_lo, vcc_lo
	s_cbranch_execz .LBB149_12
; %bb.9:
	s_and_not1_b32 vcc_lo, exec_lo, s19
	s_cbranch_vccnz .LBB149_12
; %bb.10:
	v_div_scale_f32 v1, null, v2, v2, 1.0
	v_div_scale_f32 v5, vcc_lo, 1.0, v2, 1.0
	s_delay_alu instid0(VALU_DEP_2) | instskip(SKIP_2) | instid1(VALU_DEP_1)
	v_rcp_f32_e32 v3, v1
	s_waitcnt_depctr 0xfff
	v_fma_f32 v4, -v1, v3, 1.0
	v_fmac_f32_e32 v3, v4, v3
	s_delay_alu instid0(VALU_DEP_1) | instskip(NEXT) | instid1(VALU_DEP_1)
	v_mul_f32_e32 v4, v5, v3
	v_fma_f32 v6, -v1, v4, v5
	s_delay_alu instid0(VALU_DEP_1) | instskip(NEXT) | instid1(VALU_DEP_1)
	v_fmac_f32_e32 v4, v6, v3
	v_fma_f32 v5, -v1, v4, v5
	v_ashrrev_i32_e32 v1, 31, v0
	s_delay_alu instid0(VALU_DEP_2) | instskip(NEXT) | instid1(VALU_DEP_2)
	v_div_fmas_f32 v3, v5, v3, v4
	v_lshlrev_b64 v[0:1], 2, v[0:1]
	s_delay_alu instid0(VALU_DEP_2) | instskip(NEXT) | instid1(VALU_DEP_2)
	v_div_fixup_f32 v2, v3, v2, 1.0
	v_add_co_u32 v0, vcc_lo, s20, v0
	s_delay_alu instid0(VALU_DEP_3)
	v_add_co_ci_u32_e32 v1, vcc_lo, s21, v1, vcc_lo
.LBB149_11:                             ; =>This Inner Loop Header: Depth=1
	global_load_b32 v3, v[0:1], off
	s_add_i32 s16, s16, -1
	s_delay_alu instid0(SALU_CYCLE_1)
	s_cmp_lg_u32 s16, 0
	s_waitcnt vmcnt(0)
	v_mul_f32_e32 v3, v2, v3
	global_store_b32 v[0:1], v3, off
	v_add_co_u32 v0, vcc_lo, v0, 4
	v_add_co_ci_u32_e32 v1, vcc_lo, 0, v1, vcc_lo
	s_cbranch_scc1 .LBB149_11
.LBB149_12:
	s_nop 0
	s_sendmsg sendmsg(MSG_DEALLOC_VGPRS)
	s_endpgm
	.section	.rodata,"a",@progbits
	.p2align	6, 0x0
	.amdhsa_kernel _ZN4vllm3moe17topkGatingSoftmaxIDF16_Li16ELi16ELi8ELi32ELb0ELi1ELNS0_23SharedExpertScoringFuncE1EEEvPKT_PKbPfiPiS9_iiiiii
		.amdhsa_group_segment_fixed_size 0
		.amdhsa_private_segment_fixed_size 0
		.amdhsa_kernarg_size 72
		.amdhsa_user_sgpr_count 15
		.amdhsa_user_sgpr_dispatch_ptr 0
		.amdhsa_user_sgpr_queue_ptr 0
		.amdhsa_user_sgpr_kernarg_segment_ptr 1
		.amdhsa_user_sgpr_dispatch_id 0
		.amdhsa_user_sgpr_private_segment_size 0
		.amdhsa_wavefront_size32 1
		.amdhsa_uses_dynamic_stack 0
		.amdhsa_enable_private_segment 0
		.amdhsa_system_sgpr_workgroup_id_x 1
		.amdhsa_system_sgpr_workgroup_id_y 0
		.amdhsa_system_sgpr_workgroup_id_z 0
		.amdhsa_system_sgpr_workgroup_info 0
		.amdhsa_system_vgpr_workitem_id 1
		.amdhsa_next_free_vgpr 34
		.amdhsa_next_free_sgpr 27
		.amdhsa_reserve_vcc 1
		.amdhsa_float_round_mode_32 0
		.amdhsa_float_round_mode_16_64 0
		.amdhsa_float_denorm_mode_32 3
		.amdhsa_float_denorm_mode_16_64 3
		.amdhsa_dx10_clamp 1
		.amdhsa_ieee_mode 1
		.amdhsa_fp16_overflow 0
		.amdhsa_workgroup_processor_mode 1
		.amdhsa_memory_ordered 1
		.amdhsa_forward_progress 0
		.amdhsa_shared_vgpr_count 0
		.amdhsa_exception_fp_ieee_invalid_op 0
		.amdhsa_exception_fp_denorm_src 0
		.amdhsa_exception_fp_ieee_div_zero 0
		.amdhsa_exception_fp_ieee_overflow 0
		.amdhsa_exception_fp_ieee_underflow 0
		.amdhsa_exception_fp_ieee_inexact 0
		.amdhsa_exception_int_div_zero 0
	.end_amdhsa_kernel
	.section	.text._ZN4vllm3moe17topkGatingSoftmaxIDF16_Li16ELi16ELi8ELi32ELb0ELi1ELNS0_23SharedExpertScoringFuncE1EEEvPKT_PKbPfiPiS9_iiiiii,"axG",@progbits,_ZN4vllm3moe17topkGatingSoftmaxIDF16_Li16ELi16ELi8ELi32ELb0ELi1ELNS0_23SharedExpertScoringFuncE1EEEvPKT_PKbPfiPiS9_iiiiii,comdat
.Lfunc_end149:
	.size	_ZN4vllm3moe17topkGatingSoftmaxIDF16_Li16ELi16ELi8ELi32ELb0ELi1ELNS0_23SharedExpertScoringFuncE1EEEvPKT_PKbPfiPiS9_iiiiii, .Lfunc_end149-_ZN4vllm3moe17topkGatingSoftmaxIDF16_Li16ELi16ELi8ELi32ELb0ELi1ELNS0_23SharedExpertScoringFuncE1EEEvPKT_PKbPfiPiS9_iiiiii
                                        ; -- End function
	.section	.AMDGPU.csdata,"",@progbits
; Kernel info:
; codeLenInByte = 4532
; NumSgprs: 29
; NumVgprs: 34
; ScratchSize: 0
; MemoryBound: 0
; FloatMode: 240
; IeeeMode: 1
; LDSByteSize: 0 bytes/workgroup (compile time only)
; SGPRBlocks: 3
; VGPRBlocks: 4
; NumSGPRsForWavesPerEU: 29
; NumVGPRsForWavesPerEU: 34
; Occupancy: 16
; WaveLimiterHint : 0
; COMPUTE_PGM_RSRC2:SCRATCH_EN: 0
; COMPUTE_PGM_RSRC2:USER_SGPR: 15
; COMPUTE_PGM_RSRC2:TRAP_HANDLER: 0
; COMPUTE_PGM_RSRC2:TGID_X_EN: 1
; COMPUTE_PGM_RSRC2:TGID_Y_EN: 0
; COMPUTE_PGM_RSRC2:TGID_Z_EN: 0
; COMPUTE_PGM_RSRC2:TIDIG_COMP_CNT: 1
	.section	.text._ZN4vllm3moe17topkGatingSoftmaxIDF16_Li16ELi16ELi8ELi32ELb1ELi2ELNS0_23SharedExpertScoringFuncE1EEEvPKT_PKbPfiPiS9_iiiiii,"axG",@progbits,_ZN4vllm3moe17topkGatingSoftmaxIDF16_Li16ELi16ELi8ELi32ELb1ELi2ELNS0_23SharedExpertScoringFuncE1EEEvPKT_PKbPfiPiS9_iiiiii,comdat
	.protected	_ZN4vllm3moe17topkGatingSoftmaxIDF16_Li16ELi16ELi8ELi32ELb1ELi2ELNS0_23SharedExpertScoringFuncE1EEEvPKT_PKbPfiPiS9_iiiiii ; -- Begin function _ZN4vllm3moe17topkGatingSoftmaxIDF16_Li16ELi16ELi8ELi32ELb1ELi2ELNS0_23SharedExpertScoringFuncE1EEEvPKT_PKbPfiPiS9_iiiiii
	.globl	_ZN4vllm3moe17topkGatingSoftmaxIDF16_Li16ELi16ELi8ELi32ELb1ELi2ELNS0_23SharedExpertScoringFuncE1EEEvPKT_PKbPfiPiS9_iiiiii
	.p2align	8
	.type	_ZN4vllm3moe17topkGatingSoftmaxIDF16_Li16ELi16ELi8ELi32ELb1ELi2ELNS0_23SharedExpertScoringFuncE1EEEvPKT_PKbPfiPiS9_iiiiii,@function
_ZN4vllm3moe17topkGatingSoftmaxIDF16_Li16ELi16ELi8ELi32ELb1ELi2ELNS0_23SharedExpertScoringFuncE1EEEvPKT_PKbPfiPiS9_iiiiii: ; @_ZN4vllm3moe17topkGatingSoftmaxIDF16_Li16ELi16ELi8ELi32ELb1ELi2ELNS0_23SharedExpertScoringFuncE1EEEvPKT_PKbPfiPiS9_iiiiii
; %bb.0:
	s_load_b32 s3, s[0:1], 0x18
	v_bfe_u32 v1, v0, 10, 10
	v_and_b32_e32 v11, 0x3ff, v0
	s_lshl_b32 s15, s15, 8
	s_mov_b32 s2, exec_lo
	s_delay_alu instid0(VALU_DEP_2) | instskip(NEXT) | instid1(VALU_DEP_1)
	v_lshlrev_b32_e32 v10, 5, v1
	v_add3_u32 v13, v10, v11, s15
	s_waitcnt lgkmcnt(0)
	s_delay_alu instid0(VALU_DEP_1)
	v_cmpx_gt_i32_e64 s3, v13
	s_cbranch_execz .LBB150_12
; %bb.1:
	s_clause 0x1
	s_load_b128 s[4:7], s[0:1], 0x0
	s_load_b64 s[12:13], s[0:1], 0x10
	s_waitcnt lgkmcnt(0)
	s_cmp_eq_u64 s[6:7], 0
	s_cbranch_scc1 .LBB150_3
; %bb.2:
	v_ashrrev_i32_e32 v1, 31, v13
	v_add_co_u32 v0, vcc_lo, s6, v13
	s_delay_alu instid0(VALU_DEP_2) | instskip(SKIP_3) | instid1(VALU_DEP_1)
	v_add_co_ci_u32_e32 v1, vcc_lo, s7, v1, vcc_lo
	global_load_u8 v0, v[0:1], off
	s_waitcnt vmcnt(0)
	v_and_b32_e32 v0, 1, v0
	v_cmp_eq_u32_e32 vcc_lo, 1, v0
	s_xor_b32 s2, vcc_lo, -1
	s_delay_alu instid0(SALU_CYCLE_1)
	s_or_not1_b32 s14, s2, exec_lo
	s_branch .LBB150_4
.LBB150_3:
	s_mov_b32 s14, -1
.LBB150_4:
	s_load_b64 s[8:9], s[0:1], 0x40
	s_mov_b32 s2, 0x3fb8aa3b
	s_waitcnt lgkmcnt(0)
	v_mul_lo_u32 v0, v13, s9
	s_delay_alu instid0(VALU_DEP_1) | instskip(NEXT) | instid1(VALU_DEP_1)
	v_ashrrev_i32_e32 v1, 31, v0
	v_lshlrev_b64 v[0:1], 1, v[0:1]
	s_delay_alu instid0(VALU_DEP_1) | instskip(NEXT) | instid1(VALU_DEP_2)
	v_add_co_u32 v4, vcc_lo, s4, v0
	v_add_co_ci_u32_e32 v5, vcc_lo, s5, v1, vcc_lo
	s_mov_b32 s4, 0x32a5705f
	s_clause 0x2
	global_load_b32 v8, v[4:5], off offset:32
	global_load_b128 v[0:3], v[4:5], off offset:16
	global_load_b128 v[4:7], v[4:5], off
	s_waitcnt vmcnt(2)
	v_lshrrev_b32_e32 v9, 16, v8
	v_cvt_f32_f16_e64 v12, -v8
	s_delay_alu instid0(VALU_DEP_2) | instskip(NEXT) | instid1(VALU_DEP_2)
	v_cvt_f32_f16_e64 v9, -v9
	v_mul_f32_e32 v14, 0x3fb8aa3b, v12
	v_cmp_ngt_f32_e32 vcc_lo, 0xc2ce8ed0, v12
	s_delay_alu instid0(VALU_DEP_3) | instskip(NEXT) | instid1(VALU_DEP_3)
	v_mul_f32_e32 v15, 0x3fb8aa3b, v9
	v_fma_mix_f32 v16, -v8, s2, -v14 op_sel_hi:[1,0,0]
	v_rndne_f32_e32 v17, v14
	s_delay_alu instid0(VALU_DEP_3) | instskip(SKIP_1) | instid1(VALU_DEP_4)
	v_fma_mix_f32 v18, -v8, s2, -v15 op_sel:[1,0,0] op_sel_hi:[1,0,0]
	v_rndne_f32_e32 v19, v15
	v_fma_mix_f32 v16, -v8, s4, v16 op_sel_hi:[1,0,0]
	s_delay_alu instid0(VALU_DEP_4) | instskip(NEXT) | instid1(VALU_DEP_4)
	v_sub_f32_e32 v14, v14, v17
	v_fma_mix_f32 v8, -v8, s4, v18 op_sel:[1,0,0] op_sel_hi:[1,0,0]
	s_delay_alu instid0(VALU_DEP_4) | instskip(SKIP_1) | instid1(VALU_DEP_3)
	v_sub_f32_e32 v15, v15, v19
	s_load_b128 s[4:7], s[0:1], 0x30
	v_add_f32_e32 v14, v14, v16
	v_cvt_i32_f32_e32 v16, v19
	s_delay_alu instid0(VALU_DEP_3) | instskip(SKIP_1) | instid1(VALU_DEP_4)
	v_add_f32_e32 v8, v15, v8
	v_cvt_i32_f32_e32 v15, v17
	v_exp_f32_e32 v14, v14
	s_delay_alu instid0(VALU_DEP_2)
	v_exp_f32_e32 v8, v8
	s_waitcnt_depctr 0xfff
	v_ldexp_f32 v14, v14, v15
	v_ldexp_f32 v8, v8, v16
	s_waitcnt lgkmcnt(0)
	s_cmp_gt_i32 s4, 0
	s_delay_alu instid0(VALU_DEP_2) | instskip(SKIP_3) | instid1(VALU_DEP_4)
	v_cndmask_b32_e32 v14, 0, v14, vcc_lo
	v_cmp_ngt_f32_e32 vcc_lo, 0xc2ce8ed0, v9
	v_cndmask_b32_e32 v8, 0, v8, vcc_lo
	v_cmp_nlt_f32_e32 vcc_lo, 0x42b17218, v12
	v_cndmask_b32_e32 v12, 0x7f800000, v14, vcc_lo
	v_cmp_nlt_f32_e32 vcc_lo, 0x42b17218, v9
	s_delay_alu instid0(VALU_DEP_2) | instskip(SKIP_1) | instid1(VALU_DEP_2)
	v_add_f32_e32 v9, 1.0, v12
	v_cndmask_b32_e32 v8, 0x7f800000, v8, vcc_lo
	v_div_scale_f32 v16, null, v9, v9, 1.0
	s_delay_alu instid0(VALU_DEP_2) | instskip(SKIP_1) | instid1(VALU_DEP_3)
	v_add_f32_e32 v12, 1.0, v8
	v_div_scale_f32 v20, vcc_lo, 1.0, v9, 1.0
	v_rcp_f32_e32 v18, v16
	s_delay_alu instid0(VALU_DEP_2) | instskip(SKIP_1) | instid1(VALU_DEP_2)
	v_div_scale_f32 v17, null, v12, v12, 1.0
	v_div_scale_f32 v21, s2, 1.0, v12, 1.0
	v_rcp_f32_e32 v19, v17
	s_waitcnt_depctr 0xfff
	v_fma_f32 v8, -v16, v18, 1.0
	s_delay_alu instid0(VALU_DEP_1) | instskip(SKIP_2) | instid1(VALU_DEP_1)
	v_fmac_f32_e32 v18, v8, v18
	v_mul_lo_u32 v8, v13, s7
	v_fma_f32 v14, -v17, v19, 1.0
	v_dual_mul_f32 v22, v20, v18 :: v_dual_fmac_f32 v19, v14, v19
	s_delay_alu instid0(VALU_DEP_3) | instskip(NEXT) | instid1(VALU_DEP_2)
	v_add_nc_u32_e32 v14, s4, v8
	v_fma_f32 v15, -v16, v22, v20
	s_delay_alu instid0(VALU_DEP_1) | instskip(NEXT) | instid1(VALU_DEP_3)
	v_dual_mul_f32 v23, v21, v19 :: v_dual_fmac_f32 v22, v15, v18
	v_ashrrev_i32_e32 v15, 31, v14
	s_delay_alu instid0(VALU_DEP_2) | instskip(NEXT) | instid1(VALU_DEP_3)
	v_fma_f32 v24, -v17, v23, v21
	v_fma_f32 v16, -v16, v22, v20
	s_delay_alu instid0(VALU_DEP_3) | instskip(NEXT) | instid1(VALU_DEP_3)
	v_lshlrev_b64 v[14:15], 2, v[14:15]
	v_fmac_f32_e32 v23, v24, v19
	s_delay_alu instid0(VALU_DEP_3) | instskip(SKIP_1) | instid1(VALU_DEP_2)
	v_div_fmas_f32 v16, v16, v18, v22
	s_mov_b32 vcc_lo, s2
	v_fma_f32 v17, -v17, v23, v21
	s_cselect_b32 s2, -1, 0
	s_cmp_lt_i32 s4, 1
	v_div_fixup_f32 v16, v16, v9, 1.0
	s_delay_alu instid0(VALU_DEP_2) | instskip(SKIP_2) | instid1(VALU_DEP_3)
	v_div_fmas_f32 v17, v17, v19, v23
	v_add_co_u32 v14, vcc_lo, s12, v14
	v_add_co_ci_u32_e32 v15, vcc_lo, s13, v15, vcc_lo
	v_div_fixup_f32 v17, v17, v12, 1.0
	v_mov_b32_e32 v12, 0
	global_store_b64 v[14:15], v[16:17], off
	s_cbranch_scc1 .LBB150_8
; %bb.5:
	s_waitcnt vmcnt(0)
	v_lshrrev_b32_e32 v9, 16, v4
	v_cvt_f32_f16_e32 v26, v4
	v_cvt_f32_f16_e32 v24, v5
	;; [unrolled: 1-line block ×3, first 2 shown]
	v_lshrrev_b32_e32 v5, 16, v5
	v_cvt_f32_f16_e32 v25, v9
	v_cmp_lt_f16_e32 vcc_lo, v4, v9
	v_lshrrev_b32_e32 v0, 16, v0
	v_cvt_f32_f16_e32 v22, v6
	v_cvt_f32_f16_e32 v23, v5
	v_lshrrev_b32_e32 v6, 16, v6
	v_cndmask_b32_e32 v9, v26, v25, vcc_lo
	v_cndmask_b32_e64 v4, 0, 1, vcc_lo
	v_cvt_f32_f16_e32 v17, v0
	v_cvt_f32_f16_e32 v20, v7
	;; [unrolled: 1-line block ×3, first 2 shown]
	v_cmp_lt_f32_e32 vcc_lo, v9, v24
	v_lshrrev_b32_e32 v6, 16, v7
	v_cvt_f32_f16_e32 v16, v1
	v_lshrrev_b32_e32 v1, 16, v1
	v_cvt_f32_f16_e32 v14, v2
	v_cndmask_b32_e32 v5, v9, v24, vcc_lo
	v_cndmask_b32_e64 v4, v4, 2, vcc_lo
	v_cvt_f32_f16_e32 v19, v6
	v_cvt_f32_f16_e32 v15, v1
	v_lshrrev_b32_e32 v2, 16, v2
	v_cmp_lt_f32_e32 vcc_lo, v5, v23
	v_cvt_f32_f16_e32 v29, v3
	v_ashrrev_i32_e32 v9, 31, v8
	s_delay_alu instid0(VALU_DEP_4) | instskip(SKIP_3) | instid1(VALU_DEP_3)
	v_cvt_f32_f16_e32 v28, v2
	v_cndmask_b32_e32 v5, v5, v23, vcc_lo
	v_cndmask_b32_e64 v4, v4, 3, vcc_lo
	v_lshrrev_b32_e32 v2, 16, v3
	v_cmp_lt_f32_e32 vcc_lo, v5, v22
	s_delay_alu instid0(VALU_DEP_2) | instskip(SKIP_3) | instid1(VALU_DEP_2)
	v_cvt_f32_f16_e32 v7, v2
	v_mul_lo_u32 v2, v13, s4
	v_cndmask_b32_e32 v5, v5, v22, vcc_lo
	v_cndmask_b32_e64 v4, v4, 4, vcc_lo
	v_cmp_lt_f32_e32 vcc_lo, v5, v21
	v_cndmask_b32_e32 v5, v5, v21, vcc_lo
	s_delay_alu instid0(VALU_DEP_3) | instskip(NEXT) | instid1(VALU_DEP_2)
	v_cndmask_b32_e64 v4, v4, 5, vcc_lo
	v_cmp_lt_f32_e32 vcc_lo, v5, v20
	v_cndmask_b32_e32 v5, v5, v20, vcc_lo
	s_delay_alu instid0(VALU_DEP_3) | instskip(NEXT) | instid1(VALU_DEP_2)
	;; [unrolled: 4-line block ×3, first 2 shown]
	v_cndmask_b32_e64 v4, v4, 7, vcc_lo
	v_cmp_lt_f32_e32 vcc_lo, v5, v18
	s_delay_alu instid0(VALU_DEP_2) | instskip(SKIP_1) | instid1(VALU_DEP_1)
	v_cndmask_b32_e64 v0, v4, 8, vcc_lo
	v_cndmask_b32_e32 v4, v5, v18, vcc_lo
	v_cmp_lt_f32_e32 vcc_lo, v4, v17
	v_cndmask_b32_e32 v4, v4, v17, vcc_lo
	s_delay_alu instid0(VALU_DEP_4) | instskip(NEXT) | instid1(VALU_DEP_2)
	v_cndmask_b32_e64 v0, v0, 9, vcc_lo
	v_cmp_lt_f32_e32 vcc_lo, v4, v16
	v_cndmask_b32_e32 v1, v4, v16, vcc_lo
	s_delay_alu instid0(VALU_DEP_3) | instskip(SKIP_1) | instid1(VALU_DEP_3)
	v_cndmask_b32_e64 v0, v0, 10, vcc_lo
	v_lshlrev_b64 v[4:5], 2, v[8:9]
	v_cmp_lt_f32_e32 vcc_lo, v1, v15
	v_cndmask_b32_e32 v1, v1, v15, vcc_lo
	s_delay_alu instid0(VALU_DEP_4) | instskip(NEXT) | instid1(VALU_DEP_2)
	v_cndmask_b32_e64 v0, v0, 11, vcc_lo
	v_cmp_lt_f32_e32 vcc_lo, v1, v14
	v_cndmask_b32_e32 v1, v1, v14, vcc_lo
	s_delay_alu instid0(VALU_DEP_3) | instskip(NEXT) | instid1(VALU_DEP_2)
	v_cndmask_b32_e64 v0, v0, 12, vcc_lo
	v_cmp_lt_f32_e32 vcc_lo, v1, v28
	v_cndmask_b32_e32 v1, v1, v28, vcc_lo
	s_delay_alu instid0(VALU_DEP_3) | instskip(NEXT) | instid1(VALU_DEP_2)
	;; [unrolled: 4-line block ×3, first 2 shown]
	v_cndmask_b32_e64 v0, v0, 14, vcc_lo
	v_cmp_lt_f32_e32 vcc_lo, v1, v7
	v_cndmask_b32_e32 v6, v1, v7, vcc_lo
	s_delay_alu instid0(VALU_DEP_3) | instskip(SKIP_2) | instid1(VALU_DEP_4)
	v_cndmask_b32_e64 v27, v0, 15, vcc_lo
	v_add_co_u32 v4, vcc_lo, s12, v4
	v_add_co_ci_u32_e32 v5, vcc_lo, s13, v5, vcc_lo
	v_sub_f32_e32 v12, v6, v6
	s_delay_alu instid0(VALU_DEP_4) | instskip(SKIP_1) | instid1(VALU_DEP_3)
	v_cmp_le_i32_e32 vcc_lo, s5, v27
	v_subrev_nc_u32_e32 v32, s5, v27
	v_mul_f32_e32 v0, 0x3fb8aa3b, v12
	s_delay_alu instid0(VALU_DEP_1) | instskip(SKIP_1) | instid1(VALU_DEP_2)
	v_fma_f32 v1, 0x3fb8aa3b, v12, -v0
	v_rndne_f32_e32 v30, v0
	v_fmac_f32_e32 v1, 0x32a5705f, v12
	s_delay_alu instid0(VALU_DEP_2)
	v_sub_f32_e32 v3, v0, v30
	v_mul_lo_u32 v0, v13, s8
	s_load_b128 s[8:11], s[0:1], 0x20
	v_cvt_i32_f32_e32 v30, v30
	v_cmp_gt_i32_e64 s0, s6, v27
	v_add_f32_e32 v3, v3, v1
	s_delay_alu instid0(VALU_DEP_4) | instskip(NEXT) | instid1(VALU_DEP_2)
	v_ashrrev_i32_e32 v1, 31, v0
	v_exp_f32_e32 v9, v3
	s_delay_alu instid0(VALU_DEP_3) | instskip(SKIP_3) | instid1(VALU_DEP_2)
	s_and_b32 s0, vcc_lo, s0
	v_cmp_ngt_f32_e32 vcc_lo, 0xc2ce8ed0, v12
	v_ashrrev_i32_e32 v3, 31, v2
	v_lshlrev_b64 v[0:1], 2, v[0:1]
	v_lshlrev_b64 v[2:3], 2, v[2:3]
	s_waitcnt_depctr 0xfff
	v_ldexp_f32 v9, v9, v30
	s_delay_alu instid0(VALU_DEP_1)
	v_cndmask_b32_e32 v9, 0, v9, vcc_lo
	s_waitcnt lgkmcnt(0)
	v_add_co_u32 v30, vcc_lo, s8, v0
	v_add_co_ci_u32_e32 v31, vcc_lo, s9, v1, vcc_lo
	s_and_b32 vcc_lo, s14, s0
	s_cmp_eq_u32 s4, 1
	v_cndmask_b32_e32 v34, 16, v32, vcc_lo
	v_cmp_nlt_f32_e32 vcc_lo, 0x42b17218, v12
	v_cndmask_b32_e32 v12, 0x7f800000, v9, vcc_lo
	v_add_co_u32 v32, vcc_lo, s10, v2
	v_add_co_ci_u32_e32 v33, vcc_lo, s11, v3, vcc_lo
	global_store_b32 v[30:31], v34, off
	global_store_b32 v[4:5], v12, off
	;; [unrolled: 1-line block ×3, first 2 shown]
	s_cbranch_scc1 .LBB150_8
; %bb.6:
	v_cmp_ne_u32_e32 vcc_lo, 15, v27
	s_add_i32 s15, s15, s3
	s_add_i32 s7, s4, -1
	v_add3_u32 v10, s15, v11, v10
	v_cndmask_b32_e32 v7, 0xff800000, v7, vcc_lo
	v_cmp_ne_u32_e32 vcc_lo, 14, v27
	v_cndmask_b32_e32 v9, 0xff800000, v29, vcc_lo
	v_cmp_ne_u32_e32 vcc_lo, 13, v27
	;; [unrolled: 2-line block ×15, first 2 shown]
	v_cndmask_b32_e32 v26, 0xff800000, v26, vcc_lo
	v_add_co_u32 v2, vcc_lo, v2, s10
	v_add_co_ci_u32_e32 v3, vcc_lo, s11, v3, vcc_lo
	v_add_co_u32 v27, vcc_lo, v0, s8
	v_add_co_ci_u32_e32 v28, vcc_lo, s9, v1, vcc_lo
	s_delay_alu instid0(VALU_DEP_4) | instskip(NEXT) | instid1(VALU_DEP_4)
	v_add_co_u32 v0, vcc_lo, v2, 4
	v_add_co_ci_u32_e32 v1, vcc_lo, 0, v3, vcc_lo
	s_delay_alu instid0(VALU_DEP_4) | instskip(NEXT) | instid1(VALU_DEP_4)
	v_add_co_u32 v2, vcc_lo, v27, 4
	v_add_co_ci_u32_e32 v3, vcc_lo, 0, v28, vcc_lo
	v_add_co_u32 v4, vcc_lo, v4, 4
	v_add_co_ci_u32_e32 v5, vcc_lo, 0, v5, vcc_lo
.LBB150_7:                              ; =>This Inner Loop Header: Depth=1
	v_cmp_gt_f32_e32 vcc_lo, v25, v26
	s_add_i32 s7, s7, -1
	v_cndmask_b32_e32 v11, v26, v25, vcc_lo
	v_cndmask_b32_e64 v27, 0, 1, vcc_lo
	s_delay_alu instid0(VALU_DEP_2) | instskip(SKIP_1) | instid1(VALU_DEP_3)
	v_cmp_gt_f32_e32 vcc_lo, v24, v11
	v_cndmask_b32_e32 v11, v11, v24, vcc_lo
	v_cndmask_b32_e64 v27, v27, 2, vcc_lo
	s_delay_alu instid0(VALU_DEP_2) | instskip(SKIP_1) | instid1(VALU_DEP_3)
	v_cmp_gt_f32_e32 vcc_lo, v23, v11
	;; [unrolled: 4-line block ×13, first 2 shown]
	v_cndmask_b32_e32 v11, v11, v9, vcc_lo
	v_cndmask_b32_e64 v27, v27, 14, vcc_lo
	s_delay_alu instid0(VALU_DEP_2) | instskip(NEXT) | instid1(VALU_DEP_2)
	v_cmp_gt_f32_e32 vcc_lo, v7, v11
	v_cndmask_b32_e64 v27, v27, 15, vcc_lo
	v_cndmask_b32_e32 v11, v11, v7, vcc_lo
	s_delay_alu instid0(VALU_DEP_2) | instskip(SKIP_2) | instid1(VALU_DEP_4)
	v_cmp_ne_u32_e64 s1, 15, v27
	v_cmp_le_i32_e32 vcc_lo, s5, v27
	v_cmp_gt_i32_e64 s0, s6, v27
	v_sub_f32_e32 v11, v11, v6
	v_subrev_nc_u32_e32 v29, s5, v27
	v_cndmask_b32_e64 v7, 0xff800000, v7, s1
	v_cmp_ne_u32_e64 s1, 14, v27
	s_and_b32 s0, vcc_lo, s0
	s_delay_alu instid0(SALU_CYCLE_1) | instskip(SKIP_1) | instid1(VALU_DEP_2)
	s_and_b32 vcc_lo, s14, s0
	v_dual_mul_f32 v28, 0x3fb8aa3b, v11 :: v_dual_cndmask_b32 v29, 16, v29
	v_cndmask_b32_e64 v9, 0xff800000, v9, s1
	v_cmp_ne_u32_e64 s1, 13, v27
	global_store_b32 v[2:3], v29, off
	global_store_b32 v[0:1], v10, off
	v_rndne_f32_e32 v30, v28
	v_cndmask_b32_e64 v13, 0xff800000, v13, s1
	v_cmp_ne_u32_e64 s1, 12, v27
	v_add_co_u32 v0, vcc_lo, v0, 4
	v_add_co_ci_u32_e32 v1, vcc_lo, 0, v1, vcc_lo
	s_delay_alu instid0(VALU_DEP_3) | instskip(SKIP_3) | instid1(VALU_DEP_3)
	v_cndmask_b32_e64 v14, 0xff800000, v14, s1
	v_cmp_ne_u32_e64 s1, 11, v27
	v_add_co_u32 v2, vcc_lo, v2, 4
	v_add_co_ci_u32_e32 v3, vcc_lo, 0, v3, vcc_lo
	v_cndmask_b32_e64 v15, 0xff800000, v15, s1
	v_cmp_ne_u32_e64 s1, 10, v27
	v_cmp_ngt_f32_e32 vcc_lo, 0xc2ce8ed0, v11
	v_add_nc_u32_e32 v10, s3, v10
	s_cmp_eq_u32 s7, 0
	s_delay_alu instid0(VALU_DEP_3) | instskip(SKIP_1) | instid1(VALU_DEP_1)
	v_cndmask_b32_e64 v16, 0xff800000, v16, s1
	v_cmp_ne_u32_e64 s1, 9, v27
	v_cndmask_b32_e64 v17, 0xff800000, v17, s1
	v_cmp_ne_u32_e64 s1, 8, v27
	s_delay_alu instid0(VALU_DEP_1) | instskip(SKIP_1) | instid1(VALU_DEP_1)
	v_cndmask_b32_e64 v18, 0xff800000, v18, s1
	v_cmp_ne_u32_e64 s1, 7, v27
	v_cndmask_b32_e64 v19, 0xff800000, v19, s1
	v_cmp_ne_u32_e64 s1, 6, v27
	s_delay_alu instid0(VALU_DEP_1) | instskip(SKIP_1) | instid1(VALU_DEP_1)
	;; [unrolled: 5-line block ×4, first 2 shown]
	v_cndmask_b32_e64 v24, 0xff800000, v24, s1
	v_cmp_ne_u32_e64 s1, 1, v27
	v_cndmask_b32_e64 v25, 0xff800000, v25, s1
	v_cmp_ne_u32_e64 s1, 0, v27
	v_fma_f32 v27, 0x3fb8aa3b, v11, -v28
	v_sub_f32_e32 v28, v28, v30
	v_cvt_i32_f32_e32 v30, v30
	s_delay_alu instid0(VALU_DEP_4) | instskip(NEXT) | instid1(VALU_DEP_4)
	v_cndmask_b32_e64 v26, 0xff800000, v26, s1
	v_fmac_f32_e32 v27, 0x32a5705f, v11
	s_delay_alu instid0(VALU_DEP_1) | instskip(NEXT) | instid1(VALU_DEP_1)
	v_add_f32_e32 v27, v28, v27
	v_exp_f32_e32 v27, v27
	s_waitcnt_depctr 0xfff
	v_ldexp_f32 v27, v27, v30
	s_delay_alu instid0(VALU_DEP_1) | instskip(SKIP_1) | instid1(VALU_DEP_2)
	v_cndmask_b32_e32 v27, 0, v27, vcc_lo
	v_cmp_nlt_f32_e32 vcc_lo, 0x42b17218, v11
	v_cndmask_b32_e32 v11, 0x7f800000, v27, vcc_lo
	global_store_b32 v[4:5], v11, off
	v_add_co_u32 v4, vcc_lo, v4, 4
	v_add_f32_e32 v12, v12, v11
	v_add_co_ci_u32_e32 v5, vcc_lo, 0, v5, vcc_lo
	s_cbranch_scc0 .LBB150_7
.LBB150_8:
	s_delay_alu instid0(VALU_DEP_2)
	v_cmp_neq_f32_e32 vcc_lo, 0, v12
	s_and_b32 exec_lo, exec_lo, vcc_lo
	s_cbranch_execz .LBB150_12
; %bb.9:
	s_and_not1_b32 vcc_lo, exec_lo, s2
	s_cbranch_vccnz .LBB150_12
; %bb.10:
	s_waitcnt vmcnt(1)
	v_div_scale_f32 v0, null, v12, v12, 1.0
	v_div_scale_f32 v3, vcc_lo, 1.0, v12, 1.0
	v_ashrrev_i32_e32 v9, 31, v8
	s_delay_alu instid0(VALU_DEP_3) | instskip(SKIP_2) | instid1(VALU_DEP_1)
	v_rcp_f32_e32 v1, v0
	s_waitcnt_depctr 0xfff
	v_fma_f32 v2, -v0, v1, 1.0
	v_fmac_f32_e32 v1, v2, v1
	s_delay_alu instid0(VALU_DEP_1) | instskip(SKIP_1) | instid1(VALU_DEP_1)
	v_mul_f32_e32 v2, v3, v1
	s_waitcnt vmcnt(0)
	v_fma_f32 v4, -v0, v2, v3
	s_delay_alu instid0(VALU_DEP_1) | instskip(NEXT) | instid1(VALU_DEP_1)
	v_fmac_f32_e32 v2, v4, v1
	v_fma_f32 v0, -v0, v2, v3
	s_delay_alu instid0(VALU_DEP_1) | instskip(SKIP_1) | instid1(VALU_DEP_2)
	v_div_fmas_f32 v2, v0, v1, v2
	v_lshlrev_b64 v[0:1], 2, v[8:9]
	v_div_fixup_f32 v2, v2, v12, 1.0
	s_delay_alu instid0(VALU_DEP_2) | instskip(NEXT) | instid1(VALU_DEP_3)
	v_add_co_u32 v0, vcc_lo, s12, v0
	v_add_co_ci_u32_e32 v1, vcc_lo, s13, v1, vcc_lo
.LBB150_11:                             ; =>This Inner Loop Header: Depth=1
	global_load_b32 v3, v[0:1], off
	s_add_i32 s4, s4, -1
	s_delay_alu instid0(SALU_CYCLE_1)
	s_cmp_lg_u32 s4, 0
	s_waitcnt vmcnt(0)
	v_mul_f32_e32 v3, v2, v3
	global_store_b32 v[0:1], v3, off
	v_add_co_u32 v0, vcc_lo, v0, 4
	v_add_co_ci_u32_e32 v1, vcc_lo, 0, v1, vcc_lo
	s_cbranch_scc1 .LBB150_11
.LBB150_12:
	s_nop 0
	s_sendmsg sendmsg(MSG_DEALLOC_VGPRS)
	s_endpgm
	.section	.rodata,"a",@progbits
	.p2align	6, 0x0
	.amdhsa_kernel _ZN4vllm3moe17topkGatingSoftmaxIDF16_Li16ELi16ELi8ELi32ELb1ELi2ELNS0_23SharedExpertScoringFuncE1EEEvPKT_PKbPfiPiS9_iiiiii
		.amdhsa_group_segment_fixed_size 0
		.amdhsa_private_segment_fixed_size 0
		.amdhsa_kernarg_size 72
		.amdhsa_user_sgpr_count 15
		.amdhsa_user_sgpr_dispatch_ptr 0
		.amdhsa_user_sgpr_queue_ptr 0
		.amdhsa_user_sgpr_kernarg_segment_ptr 1
		.amdhsa_user_sgpr_dispatch_id 0
		.amdhsa_user_sgpr_private_segment_size 0
		.amdhsa_wavefront_size32 1
		.amdhsa_uses_dynamic_stack 0
		.amdhsa_enable_private_segment 0
		.amdhsa_system_sgpr_workgroup_id_x 1
		.amdhsa_system_sgpr_workgroup_id_y 0
		.amdhsa_system_sgpr_workgroup_id_z 0
		.amdhsa_system_sgpr_workgroup_info 0
		.amdhsa_system_vgpr_workitem_id 1
		.amdhsa_next_free_vgpr 35
		.amdhsa_next_free_sgpr 16
		.amdhsa_reserve_vcc 1
		.amdhsa_float_round_mode_32 0
		.amdhsa_float_round_mode_16_64 0
		.amdhsa_float_denorm_mode_32 3
		.amdhsa_float_denorm_mode_16_64 3
		.amdhsa_dx10_clamp 1
		.amdhsa_ieee_mode 1
		.amdhsa_fp16_overflow 0
		.amdhsa_workgroup_processor_mode 1
		.amdhsa_memory_ordered 1
		.amdhsa_forward_progress 0
		.amdhsa_shared_vgpr_count 0
		.amdhsa_exception_fp_ieee_invalid_op 0
		.amdhsa_exception_fp_denorm_src 0
		.amdhsa_exception_fp_ieee_div_zero 0
		.amdhsa_exception_fp_ieee_overflow 0
		.amdhsa_exception_fp_ieee_underflow 0
		.amdhsa_exception_fp_ieee_inexact 0
		.amdhsa_exception_int_div_zero 0
	.end_amdhsa_kernel
	.section	.text._ZN4vllm3moe17topkGatingSoftmaxIDF16_Li16ELi16ELi8ELi32ELb1ELi2ELNS0_23SharedExpertScoringFuncE1EEEvPKT_PKbPfiPiS9_iiiiii,"axG",@progbits,_ZN4vllm3moe17topkGatingSoftmaxIDF16_Li16ELi16ELi8ELi32ELb1ELi2ELNS0_23SharedExpertScoringFuncE1EEEvPKT_PKbPfiPiS9_iiiiii,comdat
.Lfunc_end150:
	.size	_ZN4vllm3moe17topkGatingSoftmaxIDF16_Li16ELi16ELi8ELi32ELb1ELi2ELNS0_23SharedExpertScoringFuncE1EEEvPKT_PKbPfiPiS9_iiiiii, .Lfunc_end150-_ZN4vllm3moe17topkGatingSoftmaxIDF16_Li16ELi16ELi8ELi32ELb1ELi2ELNS0_23SharedExpertScoringFuncE1EEEvPKT_PKbPfiPiS9_iiiiii
                                        ; -- End function
	.section	.AMDGPU.csdata,"",@progbits
; Kernel info:
; codeLenInByte = 2772
; NumSgprs: 18
; NumVgprs: 35
; ScratchSize: 0
; MemoryBound: 0
; FloatMode: 240
; IeeeMode: 1
; LDSByteSize: 0 bytes/workgroup (compile time only)
; SGPRBlocks: 2
; VGPRBlocks: 4
; NumSGPRsForWavesPerEU: 18
; NumVGPRsForWavesPerEU: 35
; Occupancy: 16
; WaveLimiterHint : 0
; COMPUTE_PGM_RSRC2:SCRATCH_EN: 0
; COMPUTE_PGM_RSRC2:USER_SGPR: 15
; COMPUTE_PGM_RSRC2:TRAP_HANDLER: 0
; COMPUTE_PGM_RSRC2:TGID_X_EN: 1
; COMPUTE_PGM_RSRC2:TGID_Y_EN: 0
; COMPUTE_PGM_RSRC2:TGID_Z_EN: 0
; COMPUTE_PGM_RSRC2:TIDIG_COMP_CNT: 1
	.section	.text._ZN4vllm3moe17topkGatingSoftmaxIDF16_Li16ELi16ELi8ELi32ELb0ELi2ELNS0_23SharedExpertScoringFuncE1EEEvPKT_PKbPfiPiS9_iiiiii,"axG",@progbits,_ZN4vllm3moe17topkGatingSoftmaxIDF16_Li16ELi16ELi8ELi32ELb0ELi2ELNS0_23SharedExpertScoringFuncE1EEEvPKT_PKbPfiPiS9_iiiiii,comdat
	.protected	_ZN4vllm3moe17topkGatingSoftmaxIDF16_Li16ELi16ELi8ELi32ELb0ELi2ELNS0_23SharedExpertScoringFuncE1EEEvPKT_PKbPfiPiS9_iiiiii ; -- Begin function _ZN4vllm3moe17topkGatingSoftmaxIDF16_Li16ELi16ELi8ELi32ELb0ELi2ELNS0_23SharedExpertScoringFuncE1EEEvPKT_PKbPfiPiS9_iiiiii
	.globl	_ZN4vllm3moe17topkGatingSoftmaxIDF16_Li16ELi16ELi8ELi32ELb0ELi2ELNS0_23SharedExpertScoringFuncE1EEEvPKT_PKbPfiPiS9_iiiiii
	.p2align	8
	.type	_ZN4vllm3moe17topkGatingSoftmaxIDF16_Li16ELi16ELi8ELi32ELb0ELi2ELNS0_23SharedExpertScoringFuncE1EEEvPKT_PKbPfiPiS9_iiiiii,@function
_ZN4vllm3moe17topkGatingSoftmaxIDF16_Li16ELi16ELi8ELi32ELb0ELi2ELNS0_23SharedExpertScoringFuncE1EEEvPKT_PKbPfiPiS9_iiiiii: ; @_ZN4vllm3moe17topkGatingSoftmaxIDF16_Li16ELi16ELi8ELi32ELb0ELi2ELNS0_23SharedExpertScoringFuncE1EEEvPKT_PKbPfiPiS9_iiiiii
; %bb.0:
	s_load_b32 s17, s[0:1], 0x18
	v_bfe_u32 v1, v0, 10, 10
	v_and_b32_e32 v26, 0x3ff, v0
	s_lshl_b32 s27, s15, 8
	s_mov_b32 s2, exec_lo
	s_delay_alu instid0(VALU_DEP_2) | instskip(NEXT) | instid1(VALU_DEP_1)
	v_lshlrev_b32_e32 v25, 5, v1
	v_add3_u32 v27, v25, v26, s27
	s_waitcnt lgkmcnt(0)
	s_delay_alu instid0(VALU_DEP_1)
	v_cmpx_gt_i32_e64 s17, v27
	s_cbranch_execz .LBB151_12
; %bb.1:
	s_clause 0x1
	s_load_b128 s[4:7], s[0:1], 0x0
	s_load_b64 s[18:19], s[0:1], 0x10
	s_waitcnt lgkmcnt(0)
	s_cmp_eq_u64 s[6:7], 0
	s_cbranch_scc1 .LBB151_3
; %bb.2:
	v_ashrrev_i32_e32 v1, 31, v27
	v_add_co_u32 v0, vcc_lo, s6, v27
	s_delay_alu instid0(VALU_DEP_2) | instskip(SKIP_3) | instid1(VALU_DEP_1)
	v_add_co_ci_u32_e32 v1, vcc_lo, s7, v1, vcc_lo
	global_load_u8 v0, v[0:1], off
	s_waitcnt vmcnt(0)
	v_and_b32_e32 v0, 1, v0
	v_cmp_eq_u32_e32 vcc_lo, 1, v0
	s_xor_b32 s2, vcc_lo, -1
	s_delay_alu instid0(SALU_CYCLE_1)
	s_or_not1_b32 s26, s2, exec_lo
	s_branch .LBB151_4
.LBB151_3:
	s_mov_b32 s26, -1
.LBB151_4:
	s_clause 0x1
	s_load_b64 s[24:25], s[0:1], 0x40
	s_load_b128 s[20:23], s[0:1], 0x30
	s_mov_b32 s2, 0x3fb8aa3b
	s_mov_b32 s3, 0x32a5705f
	s_waitcnt lgkmcnt(0)
	v_mul_lo_u32 v0, v27, s25
	s_cmp_gt_i32 s20, 0
	s_delay_alu instid0(VALU_DEP_1) | instskip(NEXT) | instid1(VALU_DEP_1)
	v_ashrrev_i32_e32 v1, 31, v0
	v_lshlrev_b64 v[0:1], 1, v[0:1]
	s_delay_alu instid0(VALU_DEP_1) | instskip(NEXT) | instid1(VALU_DEP_2)
	v_add_co_u32 v5, vcc_lo, s4, v0
	v_add_co_ci_u32_e32 v6, vcc_lo, s5, v1, vcc_lo
	v_mul_lo_u32 v0, v27, s23
	s_clause 0x2
	global_load_b32 v9, v[5:6], off offset:32
	global_load_b128 v[1:4], v[5:6], off
	global_load_b128 v[5:8], v[5:6], off offset:16
	s_waitcnt vmcnt(2)
	v_cvt_f32_f16_e64 v10, -v9
	s_waitcnt vmcnt(1)
	v_lshrrev_b32_e32 v13, 16, v1
	v_cvt_f32_f16_e32 v21, v1
	v_cvt_f32_f16_e32 v22, v2
	v_lshrrev_b32_e32 v2, 16, v2
	v_lshrrev_b32_e32 v11, 16, v9
	v_cvt_f32_f16_e32 v23, v13
	v_cmp_lt_f16_e64 s4, v1, v13
	v_mul_f32_e32 v12, 0x3fb8aa3b, v10
	v_cvt_f32_f16_e32 v24, v2
	v_cvt_f32_f16_e64 v11, -v11
	v_cvt_f32_f16_e32 v20, v3
	v_cndmask_b32_e64 v1, v21, v23, s4
	v_fma_mix_f32 v14, -v9, s2, -v12 op_sel_hi:[1,0,0]
	v_rndne_f32_e32 v15, v12
	v_mul_f32_e32 v16, 0x3fb8aa3b, v11
	v_lshrrev_b32_e32 v3, 16, v3
	v_cmp_lt_f32_e64 s5, v1, v22
	v_fma_mix_f32 v14, -v9, s3, v14 op_sel_hi:[1,0,0]
	v_sub_f32_e32 v12, v12, v15
	v_rndne_f32_e32 v19, v16
	v_cvt_f32_f16_e32 v17, v4
	v_cndmask_b32_e64 v1, v1, v22, s5
	v_fma_mix_f32 v18, -v9, s2, -v16 op_sel:[1,0,0] op_sel_hi:[1,0,0]
	v_add_f32_e32 v12, v12, v14
	v_sub_f32_e32 v14, v16, v19
	v_cvt_i32_f32_e32 v13, v19
	v_cmp_lt_f32_e64 s7, v1, v24
	v_cvt_f32_f16_e32 v19, v3
	v_lshrrev_b32_e32 v4, 16, v4
	v_fma_mix_f32 v9, -v9, s3, v18 op_sel:[1,0,0] op_sel_hi:[1,0,0]
	v_exp_f32_e32 v12, v12
	v_cndmask_b32_e64 v1, v1, v24, s7
	v_add_nc_u32_e32 v28, s20, v0
	v_cvt_f32_f16_e32 v18, v4
	v_add_f32_e32 v9, v14, v9
	v_cvt_i32_f32_e32 v2, v15
	v_cmp_lt_f32_e64 s10, v1, v20
	v_cmp_ngt_f32_e32 vcc_lo, 0xc2ce8ed0, v10
	s_waitcnt vmcnt(0)
	v_cvt_f32_f16_e32 v15, v5
	v_exp_f32_e32 v9, v9
	v_ldexp_f32 v2, v12, v2
	v_cndmask_b32_e64 v1, v1, v20, s10
	v_lshrrev_b32_e32 v5, 16, v5
	v_cvt_f32_f16_e32 v14, v6
	v_ashrrev_i32_e32 v29, 31, v28
	v_cndmask_b32_e32 v2, 0, v2, vcc_lo
	v_cmp_lt_f32_e64 s12, v1, v19
	v_cmp_nlt_f32_e32 vcc_lo, 0x42b17218, v10
	v_cvt_f32_f16_e32 v16, v5
	v_ldexp_f32 v3, v9, v13
	v_cvt_f32_f16_e32 v9, v8
	v_cndmask_b32_e64 v1, v1, v19, s12
	v_cndmask_b32_e32 v2, 0x7f800000, v2, vcc_lo
	v_cmp_ngt_f32_e32 vcc_lo, 0xc2ce8ed0, v11
	s_delay_alu instid0(VALU_DEP_3) | instskip(NEXT) | instid1(VALU_DEP_3)
	v_cmp_lt_f32_e64 s15, v1, v17
	v_dual_add_f32 v4, 1.0, v2 :: v_dual_cndmask_b32 v3, 0, v3
	v_cmp_nlt_f32_e32 vcc_lo, 0x42b17218, v11
	v_cvt_f32_f16_e32 v11, v7
	s_delay_alu instid0(VALU_DEP_4) | instskip(NEXT) | instid1(VALU_DEP_4)
	v_cndmask_b32_e64 v1, v1, v17, s15
	v_cndmask_b32_e32 v2, 0x7f800000, v3, vcc_lo
	v_div_scale_f32 v3, null, v4, v4, 1.0
	s_delay_alu instid0(VALU_DEP_3) | instskip(SKIP_1) | instid1(VALU_DEP_4)
	v_cmp_lt_f32_e64 s8, v1, v18
	v_div_scale_f32 v32, vcc_lo, 1.0, v4, 1.0
	v_add_f32_e32 v12, 1.0, v2
	v_lshrrev_b32_e32 v2, 16, v6
	s_delay_alu instid0(VALU_DEP_4) | instskip(SKIP_3) | instid1(VALU_DEP_3)
	v_cndmask_b32_e64 v1, v1, v18, s8
	v_rcp_f32_e32 v30, v3
	v_lshrrev_b32_e32 v6, 16, v7
	v_div_scale_f32 v31, null, v12, v12, 1.0
	v_cmp_lt_f32_e64 s11, v1, v15
	v_cvt_f32_f16_e32 v13, v2
	v_div_scale_f32 v33, s16, 1.0, v12, 1.0
	s_delay_alu instid0(VALU_DEP_4) | instskip(NEXT) | instid1(VALU_DEP_3)
	v_rcp_f32_e32 v5, v31
	v_cndmask_b32_e64 v1, v1, v15, s11
	s_delay_alu instid0(TRANS32_DEP_2) | instskip(SKIP_2) | instid1(VALU_DEP_4)
	v_fma_f32 v2, -v3, v30, 1.0
	v_cvt_f32_f16_e32 v10, v6
	v_lshrrev_b32_e32 v7, 16, v8
	v_cmp_lt_f32_e64 s13, v1, v16
	s_delay_alu instid0(VALU_DEP_4) | instskip(NEXT) | instid1(VALU_DEP_3)
	v_fmac_f32_e32 v30, v2, v30
	v_cvt_f32_f16_e32 v7, v7
	s_delay_alu instid0(TRANS32_DEP_1) | instskip(NEXT) | instid1(VALU_DEP_4)
	v_fma_f32 v2, -v31, v5, 1.0
	v_cndmask_b32_e64 v1, v1, v16, s13
	s_delay_alu instid0(VALU_DEP_2) | instskip(NEXT) | instid1(VALU_DEP_2)
	v_dual_mul_f32 v34, v32, v30 :: v_dual_fmac_f32 v5, v2, v5
	v_cmp_lt_f32_e64 s14, v1, v14
	s_delay_alu instid0(VALU_DEP_2) | instskip(NEXT) | instid1(VALU_DEP_3)
	v_fma_f32 v2, -v3, v34, v32
	v_mul_f32_e32 v6, v33, v5
	s_delay_alu instid0(VALU_DEP_3) | instskip(NEXT) | instid1(VALU_DEP_3)
	v_cndmask_b32_e64 v1, v1, v14, s14
	v_fmac_f32_e32 v34, v2, v30
	s_delay_alu instid0(VALU_DEP_3) | instskip(NEXT) | instid1(VALU_DEP_3)
	v_fma_f32 v8, -v31, v6, v33
	v_cmp_lt_f32_e64 s9, v1, v13
	s_delay_alu instid0(VALU_DEP_3) | instskip(NEXT) | instid1(VALU_DEP_3)
	v_fma_f32 v3, -v3, v34, v32
	v_fmac_f32_e32 v6, v8, v5
	s_delay_alu instid0(VALU_DEP_3) | instskip(NEXT) | instid1(VALU_DEP_3)
	v_cndmask_b32_e64 v1, v1, v13, s9
	v_div_fmas_f32 v3, v3, v30, v34
	s_mov_b32 vcc_lo, s16
	s_cselect_b32 s16, -1, 0
	s_cmp_lt_i32 s20, 1
	v_cmp_lt_f32_e64 s6, v1, v11
	v_div_fixup_f32 v3, v3, v4, 1.0
	s_delay_alu instid0(VALU_DEP_2) | instskip(NEXT) | instid1(VALU_DEP_1)
	v_cndmask_b32_e64 v1, v1, v11, s6
	v_cmp_lt_f32_e64 s3, v1, v10
	s_delay_alu instid0(VALU_DEP_1) | instskip(SKIP_2) | instid1(VALU_DEP_3)
	v_cndmask_b32_e64 v35, v1, v10, s3
	v_lshlrev_b64 v[1:2], 2, v[28:29]
	v_fma_f32 v28, -v31, v6, v33
	v_cmp_lt_f32_e64 s2, v35, v9
	s_delay_alu instid0(VALU_DEP_2) | instskip(NEXT) | instid1(VALU_DEP_4)
	v_div_fmas_f32 v5, v28, v5, v6
	v_add_co_u32 v1, vcc_lo, s18, v1
	s_delay_alu instid0(VALU_DEP_3) | instskip(SKIP_1) | instid1(VALU_DEP_4)
	v_cndmask_b32_e64 v8, v35, v9, s2
	v_add_co_ci_u32_e32 v2, vcc_lo, s19, v2, vcc_lo
	v_div_fixup_f32 v4, v5, v12, 1.0
	v_mov_b32_e32 v12, 0
	s_delay_alu instid0(VALU_DEP_4)
	v_cmp_lt_f32_e32 vcc_lo, v8, v7
	global_store_b64 v[1:2], v[3:4], off
	v_cndmask_b32_e32 v8, v8, v7, vcc_lo
	s_cbranch_scc1 .LBB151_8
; %bb.5:
	v_cndmask_b32_e64 v1, 0, 1, s4
	s_delay_alu instid0(VALU_DEP_2) | instskip(SKIP_2) | instid1(VALU_DEP_4)
	v_sub_f32_e32 v12, v8, v8
	v_mul_lo_u32 v2, v27, s24
	v_mul_lo_u32 v28, v27, s20
	v_cndmask_b32_e64 v1, v1, 2, s5
	s_delay_alu instid0(VALU_DEP_4) | instskip(NEXT) | instid1(VALU_DEP_2)
	v_mul_f32_e32 v3, 0x3fb8aa3b, v12
	v_cndmask_b32_e64 v1, v1, 3, s7
	s_delay_alu instid0(VALU_DEP_2) | instskip(SKIP_1) | instid1(VALU_DEP_3)
	v_rndne_f32_e32 v4, v3
	v_fma_f32 v5, 0x3fb8aa3b, v12, -v3
	v_cndmask_b32_e64 v1, v1, 4, s10
	s_delay_alu instid0(VALU_DEP_3) | instskip(NEXT) | instid1(VALU_DEP_3)
	v_sub_f32_e32 v3, v3, v4
	v_fmac_f32_e32 v5, 0x32a5705f, v12
	v_cvt_i32_f32_e32 v32, v4
	s_delay_alu instid0(VALU_DEP_4) | instskip(NEXT) | instid1(VALU_DEP_3)
	v_cndmask_b32_e64 v1, v1, 5, s12
	v_add_f32_e32 v30, v3, v5
	v_ashrrev_i32_e32 v3, 31, v2
	s_delay_alu instid0(VALU_DEP_3) | instskip(NEXT) | instid1(VALU_DEP_3)
	v_cndmask_b32_e64 v1, v1, 6, s15
	v_exp_f32_e32 v30, v30
	s_delay_alu instid0(VALU_DEP_1) | instskip(NEXT) | instid1(VALU_DEP_1)
	v_cndmask_b32_e64 v1, v1, 7, s8
	v_cndmask_b32_e64 v1, v1, 8, s11
	s_waitcnt_depctr 0xfff
	v_ldexp_f32 v30, v30, v32
	v_cndmask_b32_e64 v1, v1, 9, s13
	s_delay_alu instid0(VALU_DEP_1) | instskip(SKIP_2) | instid1(VALU_DEP_2)
	v_cndmask_b32_e64 v6, v1, 10, s14
	s_load_b128 s[12:15], s[0:1], 0x20
	v_ashrrev_i32_e32 v1, 31, v0
	v_cndmask_b32_e64 v29, v6, 11, s9
	s_delay_alu instid0(VALU_DEP_2) | instskip(SKIP_1) | instid1(VALU_DEP_3)
	v_lshlrev_b64 v[5:6], 2, v[0:1]
	v_lshlrev_b64 v[1:2], 2, v[2:3]
	v_cndmask_b32_e64 v31, v29, 12, s6
	v_ashrrev_i32_e32 v29, 31, v28
	s_delay_alu instid0(VALU_DEP_4) | instskip(NEXT) | instid1(VALU_DEP_3)
	v_add_co_u32 v5, s0, s18, v5
	v_cndmask_b32_e64 v31, v31, 13, s3
	v_add_co_ci_u32_e64 v6, s0, s19, v6, s0
	s_delay_alu instid0(VALU_DEP_4) | instskip(NEXT) | instid1(VALU_DEP_3)
	v_lshlrev_b64 v[3:4], 2, v[28:29]
	v_cndmask_b32_e64 v31, v31, 14, s2
	s_waitcnt lgkmcnt(0)
	v_add_co_u32 v28, s0, s12, v1
	s_delay_alu instid0(VALU_DEP_1) | instskip(NEXT) | instid1(VALU_DEP_3)
	v_add_co_ci_u32_e64 v29, s0, s13, v2, s0
	v_cndmask_b32_e64 v33, v31, 15, vcc_lo
	v_cmp_ngt_f32_e64 s0, 0xc2ce8ed0, v12
	s_delay_alu instid0(VALU_DEP_2) | instskip(NEXT) | instid1(VALU_DEP_2)
	v_cmp_ne_u32_e64 s1, 15, v33
	v_cndmask_b32_e64 v32, 0, v30, s0
	v_add_co_u32 v30, vcc_lo, s14, v3
	v_add_co_ci_u32_e32 v31, vcc_lo, s15, v4, vcc_lo
	s_delay_alu instid0(VALU_DEP_4) | instskip(SKIP_3) | instid1(VALU_DEP_3)
	v_cndmask_b32_e64 v7, 0xff800000, v7, s1
	v_cmp_ne_u32_e64 s1, 14, v33
	v_cmp_nlt_f32_e32 vcc_lo, 0x42b17218, v12
	v_cmp_gt_i32_e64 s0, s22, v33
	v_cndmask_b32_e64 v9, 0xff800000, v9, s1
	v_cmp_ne_u32_e64 s1, 13, v33
	v_cndmask_b32_e32 v12, 0x7f800000, v32, vcc_lo
	v_cmp_le_i32_e32 vcc_lo, s21, v33
	v_subrev_nc_u32_e32 v32, s21, v33
	s_delay_alu instid0(VALU_DEP_4)
	v_cndmask_b32_e64 v10, 0xff800000, v10, s1
	v_cmp_ne_u32_e64 s1, 12, v33
	s_and_b32 s0, vcc_lo, s0
	v_cmp_ne_u32_e32 vcc_lo, 3, v33
	global_store_b32 v[5:6], v12, off
	v_cndmask_b32_e64 v11, 0xff800000, v11, s1
	v_cmp_ne_u32_e64 s1, 11, v33
	v_cndmask_b32_e32 v24, 0xff800000, v24, vcc_lo
	s_and_b32 vcc_lo, s26, s0
	s_cmp_eq_u32 s20, 1
	v_cndmask_b32_e32 v32, 16, v32, vcc_lo
	v_cndmask_b32_e64 v13, 0xff800000, v13, s1
	v_cmp_ne_u32_e64 s1, 10, v33
	v_cmp_ne_u32_e32 vcc_lo, 2, v33
	global_store_b32 v[28:29], v32, off
	global_store_b32 v[30:31], v27, off
	v_cndmask_b32_e64 v14, 0xff800000, v14, s1
	v_cndmask_b32_e32 v22, 0xff800000, v22, vcc_lo
	v_cmp_ne_u32_e64 s1, 9, v33
	v_cmp_ne_u32_e32 vcc_lo, 1, v33
	s_delay_alu instid0(VALU_DEP_2) | instskip(SKIP_3) | instid1(VALU_DEP_3)
	v_cndmask_b32_e64 v16, 0xff800000, v16, s1
	v_cmp_ne_u32_e64 s1, 8, v33
	v_cndmask_b32_e32 v23, 0xff800000, v23, vcc_lo
	v_cmp_ne_u32_e32 vcc_lo, 0, v33
	v_cndmask_b32_e64 v15, 0xff800000, v15, s1
	v_cmp_ne_u32_e64 s1, 7, v33
	v_cndmask_b32_e32 v21, 0xff800000, v21, vcc_lo
	s_delay_alu instid0(VALU_DEP_2) | instskip(SKIP_1) | instid1(VALU_DEP_1)
	v_cndmask_b32_e64 v18, 0xff800000, v18, s1
	v_cmp_ne_u32_e64 s1, 6, v33
	v_cndmask_b32_e64 v17, 0xff800000, v17, s1
	v_cmp_ne_u32_e64 s1, 5, v33
	s_delay_alu instid0(VALU_DEP_1) | instskip(SKIP_1) | instid1(VALU_DEP_1)
	v_cndmask_b32_e64 v19, 0xff800000, v19, s1
	v_cmp_ne_u32_e64 s1, 4, v33
	v_cndmask_b32_e64 v20, 0xff800000, v20, s1
	s_cbranch_scc1 .LBB151_8
; %bb.6:
	v_add_co_u32 v3, vcc_lo, v3, s14
	v_add_co_ci_u32_e32 v4, vcc_lo, s15, v4, vcc_lo
	v_add_co_u32 v27, vcc_lo, v1, s12
	v_add_co_ci_u32_e32 v28, vcc_lo, s13, v2, vcc_lo
	s_delay_alu instid0(VALU_DEP_4) | instskip(NEXT) | instid1(VALU_DEP_4)
	v_add_co_u32 v1, vcc_lo, v3, 4
	v_add_co_ci_u32_e32 v2, vcc_lo, 0, v4, vcc_lo
	s_delay_alu instid0(VALU_DEP_4) | instskip(NEXT) | instid1(VALU_DEP_4)
	v_add_co_u32 v3, vcc_lo, v27, 4
	v_add_co_ci_u32_e32 v4, vcc_lo, 0, v28, vcc_lo
	s_add_i32 s27, s27, s17
	v_add_co_u32 v5, vcc_lo, v5, 4
	v_add_co_ci_u32_e32 v6, vcc_lo, 0, v6, vcc_lo
	v_add3_u32 v25, s27, v26, v25
	s_add_i32 s2, s20, -1
.LBB151_7:                              ; =>This Inner Loop Header: Depth=1
	v_cmp_gt_f32_e32 vcc_lo, v23, v21
	s_add_i32 s2, s2, -1
	v_cndmask_b32_e32 v26, v21, v23, vcc_lo
	v_cndmask_b32_e64 v27, 0, 1, vcc_lo
	s_delay_alu instid0(VALU_DEP_2) | instskip(SKIP_1) | instid1(VALU_DEP_3)
	v_cmp_gt_f32_e32 vcc_lo, v22, v26
	v_cndmask_b32_e32 v26, v26, v22, vcc_lo
	v_cndmask_b32_e64 v27, v27, 2, vcc_lo
	s_delay_alu instid0(VALU_DEP_2) | instskip(SKIP_1) | instid1(VALU_DEP_3)
	v_cmp_gt_f32_e32 vcc_lo, v24, v26
	;; [unrolled: 4-line block ×13, first 2 shown]
	v_cndmask_b32_e32 v26, v26, v9, vcc_lo
	v_cndmask_b32_e64 v27, v27, 14, vcc_lo
	s_delay_alu instid0(VALU_DEP_2) | instskip(NEXT) | instid1(VALU_DEP_2)
	v_cmp_gt_f32_e32 vcc_lo, v7, v26
	v_cndmask_b32_e64 v27, v27, 15, vcc_lo
	v_cndmask_b32_e32 v26, v26, v7, vcc_lo
	s_delay_alu instid0(VALU_DEP_2) | instskip(NEXT) | instid1(VALU_DEP_2)
	v_cmp_ne_u32_e64 s1, 15, v27
	v_sub_f32_e32 v26, v26, v8
	v_cmp_le_i32_e32 vcc_lo, s21, v27
	v_cmp_gt_i32_e64 s0, s22, v27
	v_subrev_nc_u32_e32 v29, s21, v27
	v_cndmask_b32_e64 v7, 0xff800000, v7, s1
	v_cmp_ne_u32_e64 s1, 14, v27
	v_mul_f32_e32 v28, 0x3fb8aa3b, v26
	s_and_b32 s0, vcc_lo, s0
	s_delay_alu instid0(SALU_CYCLE_1) | instskip(NEXT) | instid1(VALU_DEP_2)
	s_and_b32 vcc_lo, s26, s0
	v_cndmask_b32_e64 v9, 0xff800000, v9, s1
	v_cmp_ne_u32_e64 s1, 13, v27
	v_rndne_f32_e32 v30, v28
	v_cndmask_b32_e32 v29, 16, v29, vcc_lo
	global_store_b32 v[3:4], v29, off
	global_store_b32 v[1:2], v25, off
	v_cndmask_b32_e64 v10, 0xff800000, v10, s1
	v_cmp_ne_u32_e64 s1, 12, v27
	v_add_co_u32 v1, vcc_lo, v1, 4
	v_add_co_ci_u32_e32 v2, vcc_lo, 0, v2, vcc_lo
	s_delay_alu instid0(VALU_DEP_3) | instskip(SKIP_3) | instid1(VALU_DEP_3)
	v_cndmask_b32_e64 v11, 0xff800000, v11, s1
	v_cmp_ne_u32_e64 s1, 11, v27
	v_add_co_u32 v3, vcc_lo, v3, 4
	v_add_co_ci_u32_e32 v4, vcc_lo, 0, v4, vcc_lo
	v_cndmask_b32_e64 v13, 0xff800000, v13, s1
	v_cmp_ne_u32_e64 s1, 10, v27
	v_cmp_ngt_f32_e32 vcc_lo, 0xc2ce8ed0, v26
	v_add_nc_u32_e32 v25, s17, v25
	s_cmp_eq_u32 s2, 0
	s_delay_alu instid0(VALU_DEP_3) | instskip(SKIP_1) | instid1(VALU_DEP_1)
	v_cndmask_b32_e64 v14, 0xff800000, v14, s1
	v_cmp_ne_u32_e64 s1, 9, v27
	v_cndmask_b32_e64 v16, 0xff800000, v16, s1
	v_cmp_ne_u32_e64 s1, 8, v27
	s_delay_alu instid0(VALU_DEP_1) | instskip(SKIP_1) | instid1(VALU_DEP_1)
	v_cndmask_b32_e64 v15, 0xff800000, v15, s1
	v_cmp_ne_u32_e64 s1, 7, v27
	v_cndmask_b32_e64 v18, 0xff800000, v18, s1
	v_cmp_ne_u32_e64 s1, 6, v27
	s_delay_alu instid0(VALU_DEP_1) | instskip(SKIP_1) | instid1(VALU_DEP_1)
	;; [unrolled: 5-line block ×4, first 2 shown]
	v_cndmask_b32_e64 v22, 0xff800000, v22, s1
	v_cmp_ne_u32_e64 s1, 1, v27
	v_cndmask_b32_e64 v23, 0xff800000, v23, s1
	v_cmp_ne_u32_e64 s1, 0, v27
	v_fma_f32 v27, 0x3fb8aa3b, v26, -v28
	v_sub_f32_e32 v28, v28, v30
	v_cvt_i32_f32_e32 v30, v30
	s_delay_alu instid0(VALU_DEP_4) | instskip(NEXT) | instid1(VALU_DEP_4)
	v_cndmask_b32_e64 v21, 0xff800000, v21, s1
	v_fmac_f32_e32 v27, 0x32a5705f, v26
	s_delay_alu instid0(VALU_DEP_1) | instskip(NEXT) | instid1(VALU_DEP_1)
	v_add_f32_e32 v27, v28, v27
	v_exp_f32_e32 v27, v27
	s_waitcnt_depctr 0xfff
	v_ldexp_f32 v27, v27, v30
	s_delay_alu instid0(VALU_DEP_1) | instskip(SKIP_1) | instid1(VALU_DEP_2)
	v_cndmask_b32_e32 v27, 0, v27, vcc_lo
	v_cmp_nlt_f32_e32 vcc_lo, 0x42b17218, v26
	v_cndmask_b32_e32 v26, 0x7f800000, v27, vcc_lo
	global_store_b32 v[5:6], v26, off
	v_add_co_u32 v5, vcc_lo, v5, 4
	v_add_f32_e32 v12, v12, v26
	v_add_co_ci_u32_e32 v6, vcc_lo, 0, v6, vcc_lo
	s_cbranch_scc0 .LBB151_7
.LBB151_8:
	s_delay_alu instid0(VALU_DEP_1) | instskip(SKIP_3) | instid1(VALU_DEP_4)
	v_sub_f32_e32 v6, v24, v8
	v_sub_f32_e32 v1, v21, v8
	;; [unrolled: 1-line block ×4, first 2 shown]
	v_dual_sub_f32 v19, v19, v8 :: v_dual_mul_f32 v26, 0x3fb8aa3b, v6
	s_delay_alu instid0(VALU_DEP_4) | instskip(SKIP_2) | instid1(VALU_DEP_4)
	v_dual_sub_f32 v2, v23, v8 :: v_dual_mul_f32 v3, 0x3fb8aa3b, v1
	v_sub_f32_e32 v4, v22, v8
	v_cmp_ngt_f32_e32 vcc_lo, 0xc2ce8ed0, v1
	v_rndne_f32_e32 v29, v26
	s_delay_alu instid0(VALU_DEP_4)
	v_mul_f32_e32 v5, 0x3fb8aa3b, v2
	v_fma_f32 v21, 0x3fb8aa3b, v1, -v3
	v_rndne_f32_e32 v22, v3
	v_sub_f32_e32 v20, v20, v8
	v_mul_f32_e32 v25, 0x3fb8aa3b, v4
	v_fma_f32 v23, 0x3fb8aa3b, v2, -v5
	v_fmac_f32_e32 v21, 0x32a5705f, v1
	v_sub_f32_e32 v3, v3, v22
	v_rndne_f32_e32 v24, v5
	v_fma_f32 v28, 0x3fb8aa3b, v6, -v26
	v_cvt_i32_f32_e32 v22, v22
	v_sub_f32_e32 v17, v17, v8
	v_add_f32_e32 v3, v3, v21
	s_delay_alu instid0(VALU_DEP_4) | instskip(SKIP_2) | instid1(VALU_DEP_4)
	v_dual_sub_f32 v5, v5, v24 :: v_dual_fmac_f32 v28, 0x32a5705f, v6
	v_cvt_i32_f32_e32 v24, v24
	v_sub_f32_e32 v14, v14, v8
	v_exp_f32_e32 v3, v3
	v_sub_f32_e32 v13, v13, v8
	v_sub_f32_e32 v10, v10, v8
	s_waitcnt_depctr 0xfff
	v_ldexp_f32 v3, v3, v22
	v_dual_sub_f32 v22, v26, v29 :: v_dual_fmac_f32 v23, 0x32a5705f, v2
	v_fma_f32 v21, 0x3fb8aa3b, v4, -v25
	s_delay_alu instid0(VALU_DEP_2) | instskip(NEXT) | instid1(VALU_DEP_3)
	v_dual_cndmask_b32 v3, 0, v3 :: v_dual_add_f32 v22, v22, v28
	v_add_f32_e32 v5, v5, v23
	v_cmp_ngt_f32_e32 vcc_lo, 0xc2ce8ed0, v2
	v_rndne_f32_e32 v23, v25
	v_fmac_f32_e32 v21, 0x32a5705f, v4
	v_exp_f32_e32 v22, v22
	v_exp_f32_e32 v5, v5
	s_waitcnt_depctr 0xfff
	v_ldexp_f32 v5, v5, v24
	s_delay_alu instid0(VALU_DEP_1)
	v_cndmask_b32_e32 v5, 0, v5, vcc_lo
	v_cmp_nlt_f32_e32 vcc_lo, 0x42b17218, v1
	v_cndmask_b32_e32 v1, 0x7f800000, v3, vcc_lo
	v_cmp_nlt_f32_e32 vcc_lo, 0x42b17218, v2
	v_sub_f32_e32 v25, v25, v23
	v_cvt_i32_f32_e32 v23, v23
	v_cndmask_b32_e32 v2, 0x7f800000, v5, vcc_lo
	s_delay_alu instid0(VALU_DEP_3) | instskip(SKIP_1) | instid1(VALU_DEP_3)
	v_add_f32_e32 v21, v25, v21
	v_cmp_ngt_f32_e32 vcc_lo, 0xc2ce8ed0, v4
	v_add_f32_e32 v1, v1, v2
	s_delay_alu instid0(VALU_DEP_3) | instskip(SKIP_2) | instid1(VALU_DEP_1)
	v_exp_f32_e32 v21, v21
	s_waitcnt_depctr 0xfff
	v_ldexp_f32 v5, v21, v23
	v_dual_mul_f32 v27, 0x3fb8aa3b, v20 :: v_dual_cndmask_b32 v2, 0, v5
	s_delay_alu instid0(VALU_DEP_1) | instskip(SKIP_3) | instid1(VALU_DEP_4)
	v_fma_f32 v3, 0x3fb8aa3b, v20, -v27
	v_rndne_f32_e32 v21, v27
	v_cvt_i32_f32_e32 v5, v29
	v_cmp_nlt_f32_e32 vcc_lo, 0x42b17218, v4
	v_fmac_f32_e32 v3, 0x32a5705f, v20
	s_delay_alu instid0(VALU_DEP_4) | instskip(NEXT) | instid1(VALU_DEP_4)
	v_sub_f32_e32 v23, v27, v21
	v_ldexp_f32 v4, v22, v5
	v_cndmask_b32_e32 v2, 0x7f800000, v2, vcc_lo
	v_mul_f32_e32 v5, 0x3fb8aa3b, v19
	v_cmp_ngt_f32_e32 vcc_lo, 0xc2ce8ed0, v6
	v_add_f32_e32 v3, v23, v3
	s_delay_alu instid0(VALU_DEP_4) | instskip(NEXT) | instid1(VALU_DEP_4)
	v_add_f32_e32 v1, v1, v2
	v_rndne_f32_e32 v22, v5
	v_cndmask_b32_e32 v2, 0, v4, vcc_lo
	s_delay_alu instid0(VALU_DEP_4)
	v_exp_f32_e32 v3, v3
	v_fma_f32 v4, 0x3fb8aa3b, v19, -v5
	v_cmp_nlt_f32_e32 vcc_lo, 0x42b17218, v6
	v_cvt_i32_f32_e32 v6, v21
	v_sub_f32_e32 v5, v5, v22
	v_mul_f32_e32 v21, 0x3fb8aa3b, v17
	v_fmac_f32_e32 v4, 0x32a5705f, v19
	v_cndmask_b32_e32 v2, 0x7f800000, v2, vcc_lo
	v_cmp_ngt_f32_e32 vcc_lo, 0xc2ce8ed0, v20
	s_delay_alu instid0(VALU_DEP_2) | instskip(SKIP_4) | instid1(VALU_DEP_4)
	v_add_f32_e32 v1, v1, v2
	v_ldexp_f32 v2, v3, v6
	v_add_f32_e32 v3, v5, v4
	v_fma_f32 v4, 0x3fb8aa3b, v17, -v21
	v_rndne_f32_e32 v5, v21
	v_cndmask_b32_e32 v2, 0, v2, vcc_lo
	s_delay_alu instid0(VALU_DEP_4) | instskip(NEXT) | instid1(VALU_DEP_3)
	v_exp_f32_e32 v3, v3
	v_fmac_f32_e32 v4, 0x32a5705f, v17
	s_delay_alu instid0(VALU_DEP_3) | instskip(SKIP_3) | instid1(VALU_DEP_4)
	v_sub_f32_e32 v6, v21, v5
	v_cmp_nlt_f32_e32 vcc_lo, 0x42b17218, v20
	v_cvt_i32_f32_e32 v20, v22
	v_cvt_i32_f32_e32 v5, v5
	v_add_f32_e32 v4, v6, v4
	v_cndmask_b32_e32 v2, 0x7f800000, v2, vcc_lo
	v_mul_f32_e32 v6, 0x3fb8aa3b, v18
	v_cmp_ngt_f32_e32 vcc_lo, 0xc2ce8ed0, v19
	s_delay_alu instid0(VALU_DEP_3) | instskip(SKIP_4) | instid1(VALU_DEP_3)
	v_add_f32_e32 v1, v1, v2
	v_ldexp_f32 v2, v3, v20
	v_exp_f32_e32 v3, v4
	v_fma_f32 v4, 0x3fb8aa3b, v18, -v6
	v_rndne_f32_e32 v20, v6
	v_cndmask_b32_e32 v2, 0, v2, vcc_lo
	v_cmp_nlt_f32_e32 vcc_lo, 0x42b17218, v19
	s_delay_alu instid0(VALU_DEP_4) | instskip(NEXT) | instid1(VALU_DEP_4)
	v_fmac_f32_e32 v4, 0x32a5705f, v18
	v_sub_f32_e32 v6, v6, v20
	s_delay_alu instid0(VALU_DEP_4) | instskip(NEXT) | instid1(TRANS32_DEP_1)
	v_cndmask_b32_e32 v2, 0x7f800000, v2, vcc_lo
	v_ldexp_f32 v3, v3, v5
	v_cmp_ngt_f32_e32 vcc_lo, 0xc2ce8ed0, v17
	s_delay_alu instid0(VALU_DEP_4) | instskip(NEXT) | instid1(VALU_DEP_4)
	v_add_f32_e32 v4, v6, v4
	v_dual_sub_f32 v6, v16, v8 :: v_dual_add_f32 v1, v1, v2
	s_delay_alu instid0(VALU_DEP_4)
	v_cndmask_b32_e32 v2, 0, v3, vcc_lo
	v_cmp_nlt_f32_e32 vcc_lo, 0x42b17218, v17
	v_sub_f32_e32 v5, v15, v8
	v_exp_f32_e32 v3, v4
	v_cvt_i32_f32_e32 v15, v20
	v_mul_f32_e32 v19, 0x3fb8aa3b, v6
	v_cndmask_b32_e32 v2, 0x7f800000, v2, vcc_lo
	v_mul_f32_e32 v4, 0x3fb8aa3b, v5
	v_cmp_ngt_f32_e32 vcc_lo, 0xc2ce8ed0, v18
	s_delay_alu instid0(VALU_DEP_3) | instskip(NEXT) | instid1(VALU_DEP_3)
	v_dual_mul_f32 v20, 0x3fb8aa3b, v13 :: v_dual_add_f32 v1, v1, v2
	v_fma_f32 v16, 0x3fb8aa3b, v5, -v4
	v_rndne_f32_e32 v17, v4
	s_delay_alu instid0(TRANS32_DEP_1) | instskip(SKIP_1) | instid1(VALU_DEP_4)
	v_ldexp_f32 v2, v3, v15
	v_rndne_f32_e32 v15, v19
	v_fmac_f32_e32 v16, 0x32a5705f, v5
	s_delay_alu instid0(VALU_DEP_3) | instskip(SKIP_3) | instid1(VALU_DEP_4)
	v_dual_sub_f32 v3, v4, v17 :: v_dual_cndmask_b32 v2, 0, v2
	v_fma_f32 v4, 0x3fb8aa3b, v6, -v19
	v_cmp_nlt_f32_e32 vcc_lo, 0x42b17218, v18
	v_cvt_i32_f32_e32 v17, v17
	v_add_f32_e32 v3, v3, v16
	v_sub_f32_e32 v16, v19, v15
	v_fmac_f32_e32 v4, 0x32a5705f, v6
	v_mul_f32_e32 v19, 0x3fb8aa3b, v14
	v_cndmask_b32_e32 v2, 0x7f800000, v2, vcc_lo
	v_exp_f32_e32 v3, v3
	v_cmp_ngt_f32_e32 vcc_lo, 0xc2ce8ed0, v5
	v_add_f32_e32 v4, v16, v4
	v_fma_f32 v16, 0x3fb8aa3b, v14, -v19
	v_rndne_f32_e32 v18, v19
	v_add_f32_e32 v1, v1, v2
	s_delay_alu instid0(VALU_DEP_4) | instskip(NEXT) | instid1(VALU_DEP_2)
	v_exp_f32_e32 v4, v4
	v_sub_f32_e32 v19, v19, v18
	s_delay_alu instid0(TRANS32_DEP_2) | instskip(SKIP_3) | instid1(VALU_DEP_4)
	v_ldexp_f32 v2, v3, v17
	v_rndne_f32_e32 v17, v20
	v_fmac_f32_e32 v16, 0x32a5705f, v14
	v_cvt_i32_f32_e32 v3, v15
	v_cndmask_b32_e32 v2, 0, v2, vcc_lo
	v_cmp_nlt_f32_e32 vcc_lo, 0x42b17218, v5
	s_delay_alu instid0(VALU_DEP_4) | instskip(SKIP_3) | instid1(VALU_DEP_4)
	v_add_f32_e32 v15, v19, v16
	v_fma_f32 v16, 0x3fb8aa3b, v13, -v20
	v_ldexp_f32 v3, v4, v3
	v_cvt_i32_f32_e32 v5, v18
	v_exp_f32_e32 v4, v15
	s_delay_alu instid0(VALU_DEP_3) | instskip(SKIP_2) | instid1(VALU_DEP_2)
	v_fmac_f32_e32 v16, 0x32a5705f, v13
	v_dual_sub_f32 v15, v20, v17 :: v_dual_cndmask_b32 v2, 0x7f800000, v2
	v_cmp_ngt_f32_e32 vcc_lo, 0xc2ce8ed0, v6
	v_add_f32_e32 v15, v15, v16
	s_delay_alu instid0(VALU_DEP_3)
	v_add_f32_e32 v1, v1, v2
	s_waitcnt_depctr 0xfff
	v_ldexp_f32 v2, v4, v5
	v_cndmask_b32_e32 v3, 0, v3, vcc_lo
	v_cmp_nlt_f32_e32 vcc_lo, 0x42b17218, v6
	v_sub_f32_e32 v5, v11, v8
	v_exp_f32_e32 v4, v15
	s_delay_alu instid0(VALU_DEP_1) | instskip(SKIP_2) | instid1(VALU_DEP_3)
	v_dual_mul_f32 v15, 0x3fb8aa3b, v7 :: v_dual_mul_f32 v6, 0x3fb8aa3b, v5
	v_cndmask_b32_e32 v3, 0x7f800000, v3, vcc_lo
	v_cmp_ngt_f32_e32 vcc_lo, 0xc2ce8ed0, v14
	v_rndne_f32_e32 v16, v15
	v_mul_f32_e32 v11, 0x3fb8aa3b, v10
	v_cndmask_b32_e32 v2, 0, v2, vcc_lo
	v_cmp_nlt_f32_e32 vcc_lo, 0x42b17218, v14
	s_delay_alu instid0(VALU_DEP_2) | instskip(SKIP_2) | instid1(VALU_DEP_3)
	v_dual_cndmask_b32 v2, 0x7f800000, v2 :: v_dual_add_f32 v1, v1, v3
	v_cvt_i32_f32_e32 v3, v17
	v_cmp_ngt_f32_e32 vcc_lo, 0xc2ce8ed0, v13
	v_add_f32_e32 v1, v1, v2
	s_delay_alu instid0(VALU_DEP_3) | instskip(SKIP_2) | instid1(VALU_DEP_2)
	v_ldexp_f32 v3, v4, v3
	v_fma_f32 v2, 0x3fb8aa3b, v5, -v6
	v_rndne_f32_e32 v4, v6
	v_fmac_f32_e32 v2, 0x32a5705f, v5
	s_delay_alu instid0(VALU_DEP_2) | instskip(SKIP_2) | instid1(VALU_DEP_3)
	v_dual_sub_f32 v6, v6, v4 :: v_dual_cndmask_b32 v3, 0, v3
	v_cmp_nlt_f32_e32 vcc_lo, 0x42b17218, v13
	v_cvt_i32_f32_e32 v4, v4
	v_add_f32_e32 v2, v6, v2
	v_rndne_f32_e32 v6, v11
	v_cndmask_b32_e32 v3, 0x7f800000, v3, vcc_lo
	v_cmp_ngt_f32_e32 vcc_lo, 0xc2ce8ed0, v5
	s_delay_alu instid0(VALU_DEP_4)
	v_exp_f32_e32 v2, v2
	s_waitcnt_depctr 0xfff
	v_ldexp_f32 v2, v2, v4
	v_dual_sub_f32 v9, v9, v8 :: v_dual_sub_f32 v8, v11, v6
	v_add_f32_e32 v1, v1, v3
	v_fma_f32 v3, 0x3fb8aa3b, v10, -v11
	s_delay_alu instid0(VALU_DEP_4) | instskip(SKIP_2) | instid1(VALU_DEP_4)
	v_cndmask_b32_e32 v2, 0, v2, vcc_lo
	v_cmp_nlt_f32_e32 vcc_lo, 0x42b17218, v5
	v_cvt_i32_f32_e32 v6, v6
	v_fmac_f32_e32 v3, 0x32a5705f, v10
	s_delay_alu instid0(VALU_DEP_4) | instskip(SKIP_1) | instid1(VALU_DEP_3)
	v_cndmask_b32_e32 v2, 0x7f800000, v2, vcc_lo
	v_cmp_ngt_f32_e32 vcc_lo, 0xc2ce8ed0, v10
	v_add_f32_e32 v3, v8, v3
	s_delay_alu instid0(VALU_DEP_1) | instskip(SKIP_2) | instid1(VALU_DEP_1)
	v_exp_f32_e32 v3, v3
	s_waitcnt_depctr 0xfff
	v_ldexp_f32 v3, v3, v6
	v_cndmask_b32_e32 v3, 0, v3, vcc_lo
	v_cmp_nlt_f32_e32 vcc_lo, 0x42b17218, v10
	s_delay_alu instid0(VALU_DEP_2) | instskip(SKIP_2) | instid1(VALU_DEP_1)
	v_cndmask_b32_e32 v3, 0x7f800000, v3, vcc_lo
	v_cmp_ngt_f32_e32 vcc_lo, 0xc2ce8ed0, v9
	v_mul_f32_e32 v13, 0x3fb8aa3b, v9
	v_fma_f32 v11, 0x3fb8aa3b, v9, -v13
	v_rndne_f32_e32 v14, v13
	s_delay_alu instid0(VALU_DEP_1) | instskip(SKIP_2) | instid1(VALU_DEP_3)
	v_dual_fmac_f32 v11, 0x32a5705f, v9 :: v_dual_sub_f32 v8, v13, v14
	v_fma_f32 v13, 0x3fb8aa3b, v7, -v15
	v_cvt_i32_f32_e32 v5, v14
	v_add_f32_e32 v4, v8, v11
	s_delay_alu instid0(VALU_DEP_3) | instskip(NEXT) | instid1(VALU_DEP_2)
	v_dual_fmac_f32 v13, 0x32a5705f, v7 :: v_dual_sub_f32 v8, v15, v16
	v_exp_f32_e32 v4, v4
	s_delay_alu instid0(VALU_DEP_1) | instskip(NEXT) | instid1(VALU_DEP_1)
	v_dual_add_f32 v8, v8, v13 :: v_dual_add_f32 v1, v1, v2
	v_exp_f32_e32 v6, v8
	s_waitcnt_depctr 0xfff
	v_ldexp_f32 v2, v4, v5
	v_cvt_i32_f32_e32 v4, v16
	s_delay_alu instid0(VALU_DEP_2) | instskip(SKIP_1) | instid1(VALU_DEP_3)
	v_cndmask_b32_e32 v2, 0, v2, vcc_lo
	v_cmp_nlt_f32_e32 vcc_lo, 0x42b17218, v9
	v_ldexp_f32 v4, v6, v4
	s_delay_alu instid0(VALU_DEP_3) | instskip(SKIP_1) | instid1(VALU_DEP_2)
	v_dual_add_f32 v1, v1, v3 :: v_dual_cndmask_b32 v2, 0x7f800000, v2
	v_cmp_ngt_f32_e32 vcc_lo, 0xc2ce8ed0, v7
	v_add_f32_e32 v1, v1, v2
	s_delay_alu instid0(VALU_DEP_4) | instskip(SKIP_1) | instid1(VALU_DEP_2)
	v_cndmask_b32_e32 v3, 0, v4, vcc_lo
	v_cmp_nlt_f32_e32 vcc_lo, 0x42b17218, v7
	v_cndmask_b32_e32 v2, 0x7f800000, v3, vcc_lo
	s_delay_alu instid0(VALU_DEP_1) | instskip(NEXT) | instid1(VALU_DEP_1)
	v_add_f32_e32 v1, v1, v2
	v_add_f32_e32 v2, v12, v1
	s_delay_alu instid0(VALU_DEP_1)
	v_cmp_neq_f32_e32 vcc_lo, 0, v2
	s_and_b32 exec_lo, exec_lo, vcc_lo
	s_cbranch_execz .LBB151_12
; %bb.9:
	s_and_not1_b32 vcc_lo, exec_lo, s16
	s_cbranch_vccnz .LBB151_12
; %bb.10:
	v_div_scale_f32 v1, null, v2, v2, 1.0
	v_div_scale_f32 v5, vcc_lo, 1.0, v2, 1.0
	s_delay_alu instid0(VALU_DEP_2) | instskip(SKIP_2) | instid1(VALU_DEP_1)
	v_rcp_f32_e32 v3, v1
	s_waitcnt_depctr 0xfff
	v_fma_f32 v4, -v1, v3, 1.0
	v_fmac_f32_e32 v3, v4, v3
	s_delay_alu instid0(VALU_DEP_1) | instskip(NEXT) | instid1(VALU_DEP_1)
	v_mul_f32_e32 v4, v5, v3
	v_fma_f32 v6, -v1, v4, v5
	s_delay_alu instid0(VALU_DEP_1) | instskip(NEXT) | instid1(VALU_DEP_1)
	v_fmac_f32_e32 v4, v6, v3
	v_fma_f32 v5, -v1, v4, v5
	v_ashrrev_i32_e32 v1, 31, v0
	s_delay_alu instid0(VALU_DEP_2) | instskip(NEXT) | instid1(VALU_DEP_2)
	v_div_fmas_f32 v3, v5, v3, v4
	v_lshlrev_b64 v[0:1], 2, v[0:1]
	s_delay_alu instid0(VALU_DEP_2) | instskip(NEXT) | instid1(VALU_DEP_2)
	v_div_fixup_f32 v2, v3, v2, 1.0
	v_add_co_u32 v0, vcc_lo, s18, v0
	s_delay_alu instid0(VALU_DEP_3)
	v_add_co_ci_u32_e32 v1, vcc_lo, s19, v1, vcc_lo
.LBB151_11:                             ; =>This Inner Loop Header: Depth=1
	global_load_b32 v3, v[0:1], off
	s_add_i32 s20, s20, -1
	s_delay_alu instid0(SALU_CYCLE_1)
	s_cmp_lg_u32 s20, 0
	s_waitcnt vmcnt(0)
	v_mul_f32_e32 v3, v2, v3
	global_store_b32 v[0:1], v3, off
	v_add_co_u32 v0, vcc_lo, v0, 4
	v_add_co_ci_u32_e32 v1, vcc_lo, 0, v1, vcc_lo
	s_cbranch_scc1 .LBB151_11
.LBB151_12:
	s_nop 0
	s_sendmsg sendmsg(MSG_DEALLOC_VGPRS)
	s_endpgm
	.section	.rodata,"a",@progbits
	.p2align	6, 0x0
	.amdhsa_kernel _ZN4vllm3moe17topkGatingSoftmaxIDF16_Li16ELi16ELi8ELi32ELb0ELi2ELNS0_23SharedExpertScoringFuncE1EEEvPKT_PKbPfiPiS9_iiiiii
		.amdhsa_group_segment_fixed_size 0
		.amdhsa_private_segment_fixed_size 0
		.amdhsa_kernarg_size 72
		.amdhsa_user_sgpr_count 15
		.amdhsa_user_sgpr_dispatch_ptr 0
		.amdhsa_user_sgpr_queue_ptr 0
		.amdhsa_user_sgpr_kernarg_segment_ptr 1
		.amdhsa_user_sgpr_dispatch_id 0
		.amdhsa_user_sgpr_private_segment_size 0
		.amdhsa_wavefront_size32 1
		.amdhsa_uses_dynamic_stack 0
		.amdhsa_enable_private_segment 0
		.amdhsa_system_sgpr_workgroup_id_x 1
		.amdhsa_system_sgpr_workgroup_id_y 0
		.amdhsa_system_sgpr_workgroup_id_z 0
		.amdhsa_system_sgpr_workgroup_info 0
		.amdhsa_system_vgpr_workitem_id 1
		.amdhsa_next_free_vgpr 36
		.amdhsa_next_free_sgpr 28
		.amdhsa_reserve_vcc 1
		.amdhsa_float_round_mode_32 0
		.amdhsa_float_round_mode_16_64 0
		.amdhsa_float_denorm_mode_32 3
		.amdhsa_float_denorm_mode_16_64 3
		.amdhsa_dx10_clamp 1
		.amdhsa_ieee_mode 1
		.amdhsa_fp16_overflow 0
		.amdhsa_workgroup_processor_mode 1
		.amdhsa_memory_ordered 1
		.amdhsa_forward_progress 0
		.amdhsa_shared_vgpr_count 0
		.amdhsa_exception_fp_ieee_invalid_op 0
		.amdhsa_exception_fp_denorm_src 0
		.amdhsa_exception_fp_ieee_div_zero 0
		.amdhsa_exception_fp_ieee_overflow 0
		.amdhsa_exception_fp_ieee_underflow 0
		.amdhsa_exception_fp_ieee_inexact 0
		.amdhsa_exception_int_div_zero 0
	.end_amdhsa_kernel
	.section	.text._ZN4vllm3moe17topkGatingSoftmaxIDF16_Li16ELi16ELi8ELi32ELb0ELi2ELNS0_23SharedExpertScoringFuncE1EEEvPKT_PKbPfiPiS9_iiiiii,"axG",@progbits,_ZN4vllm3moe17topkGatingSoftmaxIDF16_Li16ELi16ELi8ELi32ELb0ELi2ELNS0_23SharedExpertScoringFuncE1EEEvPKT_PKbPfiPiS9_iiiiii,comdat
.Lfunc_end151:
	.size	_ZN4vllm3moe17topkGatingSoftmaxIDF16_Li16ELi16ELi8ELi32ELb0ELi2ELNS0_23SharedExpertScoringFuncE1EEEvPKT_PKbPfiPiS9_iiiiii, .Lfunc_end151-_ZN4vllm3moe17topkGatingSoftmaxIDF16_Li16ELi16ELi8ELi32ELb0ELi2ELNS0_23SharedExpertScoringFuncE1EEEvPKT_PKbPfiPiS9_iiiiii
                                        ; -- End function
	.section	.AMDGPU.csdata,"",@progbits
; Kernel info:
; codeLenInByte = 4660
; NumSgprs: 30
; NumVgprs: 36
; ScratchSize: 0
; MemoryBound: 0
; FloatMode: 240
; IeeeMode: 1
; LDSByteSize: 0 bytes/workgroup (compile time only)
; SGPRBlocks: 3
; VGPRBlocks: 4
; NumSGPRsForWavesPerEU: 30
; NumVGPRsForWavesPerEU: 36
; Occupancy: 16
; WaveLimiterHint : 0
; COMPUTE_PGM_RSRC2:SCRATCH_EN: 0
; COMPUTE_PGM_RSRC2:USER_SGPR: 15
; COMPUTE_PGM_RSRC2:TRAP_HANDLER: 0
; COMPUTE_PGM_RSRC2:TGID_X_EN: 1
; COMPUTE_PGM_RSRC2:TGID_Y_EN: 0
; COMPUTE_PGM_RSRC2:TGID_Z_EN: 0
; COMPUTE_PGM_RSRC2:TIDIG_COMP_CNT: 1
	.section	.text._ZN4vllm3moe17topkGatingSoftmaxIDF16_Li16ELi16ELi8ELi32ELb1ELi4ELNS0_23SharedExpertScoringFuncE1EEEvPKT_PKbPfiPiS9_iiiiii,"axG",@progbits,_ZN4vllm3moe17topkGatingSoftmaxIDF16_Li16ELi16ELi8ELi32ELb1ELi4ELNS0_23SharedExpertScoringFuncE1EEEvPKT_PKbPfiPiS9_iiiiii,comdat
	.protected	_ZN4vllm3moe17topkGatingSoftmaxIDF16_Li16ELi16ELi8ELi32ELb1ELi4ELNS0_23SharedExpertScoringFuncE1EEEvPKT_PKbPfiPiS9_iiiiii ; -- Begin function _ZN4vllm3moe17topkGatingSoftmaxIDF16_Li16ELi16ELi8ELi32ELb1ELi4ELNS0_23SharedExpertScoringFuncE1EEEvPKT_PKbPfiPiS9_iiiiii
	.globl	_ZN4vllm3moe17topkGatingSoftmaxIDF16_Li16ELi16ELi8ELi32ELb1ELi4ELNS0_23SharedExpertScoringFuncE1EEEvPKT_PKbPfiPiS9_iiiiii
	.p2align	8
	.type	_ZN4vllm3moe17topkGatingSoftmaxIDF16_Li16ELi16ELi8ELi32ELb1ELi4ELNS0_23SharedExpertScoringFuncE1EEEvPKT_PKbPfiPiS9_iiiiii,@function
_ZN4vllm3moe17topkGatingSoftmaxIDF16_Li16ELi16ELi8ELi32ELb1ELi4ELNS0_23SharedExpertScoringFuncE1EEEvPKT_PKbPfiPiS9_iiiiii: ; @_ZN4vllm3moe17topkGatingSoftmaxIDF16_Li16ELi16ELi8ELi32ELb1ELi4ELNS0_23SharedExpertScoringFuncE1EEEvPKT_PKbPfiPiS9_iiiiii
; %bb.0:
	s_load_b32 s14, s[0:1], 0x18
	v_bfe_u32 v1, v0, 10, 10
	v_and_b32_e32 v11, 0x3ff, v0
	s_lshl_b32 s16, s15, 8
	s_mov_b32 s2, exec_lo
	s_delay_alu instid0(VALU_DEP_2) | instskip(NEXT) | instid1(VALU_DEP_1)
	v_lshlrev_b32_e32 v10, 5, v1
	v_add3_u32 v12, v10, v11, s16
	s_waitcnt lgkmcnt(0)
	s_delay_alu instid0(VALU_DEP_1)
	v_cmpx_gt_i32_e64 s14, v12
	s_cbranch_execz .LBB152_12
; %bb.1:
	s_clause 0x1
	s_load_b128 s[4:7], s[0:1], 0x0
	s_load_b64 s[12:13], s[0:1], 0x10
	s_waitcnt lgkmcnt(0)
	s_cmp_eq_u64 s[6:7], 0
	s_cbranch_scc1 .LBB152_3
; %bb.2:
	v_ashrrev_i32_e32 v1, 31, v12
	v_add_co_u32 v0, vcc_lo, s6, v12
	s_delay_alu instid0(VALU_DEP_2) | instskip(SKIP_3) | instid1(VALU_DEP_1)
	v_add_co_ci_u32_e32 v1, vcc_lo, s7, v1, vcc_lo
	global_load_u8 v0, v[0:1], off
	s_waitcnt vmcnt(0)
	v_and_b32_e32 v0, 1, v0
	v_cmp_eq_u32_e32 vcc_lo, 1, v0
	s_xor_b32 s2, vcc_lo, -1
	s_delay_alu instid0(SALU_CYCLE_1)
	s_or_not1_b32 s15, s2, exec_lo
	s_branch .LBB152_4
.LBB152_3:
	s_mov_b32 s15, -1
.LBB152_4:
	s_clause 0x1
	s_load_b64 s[6:7], s[0:1], 0x40
	s_load_b128 s[8:11], s[0:1], 0x30
	s_mov_b32 s2, 0x3fb8aa3b
	s_mov_b32 s3, 0x32a5705f
	s_waitcnt lgkmcnt(0)
	v_mul_lo_u32 v0, v12, s7
	s_cmp_gt_i32 s8, 0
	s_delay_alu instid0(VALU_DEP_1) | instskip(NEXT) | instid1(VALU_DEP_1)
	v_ashrrev_i32_e32 v1, 31, v0
	v_lshlrev_b64 v[0:1], 1, v[0:1]
	s_delay_alu instid0(VALU_DEP_1) | instskip(NEXT) | instid1(VALU_DEP_2)
	v_add_co_u32 v4, vcc_lo, s4, v0
	v_add_co_ci_u32_e32 v5, vcc_lo, s5, v1, vcc_lo
	s_clause 0x2
	global_load_b64 v[8:9], v[4:5], off offset:32
	global_load_b128 v[0:3], v[4:5], off offset:16
	global_load_b128 v[4:7], v[4:5], off
	s_waitcnt vmcnt(2)
	v_cvt_f32_f16_e64 v13, -v8
	v_lshrrev_b32_e32 v14, 16, v8
	v_cvt_f32_f16_e64 v15, -v9
	v_lshrrev_b32_e32 v16, 16, v9
	s_delay_alu instid0(VALU_DEP_4) | instskip(NEXT) | instid1(VALU_DEP_4)
	v_mul_f32_e32 v17, 0x3fb8aa3b, v13
	v_cvt_f32_f16_e64 v14, -v14
	s_delay_alu instid0(VALU_DEP_4) | instskip(NEXT) | instid1(VALU_DEP_4)
	v_mul_f32_e32 v18, 0x3fb8aa3b, v15
	v_cvt_f32_f16_e64 v16, -v16
	v_cmp_ngt_f32_e32 vcc_lo, 0xc2ce8ed0, v13
	v_fma_mix_f32 v19, -v8, s2, -v17 op_sel_hi:[1,0,0]
	v_rndne_f32_e32 v20, v17
	s_delay_alu instid0(VALU_DEP_4)
	v_dual_mul_f32 v21, 0x3fb8aa3b, v14 :: v_dual_mul_f32 v24, 0x3fb8aa3b, v16
	v_fma_mix_f32 v22, -v9, s2, -v18 op_sel_hi:[1,0,0]
	v_rndne_f32_e32 v23, v18
	v_fma_mix_f32 v19, -v8, s3, v19 op_sel_hi:[1,0,0]
	v_sub_f32_e32 v17, v17, v20
	v_fma_mix_f32 v25, -v8, s2, -v21 op_sel:[1,0,0] op_sel_hi:[1,0,0]
	v_rndne_f32_e32 v26, v21
	v_sub_f32_e32 v18, v18, v23
	v_fma_mix_f32 v22, -v9, s3, v22 op_sel_hi:[1,0,0]
	v_add_f32_e32 v17, v17, v19
	v_fma_mix_f32 v27, -v9, s2, -v24 op_sel:[1,0,0] op_sel_hi:[1,0,0]
	v_fma_mix_f32 v8, -v8, s3, v25 op_sel:[1,0,0] op_sel_hi:[1,0,0]
	v_sub_f32_e32 v19, v21, v26
	v_add_f32_e32 v18, v18, v22
	v_exp_f32_e32 v17, v17
	v_fma_mix_f32 v9, -v9, s3, v27 op_sel:[1,0,0] op_sel_hi:[1,0,0]
	v_rndne_f32_e32 v28, v24
	v_add_f32_e32 v8, v19, v8
	v_exp_f32_e32 v18, v18
	v_cvt_i32_f32_e32 v19, v20
	v_cvt_i32_f32_e32 v20, v23
	s_delay_alu instid0(TRANS32_DEP_2) | instid1(VALU_DEP_2)
	v_ldexp_f32 v17, v17, v19
	v_cvt_i32_f32_e32 v19, v26
	s_waitcnt_depctr 0xfff
	v_ldexp_f32 v18, v18, v20
	v_cndmask_b32_e32 v17, 0, v17, vcc_lo
	v_cmp_ngt_f32_e32 vcc_lo, 0xc2ce8ed0, v15
	s_delay_alu instid0(VALU_DEP_3) | instskip(NEXT) | instid1(VALU_DEP_1)
	v_dual_sub_f32 v21, v24, v28 :: v_dual_cndmask_b32 v18, 0, v18
	v_add_f32_e32 v9, v21, v9
	v_exp_f32_e32 v8, v8
	v_cmp_nlt_f32_e32 vcc_lo, 0x42b17218, v13
	v_cvt_i32_f32_e32 v21, v28
	s_delay_alu instid0(VALU_DEP_3)
	v_exp_f32_e32 v9, v9
	v_cndmask_b32_e32 v13, 0x7f800000, v17, vcc_lo
	v_cmp_ngt_f32_e32 vcc_lo, 0xc2ce8ed0, v14
	s_waitcnt_depctr 0xfff
	v_ldexp_f32 v8, v8, v19
	v_ldexp_f32 v9, v9, v21
	s_delay_alu instid0(VALU_DEP_2)
	v_cndmask_b32_e32 v8, 0, v8, vcc_lo
	v_cmp_nlt_f32_e32 vcc_lo, 0x42b17218, v15
	v_cndmask_b32_e32 v15, 0x7f800000, v18, vcc_lo
	v_cmp_ngt_f32_e32 vcc_lo, 0xc2ce8ed0, v16
	v_cndmask_b32_e32 v9, 0, v9, vcc_lo
	v_cmp_nlt_f32_e32 vcc_lo, 0x42b17218, v14
	v_cndmask_b32_e32 v8, 0x7f800000, v8, vcc_lo
	v_cmp_nlt_f32_e32 vcc_lo, 0x42b17218, v16
	s_delay_alu instid0(VALU_DEP_2) | instskip(SKIP_1) | instid1(VALU_DEP_2)
	v_add_f32_e32 v16, 1.0, v8
	v_mul_lo_u32 v8, v12, s11
	v_div_scale_f32 v19, null, v16, v16, 1.0
	v_div_scale_f32 v29, s3, 1.0, v16, 1.0
	s_delay_alu instid0(VALU_DEP_2) | instskip(SKIP_2) | instid1(VALU_DEP_1)
	v_rcp_f32_e32 v24, v19
	s_waitcnt_depctr 0xfff
	v_fma_f32 v28, -v19, v24, 1.0
	v_fmac_f32_e32 v24, v28, v24
	v_add_f32_e32 v20, 1.0, v15
	s_delay_alu instid0(VALU_DEP_2) | instskip(NEXT) | instid1(VALU_DEP_2)
	v_mul_f32_e32 v32, v29, v24
	v_div_scale_f32 v18, null, v20, v20, 1.0
	v_div_scale_f32 v27, s2, 1.0, v20, 1.0
	s_delay_alu instid0(VALU_DEP_3) | instskip(NEXT) | instid1(VALU_DEP_3)
	v_fma_f32 v36, -v19, v32, v29
	v_rcp_f32_e32 v22, v18
	s_delay_alu instid0(VALU_DEP_1) | instskip(NEXT) | instid1(VALU_DEP_1)
	v_fmac_f32_e32 v32, v36, v24
	v_fma_f32 v19, -v19, v32, v29
	s_waitcnt_depctr 0xfff
	v_fma_f32 v14, -v18, v22, 1.0
	s_delay_alu instid0(VALU_DEP_1) | instskip(NEXT) | instid1(VALU_DEP_1)
	v_dual_fmac_f32 v22, v14, v22 :: v_dual_cndmask_b32 v9, 0x7f800000, v9
	v_mul_f32_e32 v31, v27, v22
	s_delay_alu instid0(VALU_DEP_2) | instskip(NEXT) | instid1(VALU_DEP_2)
	v_add_f32_e32 v9, 1.0, v9
	v_fma_f32 v34, -v18, v31, v27
	s_delay_alu instid0(VALU_DEP_2) | instskip(SKIP_1) | instid1(VALU_DEP_3)
	v_div_scale_f32 v23, null, v9, v9, 1.0
	v_div_scale_f32 v28, s4, 1.0, v9, 1.0
	v_fmac_f32_e32 v31, v34, v22
	s_delay_alu instid0(VALU_DEP_3) | instskip(SKIP_1) | instid1(VALU_DEP_2)
	v_rcp_f32_e32 v26, v23
	v_add_f32_e32 v17, 1.0, v13
	v_fma_f32 v18, -v18, v31, v27
	s_delay_alu instid0(VALU_DEP_2) | instskip(NEXT) | instid1(VALU_DEP_1)
	v_div_scale_f32 v15, null, v17, v17, 1.0
	v_rcp_f32_e32 v21, v15
	s_waitcnt_depctr 0xfff
	v_fma_f32 v13, -v15, v21, 1.0
	s_delay_alu instid0(VALU_DEP_1) | instskip(SKIP_1) | instid1(VALU_DEP_1)
	v_fmac_f32_e32 v21, v13, v21
	v_fma_f32 v13, -v23, v26, 1.0
	v_fmac_f32_e32 v26, v13, v26
	v_div_scale_f32 v25, vcc_lo, 1.0, v17, 1.0
	s_delay_alu instid0(VALU_DEP_1) | instskip(NEXT) | instid1(VALU_DEP_1)
	v_dual_mul_f32 v35, v28, v26 :: v_dual_mul_f32 v30, v25, v21
	v_fma_f32 v33, -v15, v30, v25
	s_delay_alu instid0(VALU_DEP_1) | instskip(NEXT) | instid1(VALU_DEP_3)
	v_dual_fmac_f32 v30, v33, v21 :: v_dual_add_nc_u32 v13, s8, v8
	v_fma_f32 v33, -v23, v35, v28
	s_delay_alu instid0(VALU_DEP_2) | instskip(NEXT) | instid1(VALU_DEP_3)
	v_ashrrev_i32_e32 v14, 31, v13
	v_fma_f32 v15, -v15, v30, v25
	s_delay_alu instid0(VALU_DEP_3) | instskip(NEXT) | instid1(VALU_DEP_3)
	v_fmac_f32_e32 v35, v33, v26
	v_lshlrev_b64 v[13:14], 2, v[13:14]
	s_delay_alu instid0(VALU_DEP_3) | instskip(SKIP_1) | instid1(VALU_DEP_3)
	v_div_fmas_f32 v15, v15, v21, v30
	s_mov_b32 vcc_lo, s3
	v_fma_f32 v21, -v23, v35, v28
	v_div_fmas_f32 v23, v19, v24, v32
	s_mov_b32 vcc_lo, s2
	s_cselect_b32 s2, -1, 0
	v_div_fmas_f32 v22, v18, v22, v31
	s_mov_b32 vcc_lo, s4
	s_cmp_lt_i32 s8, 1
	v_div_fmas_f32 v21, v21, v26, v35
	v_add_co_u32 v18, vcc_lo, s12, v13
	v_add_co_ci_u32_e32 v19, vcc_lo, s13, v14, vcc_lo
	v_div_fixup_f32 v14, v15, v17, 1.0
	v_div_fixup_f32 v15, v23, v16, 1.0
	;; [unrolled: 1-line block ×4, first 2 shown]
	v_mov_b32_e32 v13, 0
	global_store_b128 v[18:19], v[14:17], off
	s_cbranch_scc1 .LBB152_8
; %bb.5:
	s_waitcnt vmcnt(0)
	v_lshrrev_b32_e32 v9, 16, v4
	v_cvt_f32_f16_e32 v26, v4
	v_cvt_f32_f16_e32 v24, v5
	;; [unrolled: 1-line block ×3, first 2 shown]
	v_lshrrev_b32_e32 v5, 16, v5
	v_cvt_f32_f16_e32 v25, v9
	v_cmp_lt_f16_e32 vcc_lo, v4, v9
	v_lshrrev_b32_e32 v0, 16, v0
	v_cvt_f32_f16_e32 v22, v6
	v_cvt_f32_f16_e32 v23, v5
	v_lshrrev_b32_e32 v6, 16, v6
	v_cndmask_b32_e32 v9, v26, v25, vcc_lo
	v_cndmask_b32_e64 v4, 0, 1, vcc_lo
	v_cvt_f32_f16_e32 v17, v0
	v_cvt_f32_f16_e32 v20, v7
	;; [unrolled: 1-line block ×3, first 2 shown]
	v_cmp_lt_f32_e32 vcc_lo, v9, v24
	v_lshrrev_b32_e32 v6, 16, v7
	v_cvt_f32_f16_e32 v16, v1
	v_lshrrev_b32_e32 v1, 16, v1
	v_cvt_f32_f16_e32 v14, v2
	v_cndmask_b32_e32 v5, v9, v24, vcc_lo
	v_cndmask_b32_e64 v4, v4, 2, vcc_lo
	v_cvt_f32_f16_e32 v19, v6
	v_cvt_f32_f16_e32 v15, v1
	v_lshrrev_b32_e32 v2, 16, v2
	v_cmp_lt_f32_e32 vcc_lo, v5, v23
	v_cvt_f32_f16_e32 v29, v3
	v_ashrrev_i32_e32 v9, 31, v8
	s_delay_alu instid0(VALU_DEP_4) | instskip(SKIP_3) | instid1(VALU_DEP_3)
	v_cvt_f32_f16_e32 v28, v2
	v_cndmask_b32_e32 v5, v5, v23, vcc_lo
	v_cndmask_b32_e64 v4, v4, 3, vcc_lo
	v_lshrrev_b32_e32 v2, 16, v3
	v_cmp_lt_f32_e32 vcc_lo, v5, v22
	s_delay_alu instid0(VALU_DEP_2) | instskip(SKIP_3) | instid1(VALU_DEP_2)
	v_cvt_f32_f16_e32 v7, v2
	v_mul_lo_u32 v2, v12, s8
	v_cndmask_b32_e32 v5, v5, v22, vcc_lo
	v_cndmask_b32_e64 v4, v4, 4, vcc_lo
	v_cmp_lt_f32_e32 vcc_lo, v5, v21
	v_cndmask_b32_e32 v5, v5, v21, vcc_lo
	s_delay_alu instid0(VALU_DEP_3) | instskip(NEXT) | instid1(VALU_DEP_2)
	v_cndmask_b32_e64 v4, v4, 5, vcc_lo
	v_cmp_lt_f32_e32 vcc_lo, v5, v20
	v_cndmask_b32_e32 v5, v5, v20, vcc_lo
	s_delay_alu instid0(VALU_DEP_3) | instskip(NEXT) | instid1(VALU_DEP_2)
	;; [unrolled: 4-line block ×3, first 2 shown]
	v_cndmask_b32_e64 v4, v4, 7, vcc_lo
	v_cmp_lt_f32_e32 vcc_lo, v5, v18
	s_delay_alu instid0(VALU_DEP_2) | instskip(SKIP_1) | instid1(VALU_DEP_1)
	v_cndmask_b32_e64 v0, v4, 8, vcc_lo
	v_cndmask_b32_e32 v4, v5, v18, vcc_lo
	v_cmp_lt_f32_e32 vcc_lo, v4, v17
	v_cndmask_b32_e32 v4, v4, v17, vcc_lo
	s_delay_alu instid0(VALU_DEP_4) | instskip(NEXT) | instid1(VALU_DEP_2)
	v_cndmask_b32_e64 v0, v0, 9, vcc_lo
	v_cmp_lt_f32_e32 vcc_lo, v4, v16
	v_cndmask_b32_e32 v1, v4, v16, vcc_lo
	s_delay_alu instid0(VALU_DEP_3) | instskip(SKIP_1) | instid1(VALU_DEP_3)
	v_cndmask_b32_e64 v0, v0, 10, vcc_lo
	v_lshlrev_b64 v[4:5], 2, v[8:9]
	v_cmp_lt_f32_e32 vcc_lo, v1, v15
	v_cndmask_b32_e32 v1, v1, v15, vcc_lo
	s_delay_alu instid0(VALU_DEP_4) | instskip(NEXT) | instid1(VALU_DEP_2)
	v_cndmask_b32_e64 v0, v0, 11, vcc_lo
	v_cmp_lt_f32_e32 vcc_lo, v1, v14
	v_cndmask_b32_e32 v1, v1, v14, vcc_lo
	s_delay_alu instid0(VALU_DEP_3) | instskip(NEXT) | instid1(VALU_DEP_2)
	v_cndmask_b32_e64 v0, v0, 12, vcc_lo
	v_cmp_lt_f32_e32 vcc_lo, v1, v28
	v_cndmask_b32_e32 v1, v1, v28, vcc_lo
	s_delay_alu instid0(VALU_DEP_3) | instskip(NEXT) | instid1(VALU_DEP_2)
	v_cndmask_b32_e64 v0, v0, 13, vcc_lo
	v_cmp_lt_f32_e32 vcc_lo, v1, v29
	v_cndmask_b32_e32 v1, v1, v29, vcc_lo
	s_delay_alu instid0(VALU_DEP_3) | instskip(NEXT) | instid1(VALU_DEP_2)
	v_cndmask_b32_e64 v0, v0, 14, vcc_lo
	v_cmp_lt_f32_e32 vcc_lo, v1, v7
	v_cndmask_b32_e32 v6, v1, v7, vcc_lo
	s_delay_alu instid0(VALU_DEP_3) | instskip(SKIP_2) | instid1(VALU_DEP_4)
	v_cndmask_b32_e64 v27, v0, 15, vcc_lo
	v_add_co_u32 v4, vcc_lo, s12, v4
	v_add_co_ci_u32_e32 v5, vcc_lo, s13, v5, vcc_lo
	v_sub_f32_e32 v13, v6, v6
	s_delay_alu instid0(VALU_DEP_4) | instskip(SKIP_1) | instid1(VALU_DEP_3)
	v_cmp_le_i32_e32 vcc_lo, s9, v27
	v_subrev_nc_u32_e32 v32, s9, v27
	v_mul_f32_e32 v0, 0x3fb8aa3b, v13
	s_delay_alu instid0(VALU_DEP_1) | instskip(SKIP_1) | instid1(VALU_DEP_2)
	v_fma_f32 v1, 0x3fb8aa3b, v13, -v0
	v_rndne_f32_e32 v30, v0
	v_fmac_f32_e32 v1, 0x32a5705f, v13
	s_delay_alu instid0(VALU_DEP_2)
	v_sub_f32_e32 v3, v0, v30
	v_mul_lo_u32 v0, v12, s6
	s_load_b128 s[4:7], s[0:1], 0x20
	v_cvt_i32_f32_e32 v30, v30
	v_cmp_gt_i32_e64 s0, s10, v27
	v_add_f32_e32 v3, v3, v1
	s_delay_alu instid0(VALU_DEP_4) | instskip(NEXT) | instid1(VALU_DEP_2)
	v_ashrrev_i32_e32 v1, 31, v0
	v_exp_f32_e32 v9, v3
	s_delay_alu instid0(VALU_DEP_3) | instskip(SKIP_3) | instid1(VALU_DEP_2)
	s_and_b32 s0, vcc_lo, s0
	v_cmp_ngt_f32_e32 vcc_lo, 0xc2ce8ed0, v13
	v_ashrrev_i32_e32 v3, 31, v2
	v_lshlrev_b64 v[0:1], 2, v[0:1]
	v_lshlrev_b64 v[2:3], 2, v[2:3]
	s_waitcnt_depctr 0xfff
	v_ldexp_f32 v9, v9, v30
	s_delay_alu instid0(VALU_DEP_1)
	v_cndmask_b32_e32 v9, 0, v9, vcc_lo
	s_waitcnt lgkmcnt(0)
	v_add_co_u32 v30, vcc_lo, s4, v0
	v_add_co_ci_u32_e32 v31, vcc_lo, s5, v1, vcc_lo
	s_and_b32 vcc_lo, s15, s0
	s_cmp_eq_u32 s8, 1
	v_cndmask_b32_e32 v34, 16, v32, vcc_lo
	v_cmp_nlt_f32_e32 vcc_lo, 0x42b17218, v13
	v_cndmask_b32_e32 v13, 0x7f800000, v9, vcc_lo
	v_add_co_u32 v32, vcc_lo, s6, v2
	v_add_co_ci_u32_e32 v33, vcc_lo, s7, v3, vcc_lo
	global_store_b32 v[30:31], v34, off
	global_store_b32 v[4:5], v13, off
	;; [unrolled: 1-line block ×3, first 2 shown]
	s_cbranch_scc1 .LBB152_8
; %bb.6:
	v_cmp_ne_u32_e32 vcc_lo, 15, v27
	s_add_i32 s16, s16, s14
	s_add_i32 s3, s8, -1
	v_add3_u32 v10, s16, v11, v10
	v_cndmask_b32_e32 v7, 0xff800000, v7, vcc_lo
	v_cmp_ne_u32_e32 vcc_lo, 14, v27
	v_cndmask_b32_e32 v9, 0xff800000, v29, vcc_lo
	v_cmp_ne_u32_e32 vcc_lo, 13, v27
	;; [unrolled: 2-line block ×15, first 2 shown]
	v_cndmask_b32_e32 v26, 0xff800000, v26, vcc_lo
	v_add_co_u32 v2, vcc_lo, v2, s6
	v_add_co_ci_u32_e32 v3, vcc_lo, s7, v3, vcc_lo
	v_add_co_u32 v27, vcc_lo, v0, s4
	v_add_co_ci_u32_e32 v28, vcc_lo, s5, v1, vcc_lo
	s_delay_alu instid0(VALU_DEP_4) | instskip(NEXT) | instid1(VALU_DEP_4)
	v_add_co_u32 v0, vcc_lo, v2, 4
	v_add_co_ci_u32_e32 v1, vcc_lo, 0, v3, vcc_lo
	s_delay_alu instid0(VALU_DEP_4) | instskip(NEXT) | instid1(VALU_DEP_4)
	v_add_co_u32 v2, vcc_lo, v27, 4
	v_add_co_ci_u32_e32 v3, vcc_lo, 0, v28, vcc_lo
	v_add_co_u32 v4, vcc_lo, v4, 4
	v_add_co_ci_u32_e32 v5, vcc_lo, 0, v5, vcc_lo
.LBB152_7:                              ; =>This Inner Loop Header: Depth=1
	v_cmp_gt_f32_e32 vcc_lo, v25, v26
	s_add_i32 s3, s3, -1
	v_cndmask_b32_e32 v11, v26, v25, vcc_lo
	v_cndmask_b32_e64 v27, 0, 1, vcc_lo
	s_delay_alu instid0(VALU_DEP_2) | instskip(SKIP_1) | instid1(VALU_DEP_3)
	v_cmp_gt_f32_e32 vcc_lo, v24, v11
	v_cndmask_b32_e32 v11, v11, v24, vcc_lo
	v_cndmask_b32_e64 v27, v27, 2, vcc_lo
	s_delay_alu instid0(VALU_DEP_2) | instskip(SKIP_1) | instid1(VALU_DEP_3)
	v_cmp_gt_f32_e32 vcc_lo, v23, v11
	;; [unrolled: 4-line block ×13, first 2 shown]
	v_cndmask_b32_e32 v11, v11, v9, vcc_lo
	v_cndmask_b32_e64 v27, v27, 14, vcc_lo
	s_delay_alu instid0(VALU_DEP_2) | instskip(NEXT) | instid1(VALU_DEP_2)
	v_cmp_gt_f32_e32 vcc_lo, v7, v11
	v_cndmask_b32_e64 v27, v27, 15, vcc_lo
	v_cndmask_b32_e32 v11, v11, v7, vcc_lo
	s_delay_alu instid0(VALU_DEP_2) | instskip(SKIP_2) | instid1(VALU_DEP_4)
	v_cmp_ne_u32_e64 s1, 15, v27
	v_cmp_le_i32_e32 vcc_lo, s9, v27
	v_cmp_gt_i32_e64 s0, s10, v27
	v_sub_f32_e32 v11, v11, v6
	v_subrev_nc_u32_e32 v29, s9, v27
	v_cndmask_b32_e64 v7, 0xff800000, v7, s1
	v_cmp_ne_u32_e64 s1, 14, v27
	s_and_b32 s0, vcc_lo, s0
	s_delay_alu instid0(SALU_CYCLE_1) | instskip(SKIP_1) | instid1(VALU_DEP_2)
	s_and_b32 vcc_lo, s15, s0
	v_dual_mul_f32 v28, 0x3fb8aa3b, v11 :: v_dual_cndmask_b32 v29, 16, v29
	v_cndmask_b32_e64 v9, 0xff800000, v9, s1
	v_cmp_ne_u32_e64 s1, 13, v27
	global_store_b32 v[2:3], v29, off
	global_store_b32 v[0:1], v10, off
	v_rndne_f32_e32 v30, v28
	v_cndmask_b32_e64 v12, 0xff800000, v12, s1
	v_cmp_ne_u32_e64 s1, 12, v27
	v_add_co_u32 v0, vcc_lo, v0, 4
	v_add_co_ci_u32_e32 v1, vcc_lo, 0, v1, vcc_lo
	s_delay_alu instid0(VALU_DEP_3) | instskip(SKIP_3) | instid1(VALU_DEP_3)
	v_cndmask_b32_e64 v14, 0xff800000, v14, s1
	v_cmp_ne_u32_e64 s1, 11, v27
	v_add_co_u32 v2, vcc_lo, v2, 4
	v_add_co_ci_u32_e32 v3, vcc_lo, 0, v3, vcc_lo
	v_cndmask_b32_e64 v15, 0xff800000, v15, s1
	v_cmp_ne_u32_e64 s1, 10, v27
	v_cmp_ngt_f32_e32 vcc_lo, 0xc2ce8ed0, v11
	v_add_nc_u32_e32 v10, s14, v10
	s_cmp_eq_u32 s3, 0
	s_delay_alu instid0(VALU_DEP_3) | instskip(SKIP_1) | instid1(VALU_DEP_1)
	v_cndmask_b32_e64 v16, 0xff800000, v16, s1
	v_cmp_ne_u32_e64 s1, 9, v27
	v_cndmask_b32_e64 v17, 0xff800000, v17, s1
	v_cmp_ne_u32_e64 s1, 8, v27
	s_delay_alu instid0(VALU_DEP_1) | instskip(SKIP_1) | instid1(VALU_DEP_1)
	v_cndmask_b32_e64 v18, 0xff800000, v18, s1
	v_cmp_ne_u32_e64 s1, 7, v27
	v_cndmask_b32_e64 v19, 0xff800000, v19, s1
	v_cmp_ne_u32_e64 s1, 6, v27
	s_delay_alu instid0(VALU_DEP_1) | instskip(SKIP_1) | instid1(VALU_DEP_1)
	;; [unrolled: 5-line block ×4, first 2 shown]
	v_cndmask_b32_e64 v24, 0xff800000, v24, s1
	v_cmp_ne_u32_e64 s1, 1, v27
	v_cndmask_b32_e64 v25, 0xff800000, v25, s1
	v_cmp_ne_u32_e64 s1, 0, v27
	v_fma_f32 v27, 0x3fb8aa3b, v11, -v28
	v_sub_f32_e32 v28, v28, v30
	v_cvt_i32_f32_e32 v30, v30
	s_delay_alu instid0(VALU_DEP_4) | instskip(NEXT) | instid1(VALU_DEP_4)
	v_cndmask_b32_e64 v26, 0xff800000, v26, s1
	v_fmac_f32_e32 v27, 0x32a5705f, v11
	s_delay_alu instid0(VALU_DEP_1) | instskip(NEXT) | instid1(VALU_DEP_1)
	v_add_f32_e32 v27, v28, v27
	v_exp_f32_e32 v27, v27
	s_waitcnt_depctr 0xfff
	v_ldexp_f32 v27, v27, v30
	s_delay_alu instid0(VALU_DEP_1) | instskip(SKIP_1) | instid1(VALU_DEP_2)
	v_cndmask_b32_e32 v27, 0, v27, vcc_lo
	v_cmp_nlt_f32_e32 vcc_lo, 0x42b17218, v11
	v_cndmask_b32_e32 v11, 0x7f800000, v27, vcc_lo
	global_store_b32 v[4:5], v11, off
	v_add_co_u32 v4, vcc_lo, v4, 4
	v_add_f32_e32 v13, v13, v11
	v_add_co_ci_u32_e32 v5, vcc_lo, 0, v5, vcc_lo
	s_cbranch_scc0 .LBB152_7
.LBB152_8:
	s_delay_alu instid0(VALU_DEP_2)
	v_cmp_neq_f32_e32 vcc_lo, 0, v13
	s_and_b32 exec_lo, exec_lo, vcc_lo
	s_cbranch_execz .LBB152_12
; %bb.9:
	s_and_not1_b32 vcc_lo, exec_lo, s2
	s_cbranch_vccnz .LBB152_12
; %bb.10:
	s_waitcnt vmcnt(1)
	v_div_scale_f32 v0, null, v13, v13, 1.0
	v_div_scale_f32 v3, vcc_lo, 1.0, v13, 1.0
	v_ashrrev_i32_e32 v9, 31, v8
	s_delay_alu instid0(VALU_DEP_3) | instskip(SKIP_2) | instid1(VALU_DEP_1)
	v_rcp_f32_e32 v1, v0
	s_waitcnt_depctr 0xfff
	v_fma_f32 v2, -v0, v1, 1.0
	v_fmac_f32_e32 v1, v2, v1
	s_delay_alu instid0(VALU_DEP_1) | instskip(SKIP_1) | instid1(VALU_DEP_1)
	v_mul_f32_e32 v2, v3, v1
	s_waitcnt vmcnt(0)
	v_fma_f32 v4, -v0, v2, v3
	s_delay_alu instid0(VALU_DEP_1) | instskip(NEXT) | instid1(VALU_DEP_1)
	v_fmac_f32_e32 v2, v4, v1
	v_fma_f32 v0, -v0, v2, v3
	s_delay_alu instid0(VALU_DEP_1) | instskip(SKIP_1) | instid1(VALU_DEP_2)
	v_div_fmas_f32 v2, v0, v1, v2
	v_lshlrev_b64 v[0:1], 2, v[8:9]
	v_div_fixup_f32 v2, v2, v13, 1.0
	s_delay_alu instid0(VALU_DEP_2) | instskip(NEXT) | instid1(VALU_DEP_3)
	v_add_co_u32 v0, vcc_lo, s12, v0
	v_add_co_ci_u32_e32 v1, vcc_lo, s13, v1, vcc_lo
.LBB152_11:                             ; =>This Inner Loop Header: Depth=1
	global_load_b32 v3, v[0:1], off
	s_add_i32 s8, s8, -1
	s_delay_alu instid0(SALU_CYCLE_1)
	s_cmp_lg_u32 s8, 0
	s_waitcnt vmcnt(0)
	v_mul_f32_e32 v3, v2, v3
	global_store_b32 v[0:1], v3, off
	v_add_co_u32 v0, vcc_lo, v0, 4
	v_add_co_ci_u32_e32 v1, vcc_lo, 0, v1, vcc_lo
	s_cbranch_scc1 .LBB152_11
.LBB152_12:
	s_nop 0
	s_sendmsg sendmsg(MSG_DEALLOC_VGPRS)
	s_endpgm
	.section	.rodata,"a",@progbits
	.p2align	6, 0x0
	.amdhsa_kernel _ZN4vllm3moe17topkGatingSoftmaxIDF16_Li16ELi16ELi8ELi32ELb1ELi4ELNS0_23SharedExpertScoringFuncE1EEEvPKT_PKbPfiPiS9_iiiiii
		.amdhsa_group_segment_fixed_size 0
		.amdhsa_private_segment_fixed_size 0
		.amdhsa_kernarg_size 72
		.amdhsa_user_sgpr_count 15
		.amdhsa_user_sgpr_dispatch_ptr 0
		.amdhsa_user_sgpr_queue_ptr 0
		.amdhsa_user_sgpr_kernarg_segment_ptr 1
		.amdhsa_user_sgpr_dispatch_id 0
		.amdhsa_user_sgpr_private_segment_size 0
		.amdhsa_wavefront_size32 1
		.amdhsa_uses_dynamic_stack 0
		.amdhsa_enable_private_segment 0
		.amdhsa_system_sgpr_workgroup_id_x 1
		.amdhsa_system_sgpr_workgroup_id_y 0
		.amdhsa_system_sgpr_workgroup_id_z 0
		.amdhsa_system_sgpr_workgroup_info 0
		.amdhsa_system_vgpr_workitem_id 1
		.amdhsa_next_free_vgpr 37
		.amdhsa_next_free_sgpr 17
		.amdhsa_reserve_vcc 1
		.amdhsa_float_round_mode_32 0
		.amdhsa_float_round_mode_16_64 0
		.amdhsa_float_denorm_mode_32 3
		.amdhsa_float_denorm_mode_16_64 3
		.amdhsa_dx10_clamp 1
		.amdhsa_ieee_mode 1
		.amdhsa_fp16_overflow 0
		.amdhsa_workgroup_processor_mode 1
		.amdhsa_memory_ordered 1
		.amdhsa_forward_progress 0
		.amdhsa_shared_vgpr_count 0
		.amdhsa_exception_fp_ieee_invalid_op 0
		.amdhsa_exception_fp_denorm_src 0
		.amdhsa_exception_fp_ieee_div_zero 0
		.amdhsa_exception_fp_ieee_overflow 0
		.amdhsa_exception_fp_ieee_underflow 0
		.amdhsa_exception_fp_ieee_inexact 0
		.amdhsa_exception_int_div_zero 0
	.end_amdhsa_kernel
	.section	.text._ZN4vllm3moe17topkGatingSoftmaxIDF16_Li16ELi16ELi8ELi32ELb1ELi4ELNS0_23SharedExpertScoringFuncE1EEEvPKT_PKbPfiPiS9_iiiiii,"axG",@progbits,_ZN4vllm3moe17topkGatingSoftmaxIDF16_Li16ELi16ELi8ELi32ELb1ELi4ELNS0_23SharedExpertScoringFuncE1EEEvPKT_PKbPfiPiS9_iiiiii,comdat
.Lfunc_end152:
	.size	_ZN4vllm3moe17topkGatingSoftmaxIDF16_Li16ELi16ELi8ELi32ELb1ELi4ELNS0_23SharedExpertScoringFuncE1EEEvPKT_PKbPfiPiS9_iiiiii, .Lfunc_end152-_ZN4vllm3moe17topkGatingSoftmaxIDF16_Li16ELi16ELi8ELi32ELb1ELi4ELNS0_23SharedExpertScoringFuncE1EEEvPKT_PKbPfiPiS9_iiiiii
                                        ; -- End function
	.section	.AMDGPU.csdata,"",@progbits
; Kernel info:
; codeLenInByte = 3140
; NumSgprs: 19
; NumVgprs: 37
; ScratchSize: 0
; MemoryBound: 0
; FloatMode: 240
; IeeeMode: 1
; LDSByteSize: 0 bytes/workgroup (compile time only)
; SGPRBlocks: 2
; VGPRBlocks: 4
; NumSGPRsForWavesPerEU: 19
; NumVGPRsForWavesPerEU: 37
; Occupancy: 16
; WaveLimiterHint : 0
; COMPUTE_PGM_RSRC2:SCRATCH_EN: 0
; COMPUTE_PGM_RSRC2:USER_SGPR: 15
; COMPUTE_PGM_RSRC2:TRAP_HANDLER: 0
; COMPUTE_PGM_RSRC2:TGID_X_EN: 1
; COMPUTE_PGM_RSRC2:TGID_Y_EN: 0
; COMPUTE_PGM_RSRC2:TGID_Z_EN: 0
; COMPUTE_PGM_RSRC2:TIDIG_COMP_CNT: 1
	.section	.text._ZN4vllm3moe17topkGatingSoftmaxIDF16_Li16ELi16ELi8ELi32ELb0ELi4ELNS0_23SharedExpertScoringFuncE1EEEvPKT_PKbPfiPiS9_iiiiii,"axG",@progbits,_ZN4vllm3moe17topkGatingSoftmaxIDF16_Li16ELi16ELi8ELi32ELb0ELi4ELNS0_23SharedExpertScoringFuncE1EEEvPKT_PKbPfiPiS9_iiiiii,comdat
	.protected	_ZN4vllm3moe17topkGatingSoftmaxIDF16_Li16ELi16ELi8ELi32ELb0ELi4ELNS0_23SharedExpertScoringFuncE1EEEvPKT_PKbPfiPiS9_iiiiii ; -- Begin function _ZN4vllm3moe17topkGatingSoftmaxIDF16_Li16ELi16ELi8ELi32ELb0ELi4ELNS0_23SharedExpertScoringFuncE1EEEvPKT_PKbPfiPiS9_iiiiii
	.globl	_ZN4vllm3moe17topkGatingSoftmaxIDF16_Li16ELi16ELi8ELi32ELb0ELi4ELNS0_23SharedExpertScoringFuncE1EEEvPKT_PKbPfiPiS9_iiiiii
	.p2align	8
	.type	_ZN4vllm3moe17topkGatingSoftmaxIDF16_Li16ELi16ELi8ELi32ELb0ELi4ELNS0_23SharedExpertScoringFuncE1EEEvPKT_PKbPfiPiS9_iiiiii,@function
_ZN4vllm3moe17topkGatingSoftmaxIDF16_Li16ELi16ELi8ELi32ELb0ELi4ELNS0_23SharedExpertScoringFuncE1EEEvPKT_PKbPfiPiS9_iiiiii: ; @_ZN4vllm3moe17topkGatingSoftmaxIDF16_Li16ELi16ELi8ELi32ELb0ELi4ELNS0_23SharedExpertScoringFuncE1EEEvPKT_PKbPfiPiS9_iiiiii
; %bb.0:
	s_load_b32 s19, s[0:1], 0x18
	v_bfe_u32 v1, v0, 10, 10
	v_and_b32_e32 v26, 0x3ff, v0
	s_lshl_b32 s29, s15, 8
	s_mov_b32 s2, exec_lo
	s_delay_alu instid0(VALU_DEP_2) | instskip(NEXT) | instid1(VALU_DEP_1)
	v_lshlrev_b32_e32 v25, 5, v1
	v_add3_u32 v27, v25, v26, s29
	s_waitcnt lgkmcnt(0)
	s_delay_alu instid0(VALU_DEP_1)
	v_cmpx_gt_i32_e64 s19, v27
	s_cbranch_execz .LBB153_12
; %bb.1:
	s_clause 0x1
	s_load_b128 s[4:7], s[0:1], 0x0
	s_load_b64 s[24:25], s[0:1], 0x10
	s_waitcnt lgkmcnt(0)
	s_cmp_eq_u64 s[6:7], 0
	s_cbranch_scc1 .LBB153_3
; %bb.2:
	v_ashrrev_i32_e32 v1, 31, v27
	v_add_co_u32 v0, vcc_lo, s6, v27
	s_delay_alu instid0(VALU_DEP_2) | instskip(SKIP_3) | instid1(VALU_DEP_1)
	v_add_co_ci_u32_e32 v1, vcc_lo, s7, v1, vcc_lo
	global_load_u8 v0, v[0:1], off
	s_waitcnt vmcnt(0)
	v_and_b32_e32 v0, 1, v0
	v_cmp_eq_u32_e32 vcc_lo, 1, v0
	s_xor_b32 s2, vcc_lo, -1
	s_delay_alu instid0(SALU_CYCLE_1)
	s_or_not1_b32 s28, s2, exec_lo
	s_branch .LBB153_4
.LBB153_3:
	s_mov_b32 s28, -1
.LBB153_4:
	s_clause 0x1
	s_load_b64 s[26:27], s[0:1], 0x40
	s_load_b128 s[20:23], s[0:1], 0x30
	s_mov_b32 s3, 0x3fb8aa3b
	s_waitcnt lgkmcnt(0)
	v_mul_lo_u32 v0, v27, s27
	s_cmp_gt_i32 s20, 0
	s_delay_alu instid0(VALU_DEP_1) | instskip(NEXT) | instid1(VALU_DEP_1)
	v_ashrrev_i32_e32 v1, 31, v0
	v_lshlrev_b64 v[0:1], 1, v[0:1]
	s_delay_alu instid0(VALU_DEP_1) | instskip(NEXT) | instid1(VALU_DEP_2)
	v_add_co_u32 v9, vcc_lo, s4, v0
	v_add_co_ci_u32_e32 v10, vcc_lo, s5, v1, vcc_lo
	v_mul_lo_u32 v0, v27, s23
	s_mov_b32 s4, 0x32a5705f
	s_clause 0x2
	global_load_b128 v[1:4], v[9:10], off
	global_load_b128 v[5:8], v[9:10], off offset:16
	global_load_b64 v[28:29], v[9:10], off offset:32
	s_waitcnt vmcnt(2)
	v_lshrrev_b32_e32 v16, 16, v1
	s_waitcnt vmcnt(1)
	v_cvt_f32_f16_e32 v13, v5
	v_lshrrev_b32_e32 v5, 16, v5
	s_waitcnt vmcnt(0)
	v_lshrrev_b32_e32 v32, 16, v29
	v_cvt_f32_f16_e32 v21, v2
	v_lshrrev_b32_e32 v2, 16, v2
	v_cvt_f32_f16_e32 v20, v3
	;; [unrolled: 2-line block ×3, first 2 shown]
	v_lshrrev_b32_e32 v4, 16, v4
	v_lshrrev_b32_e32 v18, 16, v28
	v_cvt_f32_f16_e64 v33, -v28
	v_cvt_f32_f16_e64 v34, -v29
	v_cvt_f32_f16_e32 v14, v5
	v_cvt_f32_f16_e64 v5, -v32
	v_add_nc_u32_e32 v9, s20, v0
	v_cvt_f32_f16_e32 v22, v1
	v_cvt_f32_f16_e32 v24, v16
	;; [unrolled: 1-line block ×3, first 2 shown]
	v_mul_f32_e32 v2, 0x3fb8aa3b, v33
	v_cvt_f32_f16_e32 v19, v3
	v_cvt_f32_f16_e32 v17, v4
	v_cvt_f32_f16_e64 v3, -v18
	v_dual_mul_f32 v4, 0x3fb8aa3b, v34 :: v_dual_mul_f32 v37, 0x3fb8aa3b, v5
	v_cmp_lt_f16_e64 s2, v1, v16
	v_cvt_f32_f16_e32 v11, v6
	v_lshrrev_b32_e32 v6, 16, v6
	v_rndne_f32_e32 v18, v2
	v_rndne_f32_e32 v40, v37
	v_mul_f32_e32 v32, 0x3fb8aa3b, v3
	v_cndmask_b32_e64 v1, v22, v24, s2
	v_cvt_f32_f16_e32 v12, v6
	v_fma_mix_f32 v6, -v28, s3, -v2 op_sel_hi:[1,0,0]
	v_fma_mix_f32 v35, -v29, s3, -v4 op_sel_hi:[1,0,0]
	v_sub_f32_e32 v2, v2, v18
	v_cvt_i32_f32_e32 v16, v18
	v_fma_mix_f32 v18, -v28, s3, -v32 op_sel:[1,0,0] op_sel_hi:[1,0,0]
	v_fma_mix_f32 v39, -v29, s3, -v37 op_sel:[1,0,0] op_sel_hi:[1,0,0]
	v_cmp_lt_f32_e64 s3, v1, v21
	v_fma_mix_f32 v6, -v28, s4, v6 op_sel_hi:[1,0,0]
	v_fma_mix_f32 v35, -v29, s4, v35 op_sel_hi:[1,0,0]
	v_rndne_f32_e32 v36, v4
	v_ashrrev_i32_e32 v10, 31, v9
	v_cndmask_b32_e64 v1, v1, v21, s3
	v_add_f32_e32 v2, v2, v6
	v_fma_mix_f32 v6, -v28, s4, v18 op_sel:[1,0,0] op_sel_hi:[1,0,0]
	v_fma_mix_f32 v28, -v29, s4, v39 op_sel:[1,0,0] op_sel_hi:[1,0,0]
	v_sub_f32_e32 v4, v4, v36
	v_cmp_lt_f32_e64 s4, v1, v23
	v_sub_f32_e32 v29, v37, v40
	v_rndne_f32_e32 v38, v32
	v_exp_f32_e32 v2, v2
	v_add_f32_e32 v4, v4, v35
	v_cndmask_b32_e64 v1, v1, v23, s4
	v_lshlrev_b64 v[9:10], 2, v[9:10]
	v_sub_f32_e32 v18, v32, v38
	v_cvt_i32_f32_e32 v32, v38
	v_exp_f32_e32 v4, v4
	v_cmp_lt_f32_e64 s5, v1, v20
	v_add_f32_e32 v28, v29, v28
	v_add_co_u32 v30, vcc_lo, s24, v9
	v_add_co_ci_u32_e32 v31, vcc_lo, s25, v10, vcc_lo
	s_delay_alu instid0(VALU_DEP_4)
	v_cndmask_b32_e64 v1, v1, v20, s5
	v_add_f32_e32 v6, v18, v6
	v_cvt_i32_f32_e32 v18, v36
	v_ldexp_f32 v2, v2, v16
	v_cmp_ngt_f32_e32 vcc_lo, 0xc2ce8ed0, v33
	v_cmp_lt_f32_e64 s7, v1, v19
	v_exp_f32_e32 v6, v6
	v_ldexp_f32 v4, v4, v18
	v_exp_f32_e32 v28, v28
	v_cndmask_b32_e32 v2, 0, v2, vcc_lo
	v_cndmask_b32_e64 v1, v1, v19, s7
	v_cmp_ngt_f32_e32 vcc_lo, 0xc2ce8ed0, v34
	v_cvt_i32_f32_e32 v29, v40
	v_cvt_f32_f16_e32 v9, v7
	v_lshrrev_b32_e32 v10, 16, v7
	v_cmp_lt_f32_e64 s11, v1, v15
	v_cndmask_b32_e32 v4, 0, v4, vcc_lo
	v_cmp_nlt_f32_e32 vcc_lo, 0x42b17218, v33
	v_ldexp_f32 v6, v6, v32
	v_ldexp_f32 v16, v28, v29
	v_cndmask_b32_e64 v1, v1, v15, s11
	v_cvt_f32_f16_e32 v10, v10
	v_cndmask_b32_e32 v2, 0x7f800000, v2, vcc_lo
	v_cmp_ngt_f32_e32 vcc_lo, 0xc2ce8ed0, v3
	v_cvt_f32_f16_e32 v7, v8
	v_cmp_lt_f32_e64 s6, v1, v17
	v_lshrrev_b32_e32 v8, 16, v8
	v_add_f32_e32 v2, 1.0, v2
	v_cndmask_b32_e32 v6, 0, v6, vcc_lo
	v_cmp_nlt_f32_e32 vcc_lo, 0x42b17218, v34
	v_cndmask_b32_e64 v1, v1, v17, s6
	v_cvt_f32_f16_e32 v8, v8
	v_cndmask_b32_e32 v4, 0x7f800000, v4, vcc_lo
	v_cmp_ngt_f32_e32 vcc_lo, 0xc2ce8ed0, v5
	s_delay_alu instid0(VALU_DEP_4) | instskip(NEXT) | instid1(VALU_DEP_3)
	v_cmp_lt_f32_e64 s10, v1, v13
	v_add_f32_e32 v4, 1.0, v4
	v_cndmask_b32_e32 v16, 0, v16, vcc_lo
	s_delay_alu instid0(VALU_DEP_3) | instskip(SKIP_1) | instid1(VALU_DEP_4)
	v_cndmask_b32_e64 v1, v1, v13, s10
	v_cmp_nlt_f32_e32 vcc_lo, 0x42b17218, v3
	v_div_scale_f32 v18, null, v4, v4, 1.0
	s_delay_alu instid0(VALU_DEP_3) | instskip(SKIP_3) | instid1(VALU_DEP_4)
	v_cmp_lt_f32_e64 s13, v1, v14
	v_cndmask_b32_e32 v3, 0x7f800000, v6, vcc_lo
	v_cmp_nlt_f32_e32 vcc_lo, 0x42b17218, v5
	v_div_scale_f32 v6, null, v2, v2, 1.0
	v_cndmask_b32_e64 v1, v1, v14, s13
	s_delay_alu instid0(VALU_DEP_4) | instskip(SKIP_1) | instid1(VALU_DEP_4)
	v_add_f32_e32 v3, 1.0, v3
	v_cndmask_b32_e32 v5, 0x7f800000, v16, vcc_lo
	v_rcp_f32_e32 v29, v6
	v_rcp_f32_e32 v32, v18
	v_cmp_lt_f32_e64 s15, v1, v11
	v_div_scale_f32 v28, null, v3, v3, 1.0
	v_add_f32_e32 v5, 1.0, v5
	v_div_scale_f32 v16, vcc_lo, 1.0, v2, 1.0
	s_delay_alu instid0(VALU_DEP_4) | instskip(NEXT) | instid1(VALU_DEP_4)
	v_cndmask_b32_e64 v1, v1, v11, s15
	v_rcp_f32_e32 v34, v28
	s_delay_alu instid0(VALU_DEP_3) | instskip(NEXT) | instid1(TRANS32_DEP_3)
	v_div_scale_f32 v33, null, v5, v5, 1.0
	v_fma_f32 v38, -v6, v29, 1.0
	s_delay_alu instid0(VALU_DEP_3) | instskip(SKIP_1) | instid1(VALU_DEP_4)
	v_cmp_lt_f32_e64 s14, v1, v12
	v_fma_f32 v39, -v18, v32, 1.0
	v_rcp_f32_e32 v36, v33
	v_div_scale_f32 v35, s16, 1.0, v4, 1.0
	s_delay_alu instid0(VALU_DEP_3) | instskip(NEXT) | instid1(TRANS32_DEP_2)
	v_cndmask_b32_e64 v1, v1, v12, s14
	v_fma_f32 v40, -v28, v34, 1.0
	v_fmac_f32_e32 v29, v38, v29
	v_div_scale_f32 v37, s17, 1.0, v3, 1.0
	s_delay_alu instid0(VALU_DEP_4) | instskip(NEXT) | instid1(VALU_DEP_3)
	v_cmp_lt_f32_e64 s12, v1, v9
	v_dual_fmac_f32 v32, v39, v32 :: v_dual_mul_f32 v39, v16, v29
	s_delay_alu instid0(TRANS32_DEP_1) | instskip(SKIP_3) | instid1(VALU_DEP_4)
	v_fma_f32 v38, -v33, v36, 1.0
	v_fmac_f32_e32 v34, v40, v34
	v_div_scale_f32 v41, s18, 1.0, v5, 1.0
	v_cndmask_b32_e64 v1, v1, v9, s12
	v_fmac_f32_e32 v36, v38, v36
	v_mul_f32_e32 v40, v35, v32
	v_mul_f32_e32 v38, v37, v34
	v_fma_f32 v42, -v6, v39, v16
	v_cmp_lt_f32_e64 s9, v1, v10
	v_mul_f32_e32 v44, v41, v36
	v_fma_f32 v43, -v18, v40, v35
	v_fma_f32 v45, -v28, v38, v37
	v_fmac_f32_e32 v39, v42, v29
	v_cndmask_b32_e64 v1, v1, v10, s9
	v_fma_f32 v42, -v33, v44, v41
	v_fmac_f32_e32 v40, v43, v32
	v_fmac_f32_e32 v38, v45, v34
	v_fma_f32 v6, -v6, v39, v16
	v_cmp_lt_f32_e64 s8, v1, v7
	v_fmac_f32_e32 v44, v42, v36
	v_fma_f32 v16, -v18, v40, v35
	v_fma_f32 v18, -v28, v38, v37
	v_div_fmas_f32 v6, v6, v29, v39
	s_mov_b32 vcc_lo, s17
	v_cndmask_b32_e64 v1, v1, v7, s8
	v_fma_f32 v28, -v33, v44, v41
	v_div_fmas_f32 v18, v18, v34, v38
	s_mov_b32 vcc_lo, s16
	s_cselect_b32 s16, -1, 0
	v_div_fmas_f32 v29, v16, v32, v40
	s_mov_b32 vcc_lo, s18
	s_cmp_lt_i32 s20, 1
	v_div_fmas_f32 v28, v28, v36, v44
	v_cmp_lt_f32_e32 vcc_lo, v1, v8
	v_cndmask_b32_e32 v16, v1, v8, vcc_lo
	v_div_fixup_f32 v1, v6, v2, 1.0
	v_div_fixup_f32 v2, v18, v3, 1.0
	;; [unrolled: 1-line block ×4, first 2 shown]
	v_mov_b32_e32 v18, 0
	global_store_b128 v[30:31], v[1:4], off
	s_cbranch_scc1 .LBB153_8
; %bb.5:
	v_cndmask_b32_e64 v1, 0, 1, s2
	v_sub_f32_e32 v18, v16, v16
	v_mul_lo_u32 v2, v27, s26
	v_mul_lo_u32 v28, v27, s20
	s_delay_alu instid0(VALU_DEP_4) | instskip(NEXT) | instid1(VALU_DEP_4)
	v_cndmask_b32_e64 v1, v1, 2, s3
	v_mul_f32_e32 v3, 0x3fb8aa3b, v18
	s_delay_alu instid0(VALU_DEP_2) | instskip(NEXT) | instid1(VALU_DEP_2)
	v_cndmask_b32_e64 v1, v1, 3, s4
	v_rndne_f32_e32 v4, v3
	v_fma_f32 v5, 0x3fb8aa3b, v18, -v3
	s_delay_alu instid0(VALU_DEP_3) | instskip(NEXT) | instid1(VALU_DEP_3)
	v_cndmask_b32_e64 v1, v1, 4, s5
	v_sub_f32_e32 v3, v3, v4
	s_delay_alu instid0(VALU_DEP_3) | instskip(SKIP_1) | instid1(VALU_DEP_4)
	v_fmac_f32_e32 v5, 0x32a5705f, v18
	v_cvt_i32_f32_e32 v32, v4
	v_cndmask_b32_e64 v1, v1, 5, s7
	s_delay_alu instid0(VALU_DEP_3) | instskip(SKIP_1) | instid1(VALU_DEP_3)
	v_add_f32_e32 v30, v3, v5
	v_ashrrev_i32_e32 v3, 31, v2
	v_cndmask_b32_e64 v1, v1, 6, s11
	s_delay_alu instid0(VALU_DEP_3) | instskip(NEXT) | instid1(VALU_DEP_1)
	v_exp_f32_e32 v30, v30
	v_cndmask_b32_e64 v1, v1, 7, s6
	s_load_b128 s[4:7], s[0:1], 0x20
	s_delay_alu instid0(VALU_DEP_1) | instskip(SKIP_3) | instid1(VALU_DEP_1)
	v_cndmask_b32_e64 v1, v1, 8, s10
	s_waitcnt_depctr 0xfff
	v_ldexp_f32 v30, v30, v32
	v_cndmask_b32_e64 v1, v1, 9, s13
	v_cndmask_b32_e64 v6, v1, 10, s15
	v_ashrrev_i32_e32 v1, 31, v0
	s_delay_alu instid0(VALU_DEP_2) | instskip(NEXT) | instid1(VALU_DEP_2)
	v_cndmask_b32_e64 v29, v6, 11, s14
	v_lshlrev_b64 v[5:6], 2, v[0:1]
	v_lshlrev_b64 v[1:2], 2, v[2:3]
	s_delay_alu instid0(VALU_DEP_3) | instskip(SKIP_1) | instid1(VALU_DEP_4)
	v_cndmask_b32_e64 v31, v29, 12, s12
	v_ashrrev_i32_e32 v29, 31, v28
	v_add_co_u32 v5, s0, s24, v5
	s_delay_alu instid0(VALU_DEP_1) | instskip(NEXT) | instid1(VALU_DEP_4)
	v_add_co_ci_u32_e64 v6, s0, s25, v6, s0
	v_cndmask_b32_e64 v31, v31, 13, s9
	s_delay_alu instid0(VALU_DEP_4) | instskip(SKIP_2) | instid1(VALU_DEP_1)
	v_lshlrev_b64 v[3:4], 2, v[28:29]
	s_waitcnt lgkmcnt(0)
	v_add_co_u32 v28, s0, s4, v1
	v_add_co_ci_u32_e64 v29, s0, s5, v2, s0
	v_cndmask_b32_e64 v31, v31, 14, s8
	v_cmp_ngt_f32_e64 s0, 0xc2ce8ed0, v18
	s_delay_alu instid0(VALU_DEP_2) | instskip(NEXT) | instid1(VALU_DEP_2)
	v_cndmask_b32_e64 v33, v31, 15, vcc_lo
	v_cndmask_b32_e64 v32, 0, v30, s0
	v_add_co_u32 v30, vcc_lo, s6, v3
	v_add_co_ci_u32_e32 v31, vcc_lo, s7, v4, vcc_lo
	s_delay_alu instid0(VALU_DEP_4) | instskip(SKIP_2) | instid1(VALU_DEP_3)
	v_cmp_ne_u32_e64 s1, 15, v33
	v_cmp_nlt_f32_e32 vcc_lo, 0x42b17218, v18
	v_cmp_gt_i32_e64 s0, s22, v33
	v_cndmask_b32_e64 v8, 0xff800000, v8, s1
	v_cmp_ne_u32_e64 s1, 14, v33
	v_cndmask_b32_e32 v18, 0x7f800000, v32, vcc_lo
	v_cmp_le_i32_e32 vcc_lo, s21, v33
	v_subrev_nc_u32_e32 v32, s21, v33
	s_delay_alu instid0(VALU_DEP_4)
	v_cndmask_b32_e64 v7, 0xff800000, v7, s1
	v_cmp_ne_u32_e64 s1, 13, v33
	s_and_b32 s0, vcc_lo, s0
	v_cmp_ne_u32_e32 vcc_lo, 3, v33
	global_store_b32 v[5:6], v18, off
	v_cndmask_b32_e64 v10, 0xff800000, v10, s1
	v_cmp_ne_u32_e64 s1, 12, v33
	v_cndmask_b32_e32 v23, 0xff800000, v23, vcc_lo
	s_and_b32 vcc_lo, s28, s0
	s_cmp_eq_u32 s20, 1
	v_cndmask_b32_e32 v32, 16, v32, vcc_lo
	v_cndmask_b32_e64 v9, 0xff800000, v9, s1
	v_cmp_ne_u32_e64 s1, 11, v33
	v_cmp_ne_u32_e32 vcc_lo, 2, v33
	global_store_b32 v[28:29], v32, off
	global_store_b32 v[30:31], v27, off
	v_cndmask_b32_e64 v12, 0xff800000, v12, s1
	v_cmp_ne_u32_e64 s1, 10, v33
	v_cndmask_b32_e32 v21, 0xff800000, v21, vcc_lo
	v_cmp_ne_u32_e32 vcc_lo, 1, v33
	s_delay_alu instid0(VALU_DEP_3) | instskip(SKIP_3) | instid1(VALU_DEP_3)
	v_cndmask_b32_e64 v11, 0xff800000, v11, s1
	v_cmp_ne_u32_e64 s1, 9, v33
	v_cndmask_b32_e32 v24, 0xff800000, v24, vcc_lo
	v_cmp_ne_u32_e32 vcc_lo, 0, v33
	v_cndmask_b32_e64 v14, 0xff800000, v14, s1
	v_cmp_ne_u32_e64 s1, 8, v33
	v_cndmask_b32_e32 v22, 0xff800000, v22, vcc_lo
	s_delay_alu instid0(VALU_DEP_2) | instskip(SKIP_1) | instid1(VALU_DEP_1)
	v_cndmask_b32_e64 v13, 0xff800000, v13, s1
	v_cmp_ne_u32_e64 s1, 7, v33
	v_cndmask_b32_e64 v17, 0xff800000, v17, s1
	v_cmp_ne_u32_e64 s1, 6, v33
	s_delay_alu instid0(VALU_DEP_1) | instskip(SKIP_1) | instid1(VALU_DEP_1)
	v_cndmask_b32_e64 v15, 0xff800000, v15, s1
	v_cmp_ne_u32_e64 s1, 5, v33
	v_cndmask_b32_e64 v19, 0xff800000, v19, s1
	v_cmp_ne_u32_e64 s1, 4, v33
	s_delay_alu instid0(VALU_DEP_1)
	v_cndmask_b32_e64 v20, 0xff800000, v20, s1
	s_cbranch_scc1 .LBB153_8
; %bb.6:
	v_add_co_u32 v3, vcc_lo, v3, s6
	v_add_co_ci_u32_e32 v4, vcc_lo, s7, v4, vcc_lo
	v_add_co_u32 v27, vcc_lo, v1, s4
	v_add_co_ci_u32_e32 v28, vcc_lo, s5, v2, vcc_lo
	s_delay_alu instid0(VALU_DEP_4) | instskip(NEXT) | instid1(VALU_DEP_4)
	v_add_co_u32 v1, vcc_lo, v3, 4
	v_add_co_ci_u32_e32 v2, vcc_lo, 0, v4, vcc_lo
	s_delay_alu instid0(VALU_DEP_4) | instskip(NEXT) | instid1(VALU_DEP_4)
	v_add_co_u32 v3, vcc_lo, v27, 4
	v_add_co_ci_u32_e32 v4, vcc_lo, 0, v28, vcc_lo
	s_add_i32 s29, s29, s19
	v_add_co_u32 v5, vcc_lo, v5, 4
	v_add_co_ci_u32_e32 v6, vcc_lo, 0, v6, vcc_lo
	v_add3_u32 v25, s29, v26, v25
	s_add_i32 s2, s20, -1
.LBB153_7:                              ; =>This Inner Loop Header: Depth=1
	v_cmp_gt_f32_e32 vcc_lo, v24, v22
	s_add_i32 s2, s2, -1
	v_cndmask_b32_e32 v26, v22, v24, vcc_lo
	v_cndmask_b32_e64 v27, 0, 1, vcc_lo
	s_delay_alu instid0(VALU_DEP_2) | instskip(SKIP_1) | instid1(VALU_DEP_3)
	v_cmp_gt_f32_e32 vcc_lo, v21, v26
	v_cndmask_b32_e32 v26, v26, v21, vcc_lo
	v_cndmask_b32_e64 v27, v27, 2, vcc_lo
	s_delay_alu instid0(VALU_DEP_2) | instskip(SKIP_1) | instid1(VALU_DEP_3)
	v_cmp_gt_f32_e32 vcc_lo, v23, v26
	;; [unrolled: 4-line block ×13, first 2 shown]
	v_cndmask_b32_e32 v26, v26, v7, vcc_lo
	v_cndmask_b32_e64 v27, v27, 14, vcc_lo
	s_delay_alu instid0(VALU_DEP_2) | instskip(NEXT) | instid1(VALU_DEP_2)
	v_cmp_gt_f32_e32 vcc_lo, v8, v26
	v_cndmask_b32_e64 v27, v27, 15, vcc_lo
	v_cndmask_b32_e32 v26, v26, v8, vcc_lo
	s_delay_alu instid0(VALU_DEP_2) | instskip(NEXT) | instid1(VALU_DEP_2)
	v_cmp_ne_u32_e64 s1, 15, v27
	v_sub_f32_e32 v26, v26, v16
	v_cmp_le_i32_e32 vcc_lo, s21, v27
	v_cmp_gt_i32_e64 s0, s22, v27
	v_subrev_nc_u32_e32 v29, s21, v27
	v_cndmask_b32_e64 v8, 0xff800000, v8, s1
	v_cmp_ne_u32_e64 s1, 14, v27
	v_mul_f32_e32 v28, 0x3fb8aa3b, v26
	s_and_b32 s0, vcc_lo, s0
	s_delay_alu instid0(SALU_CYCLE_1) | instskip(NEXT) | instid1(VALU_DEP_2)
	s_and_b32 vcc_lo, s28, s0
	v_cndmask_b32_e64 v7, 0xff800000, v7, s1
	v_cmp_ne_u32_e64 s1, 13, v27
	v_rndne_f32_e32 v30, v28
	v_cndmask_b32_e32 v29, 16, v29, vcc_lo
	global_store_b32 v[3:4], v29, off
	global_store_b32 v[1:2], v25, off
	v_cndmask_b32_e64 v10, 0xff800000, v10, s1
	v_cmp_ne_u32_e64 s1, 12, v27
	v_add_co_u32 v1, vcc_lo, v1, 4
	v_add_co_ci_u32_e32 v2, vcc_lo, 0, v2, vcc_lo
	s_delay_alu instid0(VALU_DEP_3) | instskip(SKIP_3) | instid1(VALU_DEP_3)
	v_cndmask_b32_e64 v9, 0xff800000, v9, s1
	v_cmp_ne_u32_e64 s1, 11, v27
	v_add_co_u32 v3, vcc_lo, v3, 4
	v_add_co_ci_u32_e32 v4, vcc_lo, 0, v4, vcc_lo
	v_cndmask_b32_e64 v12, 0xff800000, v12, s1
	v_cmp_ne_u32_e64 s1, 10, v27
	v_cmp_ngt_f32_e32 vcc_lo, 0xc2ce8ed0, v26
	v_add_nc_u32_e32 v25, s19, v25
	s_cmp_eq_u32 s2, 0
	s_delay_alu instid0(VALU_DEP_3) | instskip(SKIP_1) | instid1(VALU_DEP_1)
	v_cndmask_b32_e64 v11, 0xff800000, v11, s1
	v_cmp_ne_u32_e64 s1, 9, v27
	v_cndmask_b32_e64 v14, 0xff800000, v14, s1
	v_cmp_ne_u32_e64 s1, 8, v27
	s_delay_alu instid0(VALU_DEP_1) | instskip(SKIP_1) | instid1(VALU_DEP_1)
	v_cndmask_b32_e64 v13, 0xff800000, v13, s1
	v_cmp_ne_u32_e64 s1, 7, v27
	v_cndmask_b32_e64 v17, 0xff800000, v17, s1
	v_cmp_ne_u32_e64 s1, 6, v27
	s_delay_alu instid0(VALU_DEP_1) | instskip(SKIP_1) | instid1(VALU_DEP_1)
	;; [unrolled: 5-line block ×4, first 2 shown]
	v_cndmask_b32_e64 v21, 0xff800000, v21, s1
	v_cmp_ne_u32_e64 s1, 1, v27
	v_cndmask_b32_e64 v24, 0xff800000, v24, s1
	v_cmp_ne_u32_e64 s1, 0, v27
	v_fma_f32 v27, 0x3fb8aa3b, v26, -v28
	v_sub_f32_e32 v28, v28, v30
	v_cvt_i32_f32_e32 v30, v30
	s_delay_alu instid0(VALU_DEP_4) | instskip(NEXT) | instid1(VALU_DEP_4)
	v_cndmask_b32_e64 v22, 0xff800000, v22, s1
	v_fmac_f32_e32 v27, 0x32a5705f, v26
	s_delay_alu instid0(VALU_DEP_1) | instskip(NEXT) | instid1(VALU_DEP_1)
	v_add_f32_e32 v27, v28, v27
	v_exp_f32_e32 v27, v27
	s_waitcnt_depctr 0xfff
	v_ldexp_f32 v27, v27, v30
	s_delay_alu instid0(VALU_DEP_1) | instskip(SKIP_1) | instid1(VALU_DEP_2)
	v_cndmask_b32_e32 v27, 0, v27, vcc_lo
	v_cmp_nlt_f32_e32 vcc_lo, 0x42b17218, v26
	v_cndmask_b32_e32 v26, 0x7f800000, v27, vcc_lo
	global_store_b32 v[5:6], v26, off
	v_add_co_u32 v5, vcc_lo, v5, 4
	v_add_f32_e32 v18, v18, v26
	v_add_co_ci_u32_e32 v6, vcc_lo, 0, v6, vcc_lo
	s_cbranch_scc0 .LBB153_7
.LBB153_8:
	v_sub_f32_e32 v6, v23, v16
	v_sub_f32_e32 v1, v22, v16
	;; [unrolled: 1-line block ×4, first 2 shown]
	s_delay_alu instid0(VALU_DEP_4) | instskip(NEXT) | instid1(VALU_DEP_4)
	v_dual_sub_f32 v19, v19, v16 :: v_dual_mul_f32 v26, 0x3fb8aa3b, v6
	v_dual_sub_f32 v2, v24, v16 :: v_dual_mul_f32 v3, 0x3fb8aa3b, v1
	v_sub_f32_e32 v4, v21, v16
	v_cmp_ngt_f32_e32 vcc_lo, 0xc2ce8ed0, v1
	s_delay_alu instid0(VALU_DEP_4) | instskip(NEXT) | instid1(VALU_DEP_4)
	v_rndne_f32_e32 v29, v26
	v_mul_f32_e32 v5, 0x3fb8aa3b, v2
	v_fma_f32 v21, 0x3fb8aa3b, v1, -v3
	v_rndne_f32_e32 v22, v3
	v_sub_f32_e32 v20, v20, v16
	v_mul_f32_e32 v25, 0x3fb8aa3b, v4
	v_fma_f32 v23, 0x3fb8aa3b, v2, -v5
	v_fmac_f32_e32 v21, 0x32a5705f, v1
	v_sub_f32_e32 v3, v3, v22
	v_rndne_f32_e32 v24, v5
	v_fma_f32 v28, 0x3fb8aa3b, v6, -v26
	v_cvt_i32_f32_e32 v22, v22
	v_sub_f32_e32 v11, v11, v16
	v_add_f32_e32 v3, v3, v21
	s_delay_alu instid0(VALU_DEP_4) | instskip(SKIP_2) | instid1(VALU_DEP_4)
	v_dual_sub_f32 v5, v5, v24 :: v_dual_fmac_f32 v28, 0x32a5705f, v6
	v_cvt_i32_f32_e32 v24, v24
	v_sub_f32_e32 v7, v7, v16
	v_exp_f32_e32 v3, v3
	v_sub_f32_e32 v12, v12, v16
	v_sub_f32_e32 v8, v8, v16
	s_waitcnt_depctr 0xfff
	v_ldexp_f32 v3, v3, v22
	v_dual_sub_f32 v22, v26, v29 :: v_dual_fmac_f32 v23, 0x32a5705f, v2
	v_fma_f32 v21, 0x3fb8aa3b, v4, -v25
	s_delay_alu instid0(VALU_DEP_2) | instskip(NEXT) | instid1(VALU_DEP_3)
	v_dual_cndmask_b32 v3, 0, v3 :: v_dual_add_f32 v22, v22, v28
	v_add_f32_e32 v5, v5, v23
	v_cmp_ngt_f32_e32 vcc_lo, 0xc2ce8ed0, v2
	v_rndne_f32_e32 v23, v25
	v_fmac_f32_e32 v21, 0x32a5705f, v4
	v_exp_f32_e32 v22, v22
	v_exp_f32_e32 v5, v5
	s_waitcnt_depctr 0xfff
	v_ldexp_f32 v5, v5, v24
	s_delay_alu instid0(VALU_DEP_1)
	v_cndmask_b32_e32 v5, 0, v5, vcc_lo
	v_cmp_nlt_f32_e32 vcc_lo, 0x42b17218, v1
	v_cndmask_b32_e32 v1, 0x7f800000, v3, vcc_lo
	v_cmp_nlt_f32_e32 vcc_lo, 0x42b17218, v2
	v_sub_f32_e32 v25, v25, v23
	v_cvt_i32_f32_e32 v23, v23
	v_cndmask_b32_e32 v2, 0x7f800000, v5, vcc_lo
	s_delay_alu instid0(VALU_DEP_3) | instskip(SKIP_1) | instid1(VALU_DEP_3)
	v_add_f32_e32 v21, v25, v21
	v_cmp_ngt_f32_e32 vcc_lo, 0xc2ce8ed0, v4
	v_add_f32_e32 v1, v1, v2
	s_delay_alu instid0(VALU_DEP_3) | instskip(SKIP_2) | instid1(VALU_DEP_1)
	v_exp_f32_e32 v21, v21
	s_waitcnt_depctr 0xfff
	v_ldexp_f32 v5, v21, v23
	v_dual_mul_f32 v27, 0x3fb8aa3b, v20 :: v_dual_cndmask_b32 v2, 0, v5
	s_delay_alu instid0(VALU_DEP_1) | instskip(SKIP_3) | instid1(VALU_DEP_4)
	v_fma_f32 v3, 0x3fb8aa3b, v20, -v27
	v_rndne_f32_e32 v21, v27
	v_cvt_i32_f32_e32 v5, v29
	v_cmp_nlt_f32_e32 vcc_lo, 0x42b17218, v4
	v_fmac_f32_e32 v3, 0x32a5705f, v20
	s_delay_alu instid0(VALU_DEP_4) | instskip(NEXT) | instid1(VALU_DEP_4)
	v_sub_f32_e32 v23, v27, v21
	v_ldexp_f32 v4, v22, v5
	v_cndmask_b32_e32 v2, 0x7f800000, v2, vcc_lo
	v_mul_f32_e32 v5, 0x3fb8aa3b, v19
	v_cmp_ngt_f32_e32 vcc_lo, 0xc2ce8ed0, v6
	v_add_f32_e32 v3, v23, v3
	s_delay_alu instid0(VALU_DEP_4) | instskip(NEXT) | instid1(VALU_DEP_4)
	v_add_f32_e32 v1, v1, v2
	v_rndne_f32_e32 v22, v5
	v_cndmask_b32_e32 v2, 0, v4, vcc_lo
	s_delay_alu instid0(VALU_DEP_4)
	v_exp_f32_e32 v3, v3
	v_fma_f32 v4, 0x3fb8aa3b, v19, -v5
	v_cmp_nlt_f32_e32 vcc_lo, 0x42b17218, v6
	v_cvt_i32_f32_e32 v6, v21
	v_sub_f32_e32 v5, v5, v22
	v_mul_f32_e32 v21, 0x3fb8aa3b, v15
	v_fmac_f32_e32 v4, 0x32a5705f, v19
	v_cndmask_b32_e32 v2, 0x7f800000, v2, vcc_lo
	v_cmp_ngt_f32_e32 vcc_lo, 0xc2ce8ed0, v20
	s_delay_alu instid0(VALU_DEP_2) | instskip(SKIP_4) | instid1(VALU_DEP_4)
	v_add_f32_e32 v1, v1, v2
	v_ldexp_f32 v2, v3, v6
	v_add_f32_e32 v3, v5, v4
	v_fma_f32 v4, 0x3fb8aa3b, v15, -v21
	v_rndne_f32_e32 v5, v21
	v_cndmask_b32_e32 v2, 0, v2, vcc_lo
	s_delay_alu instid0(VALU_DEP_4) | instskip(NEXT) | instid1(VALU_DEP_3)
	v_exp_f32_e32 v3, v3
	v_fmac_f32_e32 v4, 0x32a5705f, v15
	s_delay_alu instid0(VALU_DEP_3) | instskip(SKIP_3) | instid1(VALU_DEP_4)
	v_sub_f32_e32 v6, v21, v5
	v_cmp_nlt_f32_e32 vcc_lo, 0x42b17218, v20
	v_cvt_i32_f32_e32 v20, v22
	v_cvt_i32_f32_e32 v5, v5
	v_add_f32_e32 v4, v6, v4
	v_cndmask_b32_e32 v2, 0x7f800000, v2, vcc_lo
	v_mul_f32_e32 v6, 0x3fb8aa3b, v17
	v_cmp_ngt_f32_e32 vcc_lo, 0xc2ce8ed0, v19
	s_delay_alu instid0(VALU_DEP_3) | instskip(SKIP_4) | instid1(VALU_DEP_3)
	v_add_f32_e32 v1, v1, v2
	v_ldexp_f32 v2, v3, v20
	v_exp_f32_e32 v3, v4
	v_fma_f32 v4, 0x3fb8aa3b, v17, -v6
	v_rndne_f32_e32 v20, v6
	v_cndmask_b32_e32 v2, 0, v2, vcc_lo
	v_cmp_nlt_f32_e32 vcc_lo, 0x42b17218, v19
	s_delay_alu instid0(VALU_DEP_4) | instskip(NEXT) | instid1(VALU_DEP_4)
	v_fmac_f32_e32 v4, 0x32a5705f, v17
	v_sub_f32_e32 v6, v6, v20
	s_delay_alu instid0(VALU_DEP_4) | instskip(NEXT) | instid1(TRANS32_DEP_1)
	v_cndmask_b32_e32 v2, 0x7f800000, v2, vcc_lo
	v_ldexp_f32 v3, v3, v5
	s_delay_alu instid0(VALU_DEP_3)
	v_add_f32_e32 v4, v6, v4
	v_sub_f32_e32 v5, v13, v16
	v_cmp_ngt_f32_e32 vcc_lo, 0xc2ce8ed0, v15
	v_dual_add_f32 v1, v1, v2 :: v_dual_sub_f32 v6, v14, v16
	v_cvt_i32_f32_e32 v13, v20
	v_mul_f32_e32 v20, 0x3fb8aa3b, v12
	v_cndmask_b32_e32 v2, 0, v3, vcc_lo
	v_exp_f32_e32 v3, v4
	v_mul_f32_e32 v4, 0x3fb8aa3b, v5
	v_cmp_nlt_f32_e32 vcc_lo, 0x42b17218, v15
	v_mul_f32_e32 v19, 0x3fb8aa3b, v6
	s_delay_alu instid0(VALU_DEP_3) | instskip(SKIP_2) | instid1(VALU_DEP_2)
	v_fma_f32 v14, 0x3fb8aa3b, v5, -v4
	v_cndmask_b32_e32 v2, 0x7f800000, v2, vcc_lo
	v_rndne_f32_e32 v15, v4
	v_dual_fmac_f32 v14, 0x32a5705f, v5 :: v_dual_add_f32 v1, v1, v2
	s_delay_alu instid0(TRANS32_DEP_1) | instskip(NEXT) | instid1(VALU_DEP_3)
	v_ldexp_f32 v2, v3, v13
	v_sub_f32_e32 v3, v4, v15
	v_fma_f32 v4, 0x3fb8aa3b, v6, -v19
	v_cmp_ngt_f32_e32 vcc_lo, 0xc2ce8ed0, v17
	v_rndne_f32_e32 v13, v19
	v_cvt_i32_f32_e32 v15, v15
	s_delay_alu instid0(VALU_DEP_4) | instskip(SKIP_4) | instid1(VALU_DEP_3)
	v_fmac_f32_e32 v4, 0x32a5705f, v6
	v_cndmask_b32_e32 v2, 0, v2, vcc_lo
	v_add_f32_e32 v3, v3, v14
	v_cmp_nlt_f32_e32 vcc_lo, 0x42b17218, v17
	v_sub_f32_e32 v14, v19, v13
	v_exp_f32_e32 v3, v3
	v_cndmask_b32_e32 v2, 0x7f800000, v2, vcc_lo
	v_cmp_ngt_f32_e32 vcc_lo, 0xc2ce8ed0, v5
	s_delay_alu instid0(VALU_DEP_3) | instskip(NEXT) | instid1(VALU_DEP_1)
	v_dual_mul_f32 v19, 0x3fb8aa3b, v11 :: v_dual_add_f32 v4, v14, v4
	v_fma_f32 v14, 0x3fb8aa3b, v11, -v19
	s_delay_alu instid0(VALU_DEP_2) | instskip(NEXT) | instid1(VALU_DEP_1)
	v_exp_f32_e32 v4, v4
	v_dual_fmac_f32 v14, 0x32a5705f, v11 :: v_dual_add_f32 v1, v1, v2
	s_delay_alu instid0(TRANS32_DEP_2) | instskip(SKIP_2) | instid1(VALU_DEP_3)
	v_ldexp_f32 v2, v3, v15
	v_cvt_i32_f32_e32 v3, v13
	v_rndne_f32_e32 v15, v20
	v_cndmask_b32_e32 v2, 0, v2, vcc_lo
	v_rndne_f32_e32 v17, v19
	s_delay_alu instid0(TRANS32_DEP_1) | instid1(VALU_DEP_4)
	v_ldexp_f32 v3, v4, v3
	v_cmp_nlt_f32_e32 vcc_lo, 0x42b17218, v5
	s_delay_alu instid0(VALU_DEP_3) | instskip(SKIP_3) | instid1(VALU_DEP_4)
	v_sub_f32_e32 v19, v19, v17
	v_cvt_i32_f32_e32 v5, v17
	v_cndmask_b32_e32 v2, 0x7f800000, v2, vcc_lo
	v_cmp_ngt_f32_e32 vcc_lo, 0xc2ce8ed0, v6
	v_add_f32_e32 v13, v19, v14
	v_fma_f32 v14, 0x3fb8aa3b, v12, -v20
	s_delay_alu instid0(VALU_DEP_4) | instskip(NEXT) | instid1(VALU_DEP_3)
	v_add_f32_e32 v1, v1, v2
	v_exp_f32_e32 v4, v13
	s_delay_alu instid0(VALU_DEP_2) | instskip(SKIP_4) | instid1(VALU_DEP_2)
	v_dual_sub_f32 v13, v20, v15 :: v_dual_fmac_f32 v14, 0x32a5705f, v12
	s_waitcnt_depctr 0xfff
	v_ldexp_f32 v2, v4, v5
	v_cndmask_b32_e32 v3, 0, v3, vcc_lo
	v_cmp_nlt_f32_e32 vcc_lo, 0x42b17218, v6
	v_cndmask_b32_e32 v3, 0x7f800000, v3, vcc_lo
	v_cmp_ngt_f32_e32 vcc_lo, 0xc2ce8ed0, v11
	v_cndmask_b32_e32 v2, 0, v2, vcc_lo
	v_cmp_nlt_f32_e32 vcc_lo, 0x42b17218, v11
	v_sub_f32_e32 v5, v9, v16
	s_delay_alu instid0(VALU_DEP_3) | instskip(NEXT) | instid1(VALU_DEP_2)
	v_dual_sub_f32 v9, v10, v16 :: v_dual_cndmask_b32 v2, 0x7f800000, v2
	v_dual_mul_f32 v6, 0x3fb8aa3b, v5 :: v_dual_add_f32 v13, v13, v14
	s_delay_alu instid0(VALU_DEP_2) | instskip(SKIP_2) | instid1(VALU_DEP_4)
	v_dual_mul_f32 v10, 0x3fb8aa3b, v9 :: v_dual_add_f32 v1, v1, v3
	v_cvt_i32_f32_e32 v3, v15
	v_cmp_ngt_f32_e32 vcc_lo, 0xc2ce8ed0, v12
	v_exp_f32_e32 v4, v13
	s_delay_alu instid0(VALU_DEP_3) | instskip(SKIP_1) | instid1(VALU_DEP_2)
	v_dual_mul_f32 v14, 0x3fb8aa3b, v8 :: v_dual_add_f32 v1, v1, v2
	v_fma_f32 v2, 0x3fb8aa3b, v5, -v6
	v_rndne_f32_e32 v15, v14
	s_delay_alu instid0(VALU_DEP_2) | instskip(SKIP_3) | instid1(VALU_DEP_1)
	v_fmac_f32_e32 v2, 0x32a5705f, v5
	s_waitcnt_depctr 0xfff
	v_ldexp_f32 v3, v4, v3
	v_rndne_f32_e32 v4, v6
	v_sub_f32_e32 v6, v6, v4
	v_cvt_i32_f32_e32 v4, v4
	s_delay_alu instid0(VALU_DEP_2) | instskip(SKIP_3) | instid1(VALU_DEP_4)
	v_add_f32_e32 v2, v6, v2
	v_rndne_f32_e32 v6, v10
	v_cndmask_b32_e32 v3, 0, v3, vcc_lo
	v_cmp_nlt_f32_e32 vcc_lo, 0x42b17218, v12
	v_exp_f32_e32 v2, v2
	s_waitcnt_depctr 0xfff
	v_ldexp_f32 v2, v2, v4
	v_mul_f32_e32 v11, 0x3fb8aa3b, v7
	s_delay_alu instid0(VALU_DEP_1)
	v_rndne_f32_e32 v13, v11
	v_cndmask_b32_e32 v3, 0x7f800000, v3, vcc_lo
	v_cmp_ngt_f32_e32 vcc_lo, 0xc2ce8ed0, v5
	v_cndmask_b32_e32 v2, 0, v2, vcc_lo
	v_fma_f32 v12, 0x3fb8aa3b, v7, -v11
	v_cmp_nlt_f32_e32 vcc_lo, 0x42b17218, v5
	v_cvt_i32_f32_e32 v5, v13
	s_delay_alu instid0(VALU_DEP_3)
	v_fmac_f32_e32 v12, 0x32a5705f, v7
	v_add_f32_e32 v1, v1, v3
	v_fma_f32 v3, 0x3fb8aa3b, v9, -v10
	v_sub_f32_e32 v10, v10, v6
	v_cndmask_b32_e32 v2, 0x7f800000, v2, vcc_lo
	v_cvt_i32_f32_e32 v6, v6
	v_cmp_ngt_f32_e32 vcc_lo, 0xc2ce8ed0, v9
	v_fmac_f32_e32 v3, 0x32a5705f, v9
	s_delay_alu instid0(VALU_DEP_1) | instskip(SKIP_1) | instid1(VALU_DEP_2)
	v_dual_add_f32 v3, v10, v3 :: v_dual_sub_f32 v10, v11, v13
	v_fma_f32 v11, 0x3fb8aa3b, v8, -v14
	v_exp_f32_e32 v3, v3
	s_delay_alu instid0(VALU_DEP_2) | instskip(SKIP_1) | instid1(VALU_DEP_2)
	v_add_f32_e32 v4, v10, v12
	v_dual_sub_f32 v10, v14, v15 :: v_dual_add_f32 v1, v1, v2
	v_exp_f32_e32 v4, v4
	s_waitcnt_depctr 0xfff
	v_ldexp_f32 v3, v3, v6
	s_delay_alu instid0(VALU_DEP_1) | instskip(SKIP_3) | instid1(VALU_DEP_4)
	v_cndmask_b32_e32 v3, 0, v3, vcc_lo
	v_cmp_nlt_f32_e32 vcc_lo, 0x42b17218, v9
	v_ldexp_f32 v2, v4, v5
	v_cvt_i32_f32_e32 v4, v15
	v_cndmask_b32_e32 v3, 0x7f800000, v3, vcc_lo
	v_cmp_ngt_f32_e32 vcc_lo, 0xc2ce8ed0, v7
	s_delay_alu instid0(VALU_DEP_4) | instskip(NEXT) | instid1(VALU_DEP_1)
	v_dual_fmac_f32 v11, 0x32a5705f, v8 :: v_dual_cndmask_b32 v2, 0, v2
	v_add_f32_e32 v10, v10, v11
	v_cmp_nlt_f32_e32 vcc_lo, 0x42b17218, v7
	v_add_f32_e32 v1, v1, v3
	s_delay_alu instid0(VALU_DEP_3) | instskip(SKIP_2) | instid1(VALU_DEP_2)
	v_exp_f32_e32 v6, v10
	v_cndmask_b32_e32 v2, 0x7f800000, v2, vcc_lo
	v_cmp_ngt_f32_e32 vcc_lo, 0xc2ce8ed0, v8
	v_add_f32_e32 v1, v1, v2
	s_waitcnt_depctr 0xfff
	v_ldexp_f32 v4, v6, v4
	s_delay_alu instid0(VALU_DEP_1) | instskip(SKIP_1) | instid1(VALU_DEP_2)
	v_cndmask_b32_e32 v3, 0, v4, vcc_lo
	v_cmp_nlt_f32_e32 vcc_lo, 0x42b17218, v8
	v_cndmask_b32_e32 v2, 0x7f800000, v3, vcc_lo
	s_delay_alu instid0(VALU_DEP_1) | instskip(NEXT) | instid1(VALU_DEP_1)
	v_add_f32_e32 v1, v1, v2
	v_add_f32_e32 v2, v18, v1
	s_delay_alu instid0(VALU_DEP_1)
	v_cmp_neq_f32_e32 vcc_lo, 0, v2
	s_and_b32 exec_lo, exec_lo, vcc_lo
	s_cbranch_execz .LBB153_12
; %bb.9:
	s_and_not1_b32 vcc_lo, exec_lo, s16
	s_cbranch_vccnz .LBB153_12
; %bb.10:
	v_div_scale_f32 v1, null, v2, v2, 1.0
	v_div_scale_f32 v5, vcc_lo, 1.0, v2, 1.0
	s_delay_alu instid0(VALU_DEP_2) | instskip(SKIP_2) | instid1(VALU_DEP_1)
	v_rcp_f32_e32 v3, v1
	s_waitcnt_depctr 0xfff
	v_fma_f32 v4, -v1, v3, 1.0
	v_fmac_f32_e32 v3, v4, v3
	s_delay_alu instid0(VALU_DEP_1) | instskip(NEXT) | instid1(VALU_DEP_1)
	v_mul_f32_e32 v4, v5, v3
	v_fma_f32 v6, -v1, v4, v5
	s_delay_alu instid0(VALU_DEP_1) | instskip(NEXT) | instid1(VALU_DEP_1)
	v_fmac_f32_e32 v4, v6, v3
	v_fma_f32 v5, -v1, v4, v5
	v_ashrrev_i32_e32 v1, 31, v0
	s_delay_alu instid0(VALU_DEP_2) | instskip(NEXT) | instid1(VALU_DEP_2)
	v_div_fmas_f32 v3, v5, v3, v4
	v_lshlrev_b64 v[0:1], 2, v[0:1]
	s_delay_alu instid0(VALU_DEP_2) | instskip(NEXT) | instid1(VALU_DEP_2)
	v_div_fixup_f32 v2, v3, v2, 1.0
	v_add_co_u32 v0, vcc_lo, s24, v0
	s_delay_alu instid0(VALU_DEP_3)
	v_add_co_ci_u32_e32 v1, vcc_lo, s25, v1, vcc_lo
.LBB153_11:                             ; =>This Inner Loop Header: Depth=1
	global_load_b32 v3, v[0:1], off
	s_add_i32 s20, s20, -1
	s_delay_alu instid0(SALU_CYCLE_1)
	s_cmp_lg_u32 s20, 0
	s_waitcnt vmcnt(0)
	v_mul_f32_e32 v3, v2, v3
	global_store_b32 v[0:1], v3, off
	v_add_co_u32 v0, vcc_lo, v0, 4
	v_add_co_ci_u32_e32 v1, vcc_lo, 0, v1, vcc_lo
	s_cbranch_scc1 .LBB153_11
.LBB153_12:
	s_nop 0
	s_sendmsg sendmsg(MSG_DEALLOC_VGPRS)
	s_endpgm
	.section	.rodata,"a",@progbits
	.p2align	6, 0x0
	.amdhsa_kernel _ZN4vllm3moe17topkGatingSoftmaxIDF16_Li16ELi16ELi8ELi32ELb0ELi4ELNS0_23SharedExpertScoringFuncE1EEEvPKT_PKbPfiPiS9_iiiiii
		.amdhsa_group_segment_fixed_size 0
		.amdhsa_private_segment_fixed_size 0
		.amdhsa_kernarg_size 72
		.amdhsa_user_sgpr_count 15
		.amdhsa_user_sgpr_dispatch_ptr 0
		.amdhsa_user_sgpr_queue_ptr 0
		.amdhsa_user_sgpr_kernarg_segment_ptr 1
		.amdhsa_user_sgpr_dispatch_id 0
		.amdhsa_user_sgpr_private_segment_size 0
		.amdhsa_wavefront_size32 1
		.amdhsa_uses_dynamic_stack 0
		.amdhsa_enable_private_segment 0
		.amdhsa_system_sgpr_workgroup_id_x 1
		.amdhsa_system_sgpr_workgroup_id_y 0
		.amdhsa_system_sgpr_workgroup_id_z 0
		.amdhsa_system_sgpr_workgroup_info 0
		.amdhsa_system_vgpr_workitem_id 1
		.amdhsa_next_free_vgpr 46
		.amdhsa_next_free_sgpr 30
		.amdhsa_reserve_vcc 1
		.amdhsa_float_round_mode_32 0
		.amdhsa_float_round_mode_16_64 0
		.amdhsa_float_denorm_mode_32 3
		.amdhsa_float_denorm_mode_16_64 3
		.amdhsa_dx10_clamp 1
		.amdhsa_ieee_mode 1
		.amdhsa_fp16_overflow 0
		.amdhsa_workgroup_processor_mode 1
		.amdhsa_memory_ordered 1
		.amdhsa_forward_progress 0
		.amdhsa_shared_vgpr_count 0
		.amdhsa_exception_fp_ieee_invalid_op 0
		.amdhsa_exception_fp_denorm_src 0
		.amdhsa_exception_fp_ieee_div_zero 0
		.amdhsa_exception_fp_ieee_overflow 0
		.amdhsa_exception_fp_ieee_underflow 0
		.amdhsa_exception_fp_ieee_inexact 0
		.amdhsa_exception_int_div_zero 0
	.end_amdhsa_kernel
	.section	.text._ZN4vllm3moe17topkGatingSoftmaxIDF16_Li16ELi16ELi8ELi32ELb0ELi4ELNS0_23SharedExpertScoringFuncE1EEEvPKT_PKbPfiPiS9_iiiiii,"axG",@progbits,_ZN4vllm3moe17topkGatingSoftmaxIDF16_Li16ELi16ELi8ELi32ELb0ELi4ELNS0_23SharedExpertScoringFuncE1EEEvPKT_PKbPfiPiS9_iiiiii,comdat
.Lfunc_end153:
	.size	_ZN4vllm3moe17topkGatingSoftmaxIDF16_Li16ELi16ELi8ELi32ELb0ELi4ELNS0_23SharedExpertScoringFuncE1EEEvPKT_PKbPfiPiS9_iiiiii, .Lfunc_end153-_ZN4vllm3moe17topkGatingSoftmaxIDF16_Li16ELi16ELi8ELi32ELb0ELi4ELNS0_23SharedExpertScoringFuncE1EEEvPKT_PKbPfiPiS9_iiiiii
                                        ; -- End function
	.section	.AMDGPU.csdata,"",@progbits
; Kernel info:
; codeLenInByte = 4964
; NumSgprs: 32
; NumVgprs: 46
; ScratchSize: 0
; MemoryBound: 0
; FloatMode: 240
; IeeeMode: 1
; LDSByteSize: 0 bytes/workgroup (compile time only)
; SGPRBlocks: 3
; VGPRBlocks: 5
; NumSGPRsForWavesPerEU: 32
; NumVGPRsForWavesPerEU: 46
; Occupancy: 16
; WaveLimiterHint : 0
; COMPUTE_PGM_RSRC2:SCRATCH_EN: 0
; COMPUTE_PGM_RSRC2:USER_SGPR: 15
; COMPUTE_PGM_RSRC2:TRAP_HANDLER: 0
; COMPUTE_PGM_RSRC2:TGID_X_EN: 1
; COMPUTE_PGM_RSRC2:TGID_Y_EN: 0
; COMPUTE_PGM_RSRC2:TGID_Z_EN: 0
; COMPUTE_PGM_RSRC2:TIDIG_COMP_CNT: 1
	.section	.text._ZN4vllm3moe17topkGatingSoftmaxIDF16_Li16ELi16ELi8ELi32ELb1ELi8ELNS0_23SharedExpertScoringFuncE1EEEvPKT_PKbPfiPiS9_iiiiii,"axG",@progbits,_ZN4vllm3moe17topkGatingSoftmaxIDF16_Li16ELi16ELi8ELi32ELb1ELi8ELNS0_23SharedExpertScoringFuncE1EEEvPKT_PKbPfiPiS9_iiiiii,comdat
	.protected	_ZN4vllm3moe17topkGatingSoftmaxIDF16_Li16ELi16ELi8ELi32ELb1ELi8ELNS0_23SharedExpertScoringFuncE1EEEvPKT_PKbPfiPiS9_iiiiii ; -- Begin function _ZN4vllm3moe17topkGatingSoftmaxIDF16_Li16ELi16ELi8ELi32ELb1ELi8ELNS0_23SharedExpertScoringFuncE1EEEvPKT_PKbPfiPiS9_iiiiii
	.globl	_ZN4vllm3moe17topkGatingSoftmaxIDF16_Li16ELi16ELi8ELi32ELb1ELi8ELNS0_23SharedExpertScoringFuncE1EEEvPKT_PKbPfiPiS9_iiiiii
	.p2align	8
	.type	_ZN4vllm3moe17topkGatingSoftmaxIDF16_Li16ELi16ELi8ELi32ELb1ELi8ELNS0_23SharedExpertScoringFuncE1EEEvPKT_PKbPfiPiS9_iiiiii,@function
_ZN4vllm3moe17topkGatingSoftmaxIDF16_Li16ELi16ELi8ELi32ELb1ELi8ELNS0_23SharedExpertScoringFuncE1EEEvPKT_PKbPfiPiS9_iiiiii: ; @_ZN4vllm3moe17topkGatingSoftmaxIDF16_Li16ELi16ELi8ELi32ELb1ELi8ELNS0_23SharedExpertScoringFuncE1EEEvPKT_PKbPfiPiS9_iiiiii
; %bb.0:
	s_load_b32 s9, s[0:1], 0x18
	v_bfe_u32 v1, v0, 10, 10
	v_and_b32_e32 v11, 0x3ff, v0
	s_lshl_b32 s19, s15, 8
	s_mov_b32 s2, exec_lo
	s_delay_alu instid0(VALU_DEP_2) | instskip(NEXT) | instid1(VALU_DEP_1)
	v_lshlrev_b32_e32 v10, 5, v1
	v_add3_u32 v12, v10, v11, s19
	s_waitcnt lgkmcnt(0)
	s_delay_alu instid0(VALU_DEP_1)
	v_cmpx_gt_i32_e64 s9, v12
	s_cbranch_execz .LBB154_12
; %bb.1:
	s_clause 0x1
	s_load_b128 s[4:7], s[0:1], 0x0
	s_load_b64 s[10:11], s[0:1], 0x10
	s_waitcnt lgkmcnt(0)
	s_cmp_eq_u64 s[6:7], 0
	s_cbranch_scc1 .LBB154_3
; %bb.2:
	v_ashrrev_i32_e32 v1, 31, v12
	v_add_co_u32 v0, vcc_lo, s6, v12
	s_delay_alu instid0(VALU_DEP_2) | instskip(SKIP_3) | instid1(VALU_DEP_1)
	v_add_co_ci_u32_e32 v1, vcc_lo, s7, v1, vcc_lo
	global_load_u8 v0, v[0:1], off
	s_waitcnt vmcnt(0)
	v_and_b32_e32 v0, 1, v0
	v_cmp_eq_u32_e32 vcc_lo, 1, v0
	s_xor_b32 s2, vcc_lo, -1
	s_delay_alu instid0(SALU_CYCLE_1)
	s_or_not1_b32 s18, s2, exec_lo
	s_branch .LBB154_4
.LBB154_3:
	s_mov_b32 s18, -1
.LBB154_4:
	s_clause 0x1
	s_load_b64 s[16:17], s[0:1], 0x40
	s_load_b128 s[12:15], s[0:1], 0x30
	s_mov_b32 s3, 0x3fb8aa3b
	s_mov_b32 s2, 0x32a5705f
	s_waitcnt lgkmcnt(0)
	v_mul_lo_u32 v0, v12, s17
	v_mul_lo_u32 v8, v12, s15
	s_cmp_gt_i32 s12, 0
	s_delay_alu instid0(VALU_DEP_2) | instskip(NEXT) | instid1(VALU_DEP_1)
	v_ashrrev_i32_e32 v1, 31, v0
	v_lshlrev_b64 v[0:1], 1, v[0:1]
	s_delay_alu instid0(VALU_DEP_1) | instskip(NEXT) | instid1(VALU_DEP_2)
	v_add_co_u32 v4, vcc_lo, s4, v0
	v_add_co_ci_u32_e32 v5, vcc_lo, s5, v1, vcc_lo
	s_clause 0x2
	global_load_b128 v[13:16], v[4:5], off offset:32
	global_load_b128 v[0:3], v[4:5], off offset:16
	global_load_b128 v[4:7], v[4:5], off
	s_waitcnt vmcnt(2)
	v_cvt_f32_f16_e64 v19, -v13
	v_add_nc_u32_e32 v17, s12, v8
	v_lshrrev_b32_e32 v9, 16, v13
	v_cvt_f32_f16_e64 v21, -v14
	v_cvt_f32_f16_e64 v25, -v16
	v_mul_f32_e32 v26, 0x3fb8aa3b, v19
	v_ashrrev_i32_e32 v18, 31, v17
	v_lshrrev_b32_e32 v20, 16, v16
	v_cvt_f32_f16_e64 v24, -v15
	v_cvt_f32_f16_e64 v9, -v9
	v_mul_f32_e32 v27, 0x3fb8aa3b, v21
	v_lshlrev_b64 v[17:18], 2, v[17:18]
	v_fma_mix_f32 v30, -v13, s3, -v26 op_sel_hi:[1,0,0]
	v_mul_f32_e32 v28, 0x3fb8aa3b, v24
	v_rndne_f32_e32 v31, v26
	v_cvt_f32_f16_e64 v20, -v20
	v_mul_f32_e32 v32, 0x3fb8aa3b, v9
	v_add_co_u32 v22, vcc_lo, s10, v17
	v_add_co_ci_u32_e32 v23, vcc_lo, s11, v18, vcc_lo
	s_delay_alu instid0(VALU_DEP_4)
	v_mul_f32_e32 v41, 0x3fb8aa3b, v20
	v_lshrrev_b32_e32 v17, 16, v14
	v_lshrrev_b32_e32 v18, 16, v15
	v_fma_mix_f32 v33, -v14, s3, -v27 op_sel_hi:[1,0,0]
	v_rndne_f32_e32 v34, v27
	v_fma_mix_f32 v30, -v13, s2, v30 op_sel_hi:[1,0,0]
	v_cvt_f32_f16_e64 v17, -v17
	v_cvt_f32_f16_e64 v18, -v18
	v_dual_mul_f32 v29, 0x3fb8aa3b, v25 :: v_dual_sub_f32 v26, v26, v31
	v_fma_mix_f32 v36, -v15, s3, -v28 op_sel_hi:[1,0,0]
	s_delay_alu instid0(VALU_DEP_3) | instskip(NEXT) | instid1(VALU_DEP_3)
	v_dual_mul_f32 v35, 0x3fb8aa3b, v17 :: v_dual_mul_f32 v38, 0x3fb8aa3b, v18
	v_rndne_f32_e32 v40, v29
	v_rndne_f32_e32 v37, v28
	v_fma_mix_f32 v39, -v16, s3, -v29 op_sel_hi:[1,0,0]
	v_rndne_f32_e32 v43, v32
	v_fma_mix_f32 v33, -v14, s2, v33 op_sel_hi:[1,0,0]
	s_delay_alu instid0(VALU_DEP_4) | instskip(SKIP_3) | instid1(VALU_DEP_4)
	v_dual_sub_f32 v27, v27, v34 :: v_dual_sub_f32 v28, v28, v37
	v_dual_sub_f32 v29, v29, v40 :: v_dual_add_f32 v26, v26, v30
	v_rndne_f32_e32 v45, v35
	v_fma_mix_f32 v36, -v15, s2, v36 op_sel_hi:[1,0,0]
	v_dual_sub_f32 v30, v32, v43 :: v_dual_add_f32 v27, v27, v33
	s_delay_alu instid0(VALU_DEP_4)
	v_exp_f32_e32 v26, v26
	v_cvt_i32_f32_e32 v31, v31
	v_fma_mix_f32 v42, -v13, s3, -v32 op_sel:[1,0,0] op_sel_hi:[1,0,0]
	v_fma_mix_f32 v44, -v14, s3, -v35 op_sel:[1,0,0] op_sel_hi:[1,0,0]
	;; [unrolled: 1-line block ×3, first 2 shown]
	v_rndne_f32_e32 v47, v38
	v_fma_mix_f32 v39, -v16, s2, v39 op_sel_hi:[1,0,0]
	v_fma_mix_f32 v48, -v16, s3, -v41 op_sel:[1,0,0] op_sel_hi:[1,0,0]
	v_rndne_f32_e32 v49, v41
	v_dual_sub_f32 v33, v35, v45 :: v_dual_add_f32 v28, v28, v36
	v_exp_f32_e32 v27, v27
	v_cvt_i32_f32_e32 v34, v34
	v_fma_mix_f32 v13, -v13, s2, v42 op_sel:[1,0,0] op_sel_hi:[1,0,0]
	v_fma_mix_f32 v14, -v14, s2, v44 op_sel:[1,0,0] op_sel_hi:[1,0,0]
	;; [unrolled: 1-line block ×3, first 2 shown]
	v_sub_f32_e32 v36, v38, v47
	v_fma_mix_f32 v16, -v16, s2, v48 op_sel:[1,0,0] op_sel_hi:[1,0,0]
	v_add_f32_e32 v29, v29, v39
	v_sub_f32_e32 v39, v41, v49
	v_exp_f32_e32 v28, v28
	v_ldexp_f32 v26, v26, v31
	v_cmp_ngt_f32_e32 vcc_lo, 0xc2ce8ed0, v19
	v_cvt_i32_f32_e32 v37, v37
	v_dual_add_f32 v16, v39, v16 :: v_dual_add_f32 v13, v30, v13
	v_dual_add_f32 v14, v33, v14 :: v_dual_add_f32 v15, v36, v15
	v_cndmask_b32_e32 v26, 0, v26, vcc_lo
	v_exp_f32_e32 v29, v29
	v_ldexp_f32 v27, v27, v34
	v_cmp_ngt_f32_e32 vcc_lo, 0xc2ce8ed0, v21
	v_cvt_i32_f32_e32 v40, v40
	v_exp_f32_e32 v14, v14
	v_ldexp_f32 v28, v28, v37
	v_cvt_i32_f32_e32 v35, v45
	v_cndmask_b32_e32 v27, 0, v27, vcc_lo
	v_cmp_ngt_f32_e32 vcc_lo, 0xc2ce8ed0, v24
	v_exp_f32_e32 v13, v13
	v_ldexp_f32 v29, v29, v40
	v_cvt_i32_f32_e32 v32, v43
	v_exp_f32_e32 v16, v16
	v_cndmask_b32_e32 v28, 0, v28, vcc_lo
	v_cmp_ngt_f32_e32 vcc_lo, 0xc2ce8ed0, v25
	v_ldexp_f32 v14, v14, v35
	v_cvt_i32_f32_e32 v30, v49
	v_exp_f32_e32 v15, v15
	v_cvt_i32_f32_e32 v38, v47
	v_cndmask_b32_e32 v29, 0, v29, vcc_lo
	v_cmp_nlt_f32_e32 vcc_lo, 0x42b17218, v19
	v_ldexp_f32 v13, v13, v32
	v_ldexp_f32 v16, v16, v30
	v_cndmask_b32_e32 v19, 0x7f800000, v26, vcc_lo
	v_cmp_ngt_f32_e32 vcc_lo, 0xc2ce8ed0, v9
	s_delay_alu instid0(TRANS32_DEP_1)
	v_ldexp_f32 v15, v15, v38
	v_cndmask_b32_e32 v13, 0, v13, vcc_lo
	v_cmp_nlt_f32_e32 vcc_lo, 0x42b17218, v21
	v_cndmask_b32_e32 v21, 0x7f800000, v27, vcc_lo
	v_cmp_ngt_f32_e32 vcc_lo, 0xc2ce8ed0, v17
	v_cndmask_b32_e32 v14, 0, v14, vcc_lo
	v_cmp_nlt_f32_e32 vcc_lo, 0x42b17218, v24
	v_cndmask_b32_e32 v24, 0x7f800000, v28, vcc_lo
	v_cmp_ngt_f32_e32 vcc_lo, 0xc2ce8ed0, v18
	;; [unrolled: 4-line block ×3, first 2 shown]
	v_cndmask_b32_e32 v16, 0, v16, vcc_lo
	v_cmp_nlt_f32_e32 vcc_lo, 0x42b17218, v9
	v_cndmask_b32_e32 v9, 0x7f800000, v13, vcc_lo
	v_cmp_nlt_f32_e32 vcc_lo, 0x42b17218, v17
	;; [unrolled: 2-line block ×3, first 2 shown]
	s_delay_alu instid0(VALU_DEP_2) | instskip(SKIP_3) | instid1(VALU_DEP_4)
	v_dual_add_f32 v26, 1.0, v14 :: v_dual_cndmask_b32 v15, 0x7f800000, v15
	v_cmp_nlt_f32_e32 vcc_lo, 0x42b17218, v20
	v_add_f32_e32 v13, 1.0, v21
	v_add_f32_e32 v21, 1.0, v24
	v_div_scale_f32 v34, null, v26, v26, 1.0
	v_cndmask_b32_e32 v16, 0x7f800000, v16, vcc_lo
	s_delay_alu instid0(VALU_DEP_4) | instskip(NEXT) | instid1(VALU_DEP_4)
	v_div_scale_f32 v20, null, v13, v13, 1.0
	v_div_scale_f32 v14, null, v21, v21, 1.0
	s_delay_alu instid0(VALU_DEP_3) | instskip(NEXT) | instid1(VALU_DEP_3)
	v_add_f32_e32 v30, 1.0, v16
	v_rcp_f32_e32 v33, v20
	v_rcp_f32_e32 v43, v34
	s_delay_alu instid0(VALU_DEP_2) | instskip(SKIP_4) | instid1(VALU_DEP_3)
	v_rcp_f32_e32 v36, v14
	v_div_scale_f32 v27, s3, 1.0, v21, 1.0
	v_div_scale_f32 v40, null, v30, v30, 1.0
	v_div_scale_f32 v35, s6, 1.0, v26, 1.0
	v_div_scale_f32 v42, s8, 1.0, v30, 1.0
	v_rcp_f32_e32 v46, v40
	s_waitcnt_depctr 0xfff
	v_fma_f32 v48, -v14, v36, 1.0
	v_fma_f32 v47, -v20, v33, 1.0
	s_delay_alu instid0(VALU_DEP_2) | instskip(SKIP_3) | instid1(VALU_DEP_3)
	v_fmac_f32_e32 v36, v48, v36
	v_add_f32_e32 v28, 1.0, v15
	v_dual_add_f32 v24, 1.0, v25 :: v_dual_add_f32 v19, 1.0, v19
	v_div_scale_f32 v25, s2, 1.0, v13, 1.0
	v_div_scale_f32 v37, null, v28, v28, 1.0
	s_delay_alu instid0(VALU_DEP_3) | instskip(NEXT) | instid1(VALU_DEP_4)
	v_div_scale_f32 v17, null, v19, v19, 1.0
	v_div_scale_f32 v15, null, v24, v24, 1.0
	v_div_scale_f32 v18, vcc_lo, 1.0, v19, 1.0
	s_delay_alu instid0(VALU_DEP_3) | instskip(NEXT) | instid1(VALU_DEP_2)
	v_rcp_f32_e32 v16, v17
	v_rcp_f32_e32 v39, v15
	;; [unrolled: 1-line block ×3, first 2 shown]
	v_div_scale_f32 v29, s4, 1.0, v24, 1.0
	v_div_scale_f32 v38, s7, 1.0, v28, 1.0
	s_delay_alu instid0(TRANS32_DEP_3)
	v_fma_f32 v45, -v17, v16, 1.0
	s_waitcnt_depctr 0xfff
	v_fma_f32 v49, -v15, v39, 1.0
	v_fma_f32 v48, -v37, v44, 1.0
	v_fmac_f32_e32 v33, v47, v33
	v_fma_f32 v47, -v34, v43, 1.0
	v_dual_fmac_f32 v16, v45, v16 :: v_dual_add_f32 v9, 1.0, v9
	v_fmac_f32_e32 v39, v49, v39
	v_fma_f32 v49, -v40, v46, 1.0
	s_delay_alu instid0(VALU_DEP_3) | instskip(NEXT) | instid1(VALU_DEP_4)
	v_dual_fmac_f32 v43, v47, v43 :: v_dual_mul_f32 v50, v18, v16
	v_div_scale_f32 v31, null, v9, v9, 1.0
	s_delay_alu instid0(VALU_DEP_3) | instskip(SKIP_2) | instid1(VALU_DEP_4)
	v_dual_fmac_f32 v46, v49, v46 :: v_dual_mul_f32 v47, v27, v36
	v_fmac_f32_e32 v44, v48, v44
	v_mul_f32_e32 v48, v29, v39
	v_rcp_f32_e32 v41, v31
	v_div_scale_f32 v32, s5, 1.0, v9, 1.0
	v_fma_f32 v49, -v17, v50, v18
	s_delay_alu instid0(VALU_DEP_3)
	v_fma_f32 v56, -v15, v48, v29
	v_mul_f32_e32 v53, v35, v43
	v_fma_f32 v54, -v14, v47, v27
	v_mul_f32_e32 v55, v38, v44
	v_fmac_f32_e32 v50, v49, v16
	v_fmac_f32_e32 v48, v56, v39
	s_delay_alu instid0(TRANS32_DEP_1)
	v_fma_f32 v45, -v31, v41, 1.0
	v_mul_f32_e32 v57, v42, v46
	v_fmac_f32_e32 v47, v54, v36
	v_fma_f32 v54, -v37, v55, v38
	v_fma_f32 v17, -v17, v50, v18
	v_fmac_f32_e32 v41, v45, v41
	v_mul_f32_e32 v45, v25, v33
	v_fma_f32 v56, -v40, v57, v42
	v_fmac_f32_e32 v55, v54, v44
	s_delay_alu instid0(VALU_DEP_4) | instskip(NEXT) | instid1(VALU_DEP_4)
	v_mul_f32_e32 v51, v32, v41
	v_fma_f32 v52, -v20, v45, v25
	s_delay_alu instid0(VALU_DEP_4) | instskip(NEXT) | instid1(VALU_DEP_3)
	v_fmac_f32_e32 v57, v56, v46
	v_fma_f32 v49, -v31, v51, v32
	s_delay_alu instid0(VALU_DEP_3) | instskip(SKIP_1) | instid1(VALU_DEP_3)
	v_fmac_f32_e32 v45, v52, v33
	v_fma_f32 v52, -v34, v53, v35
	v_fmac_f32_e32 v51, v49, v41
	s_delay_alu instid0(VALU_DEP_3) | instskip(NEXT) | instid1(VALU_DEP_3)
	v_fma_f32 v18, -v20, v45, v25
	v_fmac_f32_e32 v53, v52, v43
	v_fma_f32 v25, -v15, v48, v29
	v_fma_f32 v20, -v14, v47, v27
	;; [unrolled: 1-line block ×3, first 2 shown]
	v_div_fmas_f32 v14, v17, v16, v50
	s_mov_b32 vcc_lo, s5
	v_fma_f32 v16, -v34, v53, v35
	v_fma_f32 v17, -v37, v55, v38
	v_div_fmas_f32 v15, v15, v41, v51
	s_mov_b32 vcc_lo, s2
	v_div_fixup_f32 v14, v14, v19, 1.0
	v_div_fmas_f32 v18, v18, v33, v45
	s_mov_b32 vcc_lo, s6
	v_div_fixup_f32 v15, v15, v9, 1.0
	v_div_fmas_f32 v19, v16, v43, v53
	s_mov_b32 vcc_lo, s3
	v_fma_f32 v27, -v40, v57, v42
	v_div_fmas_f32 v9, v20, v36, v47
	s_mov_b32 vcc_lo, s7
	v_div_fixup_f32 v16, v18, v13, 1.0
	v_div_fmas_f32 v13, v17, v44, v55
	s_mov_b32 vcc_lo, s4
	v_div_fixup_f32 v17, v19, v26, 1.0
	;; [unrolled: 3-line block ×3, first 2 shown]
	v_div_fmas_f32 v25, v27, v46, v57
	v_mov_b32_e32 v13, 0
	v_div_fixup_f32 v18, v9, v21, 1.0
	v_div_fixup_f32 v20, v20, v24, 1.0
	s_cselect_b32 s2, -1, 0
	v_div_fixup_f32 v21, v25, v30, 1.0
	s_cmp_lt_i32 s12, 1
	s_clause 0x1
	global_store_b128 v[22:23], v[14:17], off
	global_store_b128 v[22:23], v[18:21], off offset:16
	s_cbranch_scc1 .LBB154_8
; %bb.5:
	s_waitcnt vmcnt(0)
	v_lshrrev_b32_e32 v9, 16, v4
	v_cvt_f32_f16_e32 v26, v4
	v_cvt_f32_f16_e32 v24, v5
	;; [unrolled: 1-line block ×3, first 2 shown]
	v_lshrrev_b32_e32 v5, 16, v5
	v_cvt_f32_f16_e32 v25, v9
	v_cmp_lt_f16_e32 vcc_lo, v4, v9
	v_lshrrev_b32_e32 v0, 16, v0
	v_cvt_f32_f16_e32 v22, v6
	v_cvt_f32_f16_e32 v23, v5
	v_lshrrev_b32_e32 v6, 16, v6
	v_cndmask_b32_e32 v9, v26, v25, vcc_lo
	v_cndmask_b32_e64 v4, 0, 1, vcc_lo
	v_cvt_f32_f16_e32 v17, v0
	v_cvt_f32_f16_e32 v20, v7
	;; [unrolled: 1-line block ×3, first 2 shown]
	v_cmp_lt_f32_e32 vcc_lo, v9, v24
	v_lshrrev_b32_e32 v6, 16, v7
	v_cvt_f32_f16_e32 v16, v1
	v_lshrrev_b32_e32 v1, 16, v1
	v_cvt_f32_f16_e32 v14, v2
	v_cndmask_b32_e32 v5, v9, v24, vcc_lo
	v_cndmask_b32_e64 v4, v4, 2, vcc_lo
	v_cvt_f32_f16_e32 v19, v6
	v_cvt_f32_f16_e32 v15, v1
	v_lshrrev_b32_e32 v2, 16, v2
	v_cmp_lt_f32_e32 vcc_lo, v5, v23
	v_cvt_f32_f16_e32 v29, v3
	v_ashrrev_i32_e32 v9, 31, v8
	s_load_b128 s[4:7], s[0:1], 0x20
	v_cvt_f32_f16_e32 v28, v2
	v_cndmask_b32_e32 v5, v5, v23, vcc_lo
	v_cndmask_b32_e64 v4, v4, 3, vcc_lo
	v_lshrrev_b32_e32 v2, 16, v3
	s_delay_alu instid0(VALU_DEP_3) | instskip(NEXT) | instid1(VALU_DEP_2)
	v_cmp_lt_f32_e32 vcc_lo, v5, v22
	v_cvt_f32_f16_e32 v7, v2
	v_mul_lo_u32 v2, v12, s12
	v_cndmask_b32_e32 v5, v5, v22, vcc_lo
	v_cndmask_b32_e64 v4, v4, 4, vcc_lo
	s_delay_alu instid0(VALU_DEP_2) | instskip(SKIP_1) | instid1(VALU_DEP_3)
	v_cmp_lt_f32_e32 vcc_lo, v5, v21
	v_cndmask_b32_e32 v5, v5, v21, vcc_lo
	v_cndmask_b32_e64 v4, v4, 5, vcc_lo
	s_delay_alu instid0(VALU_DEP_2) | instskip(SKIP_1) | instid1(VALU_DEP_3)
	v_cmp_lt_f32_e32 vcc_lo, v5, v20
	;; [unrolled: 4-line block ×3, first 2 shown]
	v_cndmask_b32_e32 v5, v5, v19, vcc_lo
	v_cndmask_b32_e64 v4, v4, 7, vcc_lo
	s_delay_alu instid0(VALU_DEP_2) | instskip(NEXT) | instid1(VALU_DEP_2)
	v_cmp_lt_f32_e32 vcc_lo, v5, v18
	v_cndmask_b32_e64 v0, v4, 8, vcc_lo
	v_cndmask_b32_e32 v4, v5, v18, vcc_lo
	s_delay_alu instid0(VALU_DEP_1) | instskip(SKIP_1) | instid1(VALU_DEP_4)
	v_cmp_lt_f32_e32 vcc_lo, v4, v17
	v_cndmask_b32_e32 v4, v4, v17, vcc_lo
	v_cndmask_b32_e64 v0, v0, 9, vcc_lo
	s_delay_alu instid0(VALU_DEP_2) | instskip(SKIP_1) | instid1(VALU_DEP_3)
	v_cmp_lt_f32_e32 vcc_lo, v4, v16
	v_cndmask_b32_e32 v1, v4, v16, vcc_lo
	v_cndmask_b32_e64 v0, v0, 10, vcc_lo
	v_lshlrev_b64 v[4:5], 2, v[8:9]
	s_delay_alu instid0(VALU_DEP_3) | instskip(SKIP_1) | instid1(VALU_DEP_4)
	v_cmp_lt_f32_e32 vcc_lo, v1, v15
	v_cndmask_b32_e32 v1, v1, v15, vcc_lo
	v_cndmask_b32_e64 v0, v0, 11, vcc_lo
	s_delay_alu instid0(VALU_DEP_2) | instskip(SKIP_1) | instid1(VALU_DEP_3)
	v_cmp_lt_f32_e32 vcc_lo, v1, v14
	v_cndmask_b32_e32 v1, v1, v14, vcc_lo
	v_cndmask_b32_e64 v0, v0, 12, vcc_lo
	s_delay_alu instid0(VALU_DEP_2) | instskip(SKIP_1) | instid1(VALU_DEP_3)
	;; [unrolled: 4-line block ×4, first 2 shown]
	v_cmp_lt_f32_e32 vcc_lo, v1, v7
	v_cndmask_b32_e32 v6, v1, v7, vcc_lo
	v_cndmask_b32_e64 v27, v0, 15, vcc_lo
	v_add_co_u32 v4, vcc_lo, s10, v4
	v_add_co_ci_u32_e32 v5, vcc_lo, s11, v5, vcc_lo
	s_delay_alu instid0(VALU_DEP_4) | instskip(NEXT) | instid1(VALU_DEP_4)
	v_sub_f32_e32 v13, v6, v6
	v_cmp_le_i32_e32 vcc_lo, s13, v27
	v_cmp_gt_i32_e64 s0, s14, v27
	v_subrev_nc_u32_e32 v32, s13, v27
	s_delay_alu instid0(VALU_DEP_4) | instskip(NEXT) | instid1(VALU_DEP_3)
	v_mul_f32_e32 v0, 0x3fb8aa3b, v13
	s_and_b32 s0, vcc_lo, s0
	v_cmp_ngt_f32_e32 vcc_lo, 0xc2ce8ed0, v13
	s_delay_alu instid0(VALU_DEP_2) | instskip(SKIP_1) | instid1(VALU_DEP_2)
	v_fma_f32 v1, 0x3fb8aa3b, v13, -v0
	v_rndne_f32_e32 v30, v0
	v_fmac_f32_e32 v1, 0x32a5705f, v13
	s_delay_alu instid0(VALU_DEP_2) | instskip(SKIP_2) | instid1(VALU_DEP_3)
	v_sub_f32_e32 v3, v0, v30
	v_mul_lo_u32 v0, v12, s16
	v_cvt_i32_f32_e32 v30, v30
	v_add_f32_e32 v3, v3, v1
	s_delay_alu instid0(VALU_DEP_3) | instskip(NEXT) | instid1(VALU_DEP_2)
	v_ashrrev_i32_e32 v1, 31, v0
	v_exp_f32_e32 v9, v3
	v_ashrrev_i32_e32 v3, 31, v2
	s_delay_alu instid0(VALU_DEP_2) | instskip(NEXT) | instid1(VALU_DEP_2)
	v_lshlrev_b64 v[0:1], 2, v[0:1]
	v_lshlrev_b64 v[2:3], 2, v[2:3]
	s_waitcnt_depctr 0xfff
	v_ldexp_f32 v9, v9, v30
	s_delay_alu instid0(VALU_DEP_1)
	v_cndmask_b32_e32 v9, 0, v9, vcc_lo
	s_waitcnt lgkmcnt(0)
	v_add_co_u32 v30, vcc_lo, s4, v0
	v_add_co_ci_u32_e32 v31, vcc_lo, s5, v1, vcc_lo
	s_and_b32 vcc_lo, s18, s0
	s_cmp_eq_u32 s12, 1
	v_cndmask_b32_e32 v34, 16, v32, vcc_lo
	v_cmp_nlt_f32_e32 vcc_lo, 0x42b17218, v13
	v_cndmask_b32_e32 v13, 0x7f800000, v9, vcc_lo
	v_add_co_u32 v32, vcc_lo, s6, v2
	v_add_co_ci_u32_e32 v33, vcc_lo, s7, v3, vcc_lo
	global_store_b32 v[30:31], v34, off
	global_store_b32 v[4:5], v13, off
	;; [unrolled: 1-line block ×3, first 2 shown]
	s_cbranch_scc1 .LBB154_8
; %bb.6:
	v_cmp_ne_u32_e32 vcc_lo, 15, v27
	s_add_i32 s19, s19, s9
	s_add_i32 s3, s12, -1
	v_add3_u32 v10, s19, v11, v10
	v_cndmask_b32_e32 v7, 0xff800000, v7, vcc_lo
	v_cmp_ne_u32_e32 vcc_lo, 14, v27
	v_cndmask_b32_e32 v9, 0xff800000, v29, vcc_lo
	v_cmp_ne_u32_e32 vcc_lo, 13, v27
	v_cndmask_b32_e32 v12, 0xff800000, v28, vcc_lo
	v_cmp_ne_u32_e32 vcc_lo, 12, v27
	v_cndmask_b32_e32 v14, 0xff800000, v14, vcc_lo
	v_cmp_ne_u32_e32 vcc_lo, 11, v27
	v_cndmask_b32_e32 v15, 0xff800000, v15, vcc_lo
	v_cmp_ne_u32_e32 vcc_lo, 10, v27
	v_cndmask_b32_e32 v16, 0xff800000, v16, vcc_lo
	v_cmp_ne_u32_e32 vcc_lo, 9, v27
	v_cndmask_b32_e32 v17, 0xff800000, v17, vcc_lo
	v_cmp_ne_u32_e32 vcc_lo, 8, v27
	v_cndmask_b32_e32 v18, 0xff800000, v18, vcc_lo
	v_cmp_ne_u32_e32 vcc_lo, 7, v27
	v_cndmask_b32_e32 v19, 0xff800000, v19, vcc_lo
	v_cmp_ne_u32_e32 vcc_lo, 6, v27
	v_cndmask_b32_e32 v20, 0xff800000, v20, vcc_lo
	v_cmp_ne_u32_e32 vcc_lo, 5, v27
	v_cndmask_b32_e32 v21, 0xff800000, v21, vcc_lo
	v_cmp_ne_u32_e32 vcc_lo, 4, v27
	v_cndmask_b32_e32 v22, 0xff800000, v22, vcc_lo
	v_cmp_ne_u32_e32 vcc_lo, 3, v27
	v_cndmask_b32_e32 v23, 0xff800000, v23, vcc_lo
	v_cmp_ne_u32_e32 vcc_lo, 2, v27
	v_cndmask_b32_e32 v24, 0xff800000, v24, vcc_lo
	v_cmp_ne_u32_e32 vcc_lo, 1, v27
	v_cndmask_b32_e32 v25, 0xff800000, v25, vcc_lo
	v_cmp_ne_u32_e32 vcc_lo, 0, v27
	v_cndmask_b32_e32 v26, 0xff800000, v26, vcc_lo
	v_add_co_u32 v2, vcc_lo, v2, s6
	v_add_co_ci_u32_e32 v3, vcc_lo, s7, v3, vcc_lo
	v_add_co_u32 v27, vcc_lo, v0, s4
	v_add_co_ci_u32_e32 v28, vcc_lo, s5, v1, vcc_lo
	s_delay_alu instid0(VALU_DEP_4) | instskip(NEXT) | instid1(VALU_DEP_4)
	v_add_co_u32 v0, vcc_lo, v2, 4
	v_add_co_ci_u32_e32 v1, vcc_lo, 0, v3, vcc_lo
	s_delay_alu instid0(VALU_DEP_4) | instskip(NEXT) | instid1(VALU_DEP_4)
	v_add_co_u32 v2, vcc_lo, v27, 4
	v_add_co_ci_u32_e32 v3, vcc_lo, 0, v28, vcc_lo
	v_add_co_u32 v4, vcc_lo, v4, 4
	v_add_co_ci_u32_e32 v5, vcc_lo, 0, v5, vcc_lo
.LBB154_7:                              ; =>This Inner Loop Header: Depth=1
	v_cmp_gt_f32_e32 vcc_lo, v25, v26
	s_add_i32 s3, s3, -1
	v_cndmask_b32_e32 v11, v26, v25, vcc_lo
	v_cndmask_b32_e64 v27, 0, 1, vcc_lo
	s_delay_alu instid0(VALU_DEP_2) | instskip(SKIP_1) | instid1(VALU_DEP_3)
	v_cmp_gt_f32_e32 vcc_lo, v24, v11
	v_cndmask_b32_e32 v11, v11, v24, vcc_lo
	v_cndmask_b32_e64 v27, v27, 2, vcc_lo
	s_delay_alu instid0(VALU_DEP_2) | instskip(SKIP_1) | instid1(VALU_DEP_3)
	v_cmp_gt_f32_e32 vcc_lo, v23, v11
	;; [unrolled: 4-line block ×13, first 2 shown]
	v_cndmask_b32_e32 v11, v11, v9, vcc_lo
	v_cndmask_b32_e64 v27, v27, 14, vcc_lo
	s_delay_alu instid0(VALU_DEP_2) | instskip(NEXT) | instid1(VALU_DEP_2)
	v_cmp_gt_f32_e32 vcc_lo, v7, v11
	v_cndmask_b32_e64 v27, v27, 15, vcc_lo
	v_cndmask_b32_e32 v11, v11, v7, vcc_lo
	s_delay_alu instid0(VALU_DEP_2) | instskip(SKIP_2) | instid1(VALU_DEP_4)
	v_cmp_ne_u32_e64 s1, 15, v27
	v_cmp_le_i32_e32 vcc_lo, s13, v27
	v_cmp_gt_i32_e64 s0, s14, v27
	v_sub_f32_e32 v11, v11, v6
	v_subrev_nc_u32_e32 v29, s13, v27
	v_cndmask_b32_e64 v7, 0xff800000, v7, s1
	v_cmp_ne_u32_e64 s1, 14, v27
	s_and_b32 s0, vcc_lo, s0
	s_delay_alu instid0(SALU_CYCLE_1) | instskip(SKIP_1) | instid1(VALU_DEP_2)
	s_and_b32 vcc_lo, s18, s0
	v_dual_mul_f32 v28, 0x3fb8aa3b, v11 :: v_dual_cndmask_b32 v29, 16, v29
	v_cndmask_b32_e64 v9, 0xff800000, v9, s1
	v_cmp_ne_u32_e64 s1, 13, v27
	global_store_b32 v[2:3], v29, off
	global_store_b32 v[0:1], v10, off
	v_rndne_f32_e32 v30, v28
	v_cndmask_b32_e64 v12, 0xff800000, v12, s1
	v_cmp_ne_u32_e64 s1, 12, v27
	v_add_co_u32 v0, vcc_lo, v0, 4
	v_add_co_ci_u32_e32 v1, vcc_lo, 0, v1, vcc_lo
	s_delay_alu instid0(VALU_DEP_3) | instskip(SKIP_3) | instid1(VALU_DEP_3)
	v_cndmask_b32_e64 v14, 0xff800000, v14, s1
	v_cmp_ne_u32_e64 s1, 11, v27
	v_add_co_u32 v2, vcc_lo, v2, 4
	v_add_co_ci_u32_e32 v3, vcc_lo, 0, v3, vcc_lo
	v_cndmask_b32_e64 v15, 0xff800000, v15, s1
	v_cmp_ne_u32_e64 s1, 10, v27
	v_cmp_ngt_f32_e32 vcc_lo, 0xc2ce8ed0, v11
	v_add_nc_u32_e32 v10, s9, v10
	s_cmp_eq_u32 s3, 0
	s_delay_alu instid0(VALU_DEP_3) | instskip(SKIP_1) | instid1(VALU_DEP_1)
	v_cndmask_b32_e64 v16, 0xff800000, v16, s1
	v_cmp_ne_u32_e64 s1, 9, v27
	v_cndmask_b32_e64 v17, 0xff800000, v17, s1
	v_cmp_ne_u32_e64 s1, 8, v27
	s_delay_alu instid0(VALU_DEP_1) | instskip(SKIP_1) | instid1(VALU_DEP_1)
	v_cndmask_b32_e64 v18, 0xff800000, v18, s1
	v_cmp_ne_u32_e64 s1, 7, v27
	v_cndmask_b32_e64 v19, 0xff800000, v19, s1
	v_cmp_ne_u32_e64 s1, 6, v27
	s_delay_alu instid0(VALU_DEP_1) | instskip(SKIP_1) | instid1(VALU_DEP_1)
	;; [unrolled: 5-line block ×4, first 2 shown]
	v_cndmask_b32_e64 v24, 0xff800000, v24, s1
	v_cmp_ne_u32_e64 s1, 1, v27
	v_cndmask_b32_e64 v25, 0xff800000, v25, s1
	v_cmp_ne_u32_e64 s1, 0, v27
	v_fma_f32 v27, 0x3fb8aa3b, v11, -v28
	v_sub_f32_e32 v28, v28, v30
	v_cvt_i32_f32_e32 v30, v30
	s_delay_alu instid0(VALU_DEP_4) | instskip(NEXT) | instid1(VALU_DEP_4)
	v_cndmask_b32_e64 v26, 0xff800000, v26, s1
	v_fmac_f32_e32 v27, 0x32a5705f, v11
	s_delay_alu instid0(VALU_DEP_1) | instskip(NEXT) | instid1(VALU_DEP_1)
	v_add_f32_e32 v27, v28, v27
	v_exp_f32_e32 v27, v27
	s_waitcnt_depctr 0xfff
	v_ldexp_f32 v27, v27, v30
	s_delay_alu instid0(VALU_DEP_1) | instskip(SKIP_1) | instid1(VALU_DEP_2)
	v_cndmask_b32_e32 v27, 0, v27, vcc_lo
	v_cmp_nlt_f32_e32 vcc_lo, 0x42b17218, v11
	v_cndmask_b32_e32 v11, 0x7f800000, v27, vcc_lo
	global_store_b32 v[4:5], v11, off
	v_add_co_u32 v4, vcc_lo, v4, 4
	v_add_f32_e32 v13, v13, v11
	v_add_co_ci_u32_e32 v5, vcc_lo, 0, v5, vcc_lo
	s_cbranch_scc0 .LBB154_7
.LBB154_8:
	s_delay_alu instid0(VALU_DEP_2)
	v_cmp_neq_f32_e32 vcc_lo, 0, v13
	s_and_b32 exec_lo, exec_lo, vcc_lo
	s_cbranch_execz .LBB154_12
; %bb.9:
	s_and_not1_b32 vcc_lo, exec_lo, s2
	s_cbranch_vccnz .LBB154_12
; %bb.10:
	s_waitcnt vmcnt(1)
	v_div_scale_f32 v0, null, v13, v13, 1.0
	v_div_scale_f32 v3, vcc_lo, 1.0, v13, 1.0
	v_ashrrev_i32_e32 v9, 31, v8
	s_delay_alu instid0(VALU_DEP_3) | instskip(SKIP_2) | instid1(VALU_DEP_1)
	v_rcp_f32_e32 v1, v0
	s_waitcnt_depctr 0xfff
	v_fma_f32 v2, -v0, v1, 1.0
	v_fmac_f32_e32 v1, v2, v1
	s_delay_alu instid0(VALU_DEP_1) | instskip(SKIP_1) | instid1(VALU_DEP_1)
	v_mul_f32_e32 v2, v3, v1
	s_waitcnt vmcnt(0)
	v_fma_f32 v4, -v0, v2, v3
	s_delay_alu instid0(VALU_DEP_1) | instskip(NEXT) | instid1(VALU_DEP_1)
	v_fmac_f32_e32 v2, v4, v1
	v_fma_f32 v0, -v0, v2, v3
	s_delay_alu instid0(VALU_DEP_1) | instskip(SKIP_1) | instid1(VALU_DEP_2)
	v_div_fmas_f32 v2, v0, v1, v2
	v_lshlrev_b64 v[0:1], 2, v[8:9]
	v_div_fixup_f32 v2, v2, v13, 1.0
	s_delay_alu instid0(VALU_DEP_2) | instskip(NEXT) | instid1(VALU_DEP_3)
	v_add_co_u32 v0, vcc_lo, s10, v0
	v_add_co_ci_u32_e32 v1, vcc_lo, s11, v1, vcc_lo
.LBB154_11:                             ; =>This Inner Loop Header: Depth=1
	global_load_b32 v3, v[0:1], off
	s_add_i32 s12, s12, -1
	s_delay_alu instid0(SALU_CYCLE_1)
	s_cmp_lg_u32 s12, 0
	s_waitcnt vmcnt(0)
	v_mul_f32_e32 v3, v2, v3
	global_store_b32 v[0:1], v3, off
	v_add_co_u32 v0, vcc_lo, v0, 4
	v_add_co_ci_u32_e32 v1, vcc_lo, 0, v1, vcc_lo
	s_cbranch_scc1 .LBB154_11
.LBB154_12:
	s_nop 0
	s_sendmsg sendmsg(MSG_DEALLOC_VGPRS)
	s_endpgm
	.section	.rodata,"a",@progbits
	.p2align	6, 0x0
	.amdhsa_kernel _ZN4vllm3moe17topkGatingSoftmaxIDF16_Li16ELi16ELi8ELi32ELb1ELi8ELNS0_23SharedExpertScoringFuncE1EEEvPKT_PKbPfiPiS9_iiiiii
		.amdhsa_group_segment_fixed_size 0
		.amdhsa_private_segment_fixed_size 0
		.amdhsa_kernarg_size 72
		.amdhsa_user_sgpr_count 15
		.amdhsa_user_sgpr_dispatch_ptr 0
		.amdhsa_user_sgpr_queue_ptr 0
		.amdhsa_user_sgpr_kernarg_segment_ptr 1
		.amdhsa_user_sgpr_dispatch_id 0
		.amdhsa_user_sgpr_private_segment_size 0
		.amdhsa_wavefront_size32 1
		.amdhsa_uses_dynamic_stack 0
		.amdhsa_enable_private_segment 0
		.amdhsa_system_sgpr_workgroup_id_x 1
		.amdhsa_system_sgpr_workgroup_id_y 0
		.amdhsa_system_sgpr_workgroup_id_z 0
		.amdhsa_system_sgpr_workgroup_info 0
		.amdhsa_system_vgpr_workitem_id 1
		.amdhsa_next_free_vgpr 58
		.amdhsa_next_free_sgpr 20
		.amdhsa_reserve_vcc 1
		.amdhsa_float_round_mode_32 0
		.amdhsa_float_round_mode_16_64 0
		.amdhsa_float_denorm_mode_32 3
		.amdhsa_float_denorm_mode_16_64 3
		.amdhsa_dx10_clamp 1
		.amdhsa_ieee_mode 1
		.amdhsa_fp16_overflow 0
		.amdhsa_workgroup_processor_mode 1
		.amdhsa_memory_ordered 1
		.amdhsa_forward_progress 0
		.amdhsa_shared_vgpr_count 0
		.amdhsa_exception_fp_ieee_invalid_op 0
		.amdhsa_exception_fp_denorm_src 0
		.amdhsa_exception_fp_ieee_div_zero 0
		.amdhsa_exception_fp_ieee_overflow 0
		.amdhsa_exception_fp_ieee_underflow 0
		.amdhsa_exception_fp_ieee_inexact 0
		.amdhsa_exception_int_div_zero 0
	.end_amdhsa_kernel
	.section	.text._ZN4vllm3moe17topkGatingSoftmaxIDF16_Li16ELi16ELi8ELi32ELb1ELi8ELNS0_23SharedExpertScoringFuncE1EEEvPKT_PKbPfiPiS9_iiiiii,"axG",@progbits,_ZN4vllm3moe17topkGatingSoftmaxIDF16_Li16ELi16ELi8ELi32ELb1ELi8ELNS0_23SharedExpertScoringFuncE1EEEvPKT_PKbPfiPiS9_iiiiii,comdat
.Lfunc_end154:
	.size	_ZN4vllm3moe17topkGatingSoftmaxIDF16_Li16ELi16ELi8ELi32ELb1ELi8ELNS0_23SharedExpertScoringFuncE1EEEvPKT_PKbPfiPiS9_iiiiii, .Lfunc_end154-_ZN4vllm3moe17topkGatingSoftmaxIDF16_Li16ELi16ELi8ELi32ELb1ELi8ELNS0_23SharedExpertScoringFuncE1EEEvPKT_PKbPfiPiS9_iiiiii
                                        ; -- End function
	.section	.AMDGPU.csdata,"",@progbits
; Kernel info:
; codeLenInByte = 3812
; NumSgprs: 22
; NumVgprs: 58
; ScratchSize: 0
; MemoryBound: 0
; FloatMode: 240
; IeeeMode: 1
; LDSByteSize: 0 bytes/workgroup (compile time only)
; SGPRBlocks: 2
; VGPRBlocks: 7
; NumSGPRsForWavesPerEU: 22
; NumVGPRsForWavesPerEU: 58
; Occupancy: 16
; WaveLimiterHint : 0
; COMPUTE_PGM_RSRC2:SCRATCH_EN: 0
; COMPUTE_PGM_RSRC2:USER_SGPR: 15
; COMPUTE_PGM_RSRC2:TRAP_HANDLER: 0
; COMPUTE_PGM_RSRC2:TGID_X_EN: 1
; COMPUTE_PGM_RSRC2:TGID_Y_EN: 0
; COMPUTE_PGM_RSRC2:TGID_Z_EN: 0
; COMPUTE_PGM_RSRC2:TIDIG_COMP_CNT: 1
	.section	.text._ZN4vllm3moe17topkGatingSoftmaxIDF16_Li16ELi16ELi8ELi32ELb0ELi8ELNS0_23SharedExpertScoringFuncE1EEEvPKT_PKbPfiPiS9_iiiiii,"axG",@progbits,_ZN4vllm3moe17topkGatingSoftmaxIDF16_Li16ELi16ELi8ELi32ELb0ELi8ELNS0_23SharedExpertScoringFuncE1EEEvPKT_PKbPfiPiS9_iiiiii,comdat
	.protected	_ZN4vllm3moe17topkGatingSoftmaxIDF16_Li16ELi16ELi8ELi32ELb0ELi8ELNS0_23SharedExpertScoringFuncE1EEEvPKT_PKbPfiPiS9_iiiiii ; -- Begin function _ZN4vllm3moe17topkGatingSoftmaxIDF16_Li16ELi16ELi8ELi32ELb0ELi8ELNS0_23SharedExpertScoringFuncE1EEEvPKT_PKbPfiPiS9_iiiiii
	.globl	_ZN4vllm3moe17topkGatingSoftmaxIDF16_Li16ELi16ELi8ELi32ELb0ELi8ELNS0_23SharedExpertScoringFuncE1EEEvPKT_PKbPfiPiS9_iiiiii
	.p2align	8
	.type	_ZN4vllm3moe17topkGatingSoftmaxIDF16_Li16ELi16ELi8ELi32ELb0ELi8ELNS0_23SharedExpertScoringFuncE1EEEvPKT_PKbPfiPiS9_iiiiii,@function
_ZN4vllm3moe17topkGatingSoftmaxIDF16_Li16ELi16ELi8ELi32ELb0ELi8ELNS0_23SharedExpertScoringFuncE1EEEvPKT_PKbPfiPiS9_iiiiii: ; @_ZN4vllm3moe17topkGatingSoftmaxIDF16_Li16ELi16ELi8ELi32ELb0ELi8ELNS0_23SharedExpertScoringFuncE1EEEvPKT_PKbPfiPiS9_iiiiii
; %bb.0:
	s_load_b32 s33, s[0:1], 0x18
	v_bfe_u32 v1, v0, 10, 10
	v_and_b32_e32 v26, 0x3ff, v0
	s_lshl_b32 s35, s15, 8
	s_mov_b32 s2, exec_lo
	s_delay_alu instid0(VALU_DEP_2) | instskip(NEXT) | instid1(VALU_DEP_1)
	v_lshlrev_b32_e32 v25, 5, v1
	v_add3_u32 v27, v25, v26, s35
	s_waitcnt lgkmcnt(0)
	s_delay_alu instid0(VALU_DEP_1)
	v_cmpx_gt_i32_e64 s33, v27
	s_cbranch_execz .LBB155_12
; %bb.1:
	s_clause 0x1
	s_load_b128 s[4:7], s[0:1], 0x0
	s_load_b64 s[28:29], s[0:1], 0x10
	s_waitcnt lgkmcnt(0)
	s_cmp_eq_u64 s[6:7], 0
	s_cbranch_scc1 .LBB155_3
; %bb.2:
	v_ashrrev_i32_e32 v1, 31, v27
	v_add_co_u32 v0, vcc_lo, s6, v27
	s_delay_alu instid0(VALU_DEP_2) | instskip(SKIP_3) | instid1(VALU_DEP_1)
	v_add_co_ci_u32_e32 v1, vcc_lo, s7, v1, vcc_lo
	global_load_u8 v0, v[0:1], off
	s_waitcnt vmcnt(0)
	v_and_b32_e32 v0, 1, v0
	v_cmp_eq_u32_e32 vcc_lo, 1, v0
	s_xor_b32 s2, vcc_lo, -1
	s_delay_alu instid0(SALU_CYCLE_1)
	s_or_not1_b32 s34, s2, exec_lo
	s_branch .LBB155_4
.LBB155_3:
	s_mov_b32 s34, -1
.LBB155_4:
	s_clause 0x1
	s_load_b64 s[30:31], s[0:1], 0x40
	s_load_b128 s[24:27], s[0:1], 0x30
	s_mov_b32 s3, 0x3fb8aa3b
	s_waitcnt lgkmcnt(0)
	v_mul_lo_u32 v0, v27, s31
	s_cmp_gt_i32 s24, 0
	s_delay_alu instid0(VALU_DEP_1) | instskip(NEXT) | instid1(VALU_DEP_1)
	v_ashrrev_i32_e32 v1, 31, v0
	v_lshlrev_b64 v[0:1], 1, v[0:1]
	s_delay_alu instid0(VALU_DEP_1) | instskip(NEXT) | instid1(VALU_DEP_2)
	v_add_co_u32 v5, vcc_lo, s4, v0
	v_add_co_ci_u32_e32 v6, vcc_lo, s5, v1, vcc_lo
	v_mul_lo_u32 v0, v27, s27
	s_mov_b32 s4, 0x32a5705f
	s_clause 0x2
	global_load_b128 v[1:4], v[5:6], off
	global_load_b128 v[20:23], v[5:6], off offset:16
	global_load_b128 v[28:31], v[5:6], off offset:32
	s_waitcnt vmcnt(2)
	v_cvt_f32_f16_e32 v13, v4
	v_lshrrev_b32_e32 v4, 16, v4
	s_waitcnt vmcnt(1)
	v_lshrrev_b32_e32 v10, 16, v20
	v_cvt_f32_f16_e32 v7, v23
	v_lshrrev_b32_e32 v23, 16, v23
	s_waitcnt vmcnt(0)
	v_cvt_f32_f16_e64 v38, -v29
	v_cvt_f32_f16_e64 v39, -v30
	v_cvt_f32_f16_e32 v17, v2
	v_lshrrev_b32_e32 v2, 16, v2
	v_cvt_f32_f16_e32 v15, v3
	v_lshrrev_b32_e32 v3, 16, v3
	v_lshrrev_b32_e32 v33, 16, v28
	v_lshrrev_b32_e32 v35, 16, v30
	v_cvt_f32_f16_e64 v37, -v28
	v_cvt_f32_f16_e32 v18, v4
	v_cvt_f32_f16_e32 v16, v10
	;; [unrolled: 1-line block ×3, first 2 shown]
	v_dual_mul_f32 v4, 0x3fb8aa3b, v38 :: v_dual_mul_f32 v23, 0x3fb8aa3b, v39
	v_add_nc_u32_e32 v5, s24, v0
	v_cvt_f32_f16_e32 v11, v20
	v_cvt_f32_f16_e32 v9, v21
	v_lshrrev_b32_e32 v12, 16, v21
	v_cvt_f32_f16_e32 v8, v22
	v_lshrrev_b32_e32 v20, 16, v22
	v_cvt_f32_f16_e32 v22, v2
	v_mul_f32_e32 v2, 0x3fb8aa3b, v37
	v_cvt_f32_f16_e32 v21, v3
	v_cvt_f32_f16_e64 v3, -v33
	v_cvt_f32_f16_e64 v33, -v35
	v_fma_mix_f32 v46, -v30, s3, -v23 op_sel_hi:[1,0,0]
	v_rndne_f32_e32 v47, v23
	v_lshrrev_b32_e32 v34, 16, v29
	v_lshrrev_b32_e32 v36, 16, v31
	v_rndne_f32_e32 v41, v2
	s_delay_alu instid0(VALU_DEP_4)
	v_dual_mul_f32 v48, 0x3fb8aa3b, v33 :: v_dual_sub_f32 v23, v23, v47
	v_fma_mix_f32 v46, -v30, s4, v46 op_sel_hi:[1,0,0]
	v_cvt_f32_f16_e64 v40, -v31
	v_cvt_f32_f16_e32 v14, v12
	v_cvt_f32_f16_e32 v12, v20
	v_cvt_f32_f16_e64 v20, -v34
	v_cvt_f32_f16_e64 v35, -v36
	v_fma_mix_f32 v36, -v28, s3, -v2 op_sel_hi:[1,0,0]
	v_dual_sub_f32 v2, v2, v41 :: v_dual_add_f32 v23, v23, v46
	v_lshrrev_b32_e32 v32, 16, v1
	s_delay_alu instid0(VALU_DEP_4) | instskip(SKIP_1) | instid1(VALU_DEP_4)
	v_dual_mul_f32 v34, 0x3fb8aa3b, v40 :: v_dual_mul_f32 v51, 0x3fb8aa3b, v35
	v_dual_mul_f32 v42, 0x3fb8aa3b, v3 :: v_dual_mul_f32 v45, 0x3fb8aa3b, v20
	v_exp_f32_e32 v23, v23
	s_delay_alu instid0(VALU_DEP_3)
	v_cvt_f32_f16_e32 v24, v32
	v_fma_mix_f32 v43, -v29, s3, -v4 op_sel_hi:[1,0,0]
	v_rndne_f32_e32 v44, v4
	v_fma_mix_f32 v49, -v31, s3, -v34 op_sel_hi:[1,0,0]
	v_rndne_f32_e32 v50, v34
	v_cmp_lt_f16_e64 s2, v1, v32
	v_fma_mix_f32 v32, -v28, s4, v36 op_sel_hi:[1,0,0]
	v_rndne_f32_e32 v52, v42
	v_fma_mix_f32 v53, -v29, s3, -v45 op_sel:[1,0,0] op_sel_hi:[1,0,0]
	v_rndne_f32_e32 v54, v45
	v_cvt_i32_f32_e32 v47, v47
	v_rndne_f32_e32 v56, v48
	v_fma_mix_f32 v57, -v31, s3, -v51 op_sel:[1,0,0] op_sel_hi:[1,0,0]
	v_rndne_f32_e32 v58, v51
	v_cvt_i32_f32_e32 v36, v41
	v_fma_mix_f32 v41, -v28, s3, -v42 op_sel:[1,0,0] op_sel_hi:[1,0,0]
	v_fma_mix_f32 v43, -v29, s4, v43 op_sel_hi:[1,0,0]
	v_fma_mix_f32 v55, -v30, s3, -v48 op_sel:[1,0,0] op_sel_hi:[1,0,0]
	v_fma_mix_f32 v49, -v31, s4, v49 op_sel_hi:[1,0,0]
	v_sub_f32_e32 v34, v34, v50
	v_fma_mix_f32 v29, -v29, s4, v53 op_sel:[1,0,0] op_sel_hi:[1,0,0]
	v_fma_mix_f32 v31, -v31, s4, v57 op_sel:[1,0,0] op_sel_hi:[1,0,0]
	v_add_f32_e32 v2, v2, v32
	v_ldexp_f32 v23, v23, v47
	v_sub_f32_e32 v32, v42, v52
	v_sub_f32_e32 v42, v45, v54
	;; [unrolled: 1-line block ×3, first 2 shown]
	v_dual_sub_f32 v45, v48, v56 :: v_dual_sub_f32 v48, v51, v58
	v_ashrrev_i32_e32 v6, 31, v5
	s_delay_alu instid0(VALU_DEP_3) | instskip(SKIP_1) | instid1(VALU_DEP_4)
	v_dual_add_f32 v29, v42, v29 :: v_dual_add_f32 v4, v4, v43
	v_cvt_i32_f32_e32 v44, v44
	v_add_f32_e32 v31, v48, v31
	v_exp_f32_e32 v2, v2
	v_lshlrev_b64 v[5:6], 2, v[5:6]
	v_exp_f32_e32 v4, v4
	v_cvt_f32_f16_e32 v19, v1
	v_fma_mix_f32 v28, -v28, s4, v41 op_sel:[1,0,0] op_sel_hi:[1,0,0]
	v_add_f32_e32 v34, v34, v49
	v_cvt_i32_f32_e32 v50, v50
	v_add_co_u32 v5, vcc_lo, s28, v5
	v_add_co_ci_u32_e32 v6, vcc_lo, s29, v6, vcc_lo
	s_delay_alu instid0(TRANS32_DEP_2) | instskip(SKIP_1) | instid1(TRANS32_DEP_1)
	v_ldexp_f32 v2, v2, v36
	v_cmp_ngt_f32_e32 vcc_lo, 0xc2ce8ed0, v37
	v_ldexp_f32 v4, v4, v44
	v_cndmask_b32_e64 v1, v19, v24, s2
	v_fma_mix_f32 v30, -v30, s4, v55 op_sel:[1,0,0] op_sel_hi:[1,0,0]
	v_cvt_i32_f32_e32 v41, v52
	v_cndmask_b32_e32 v2, 0, v2, vcc_lo
	v_cmp_ngt_f32_e32 vcc_lo, 0xc2ce8ed0, v38
	v_cmp_lt_f32_e64 s3, v1, v17
	v_exp_f32_e32 v29, v29
	v_cvt_i32_f32_e32 v43, v54
	v_add_f32_e32 v30, v45, v30
	v_cndmask_b32_e32 v4, 0, v4, vcc_lo
	v_cmp_ngt_f32_e32 vcc_lo, 0xc2ce8ed0, v39
	v_cndmask_b32_e64 v1, v1, v17, s3
	v_cvt_i32_f32_e32 v46, v56
	v_exp_f32_e32 v30, v30
	v_exp_f32_e32 v31, v31
	v_dual_cndmask_b32 v23, 0, v23 :: v_dual_add_f32 v28, v32, v28
	v_exp_f32_e32 v32, v34
	v_cmp_lt_f32_e64 s4, v1, v22
	v_cmp_ngt_f32_e32 vcc_lo, 0xc2ce8ed0, v40
	v_ldexp_f32 v29, v29, v43
	v_exp_f32_e32 v28, v28
	v_cvt_i32_f32_e32 v49, v58
	v_cndmask_b32_e64 v1, v1, v22, s4
	v_ldexp_f32 v30, v30, v46
	s_delay_alu instid0(TRANS32_DEP_2) | instskip(NEXT) | instid1(VALU_DEP_3)
	v_ldexp_f32 v32, v32, v50
	v_cmp_lt_f32_e64 s5, v1, v15
	v_ldexp_f32 v31, v31, v49
	s_delay_alu instid0(TRANS32_DEP_1) | instskip(NEXT) | instid1(VALU_DEP_4)
	v_ldexp_f32 v28, v28, v41
	v_cndmask_b32_e32 v32, 0, v32, vcc_lo
	v_cmp_nlt_f32_e32 vcc_lo, 0x42b17218, v37
	v_cndmask_b32_e64 v1, v1, v15, s5
	v_cndmask_b32_e32 v2, 0x7f800000, v2, vcc_lo
	v_cmp_ngt_f32_e32 vcc_lo, 0xc2ce8ed0, v3
	s_delay_alu instid0(VALU_DEP_3) | instskip(SKIP_2) | instid1(VALU_DEP_3)
	v_cmp_lt_f32_e64 s6, v1, v21
	v_cndmask_b32_e32 v28, 0, v28, vcc_lo
	v_cmp_nlt_f32_e32 vcc_lo, 0x42b17218, v38
	v_cndmask_b32_e64 v1, v1, v21, s6
	v_cndmask_b32_e32 v4, 0x7f800000, v4, vcc_lo
	v_cmp_ngt_f32_e32 vcc_lo, 0xc2ce8ed0, v20
	s_delay_alu instid0(VALU_DEP_3) | instskip(SKIP_2) | instid1(VALU_DEP_3)
	v_cmp_lt_f32_e64 s8, v1, v13
	v_cndmask_b32_e32 v29, 0, v29, vcc_lo
	v_cmp_nlt_f32_e32 vcc_lo, 0x42b17218, v39
	v_cndmask_b32_e64 v1, v1, v13, s8
	v_cndmask_b32_e32 v23, 0x7f800000, v23, vcc_lo
	v_cmp_ngt_f32_e32 vcc_lo, 0xc2ce8ed0, v33
	s_delay_alu instid0(VALU_DEP_3) | instskip(NEXT) | instid1(VALU_DEP_3)
	v_cmp_lt_f32_e64 s7, v1, v18
	v_dual_add_f32 v23, 1.0, v23 :: v_dual_cndmask_b32 v30, 0, v30
	v_cmp_nlt_f32_e32 vcc_lo, 0x42b17218, v40
	s_delay_alu instid0(VALU_DEP_3) | instskip(NEXT) | instid1(VALU_DEP_3)
	v_cndmask_b32_e64 v1, v1, v18, s7
	v_div_scale_f32 v36, null, v23, v23, 1.0
	v_cndmask_b32_e32 v32, 0x7f800000, v32, vcc_lo
	v_cmp_ngt_f32_e32 vcc_lo, 0xc2ce8ed0, v35
	s_delay_alu instid0(VALU_DEP_4) | instskip(NEXT) | instid1(VALU_DEP_4)
	v_cmp_lt_f32_e64 s9, v1, v11
	v_rcp_f32_e32 v46, v36
	v_div_scale_f32 v37, s18, 1.0, v23, 1.0
	v_cndmask_b32_e32 v31, 0, v31, vcc_lo
	v_cmp_nlt_f32_e32 vcc_lo, 0x42b17218, v3
	v_cndmask_b32_e64 v1, v1, v11, s9
	v_cndmask_b32_e32 v3, 0x7f800000, v28, vcc_lo
	v_cmp_nlt_f32_e32 vcc_lo, 0x42b17218, v20
	s_delay_alu instid0(VALU_DEP_3) | instskip(NEXT) | instid1(TRANS32_DEP_1)
	v_cmp_lt_f32_e64 s12, v1, v16
	v_fma_f32 v57, -v36, v46, 1.0
	s_delay_alu instid0(VALU_DEP_4) | instskip(SKIP_1) | instid1(VALU_DEP_4)
	v_dual_add_f32 v3, 1.0, v3 :: v_dual_cndmask_b32 v20, 0x7f800000, v29
	v_cmp_nlt_f32_e32 vcc_lo, 0x42b17218, v33
	v_cndmask_b32_e64 v1, v1, v16, s12
	s_delay_alu instid0(VALU_DEP_4) | instskip(NEXT) | instid1(VALU_DEP_4)
	v_fmac_f32_e32 v46, v57, v46
	v_div_scale_f32 v41, null, v3, v3, 1.0
	v_cndmask_b32_e32 v28, 0x7f800000, v30, vcc_lo
	v_cmp_nlt_f32_e32 vcc_lo, 0x42b17218, v35
	v_add_f32_e32 v30, 1.0, v32
	v_cmp_lt_f32_e64 s15, v1, v9
	v_add_f32_e32 v35, 1.0, v20
	v_dual_add_f32 v38, 1.0, v28 :: v_dual_cndmask_b32 v29, 0x7f800000, v31
	s_delay_alu instid0(VALU_DEP_4) | instskip(NEXT) | instid1(VALU_DEP_4)
	v_div_scale_f32 v28, null, v30, v30, 1.0
	v_cndmask_b32_e64 v1, v1, v9, s15
	v_rcp_f32_e32 v52, v41
	s_delay_alu instid0(VALU_DEP_3) | instskip(NEXT) | instid1(VALU_DEP_3)
	v_add_f32_e32 v40, 1.0, v29
	v_rcp_f32_e32 v49, v28
	v_div_scale_f32 v44, null, v35, v35, 1.0
	v_cmp_lt_f32_e64 s16, v1, v14
	s_delay_alu instid0(VALU_DEP_3) | instskip(SKIP_1) | instid1(VALU_DEP_3)
	v_div_scale_f32 v50, null, v40, v40, 1.0
	v_div_scale_f32 v47, null, v38, v38, 1.0
	v_cndmask_b32_e64 v1, v1, v14, s16
	s_delay_alu instid0(VALU_DEP_3) | instskip(NEXT) | instid1(TRANS32_DEP_2)
	v_rcp_f32_e32 v55, v50
	v_fma_f32 v58, -v28, v49, 1.0
	v_rcp_f32_e32 v53, v44
	v_rcp_f32_e32 v54, v47
	v_cmp_lt_f32_e64 s13, v1, v8
	v_div_scale_f32 v42, s20, 1.0, v3, 1.0
	v_fmac_f32_e32 v49, v58, v49
	v_div_scale_f32 v45, s21, 1.0, v35, 1.0
	s_delay_alu instid0(TRANS32_DEP_3) | instskip(SKIP_2) | instid1(TRANS32_DEP_1)
	v_fma_f32 v58, -v50, v55, 1.0
	v_add_f32_e32 v2, 1.0, v2
	v_cndmask_b32_e64 v1, v1, v8, s13
	v_fma_f32 v57, -v47, v54, 1.0
	v_div_scale_f32 v39, s19, 1.0, v30, 1.0
	v_fmac_f32_e32 v55, v58, v55
	v_div_scale_f32 v31, null, v2, v2, 1.0
	v_cmp_lt_f32_e64 s10, v1, v12
	v_div_scale_f32 v32, vcc_lo, 1.0, v2, 1.0
	s_delay_alu instid0(VALU_DEP_3) | instskip(SKIP_1) | instid1(VALU_DEP_3)
	v_rcp_f32_e32 v29, v31
	v_div_scale_f32 v48, s22, 1.0, v38, 1.0
	v_cndmask_b32_e64 v1, v1, v12, s10
	v_fmac_f32_e32 v54, v57, v54
	v_div_scale_f32 v51, s23, 1.0, v40, 1.0
	v_mul_f32_e32 v57, v39, v49
	s_delay_alu instid0(VALU_DEP_4) | instskip(NEXT) | instid1(VALU_DEP_4)
	v_cmp_lt_f32_e64 s11, v1, v7
	v_mul_f32_e32 v64, v48, v54
	s_delay_alu instid0(TRANS32_DEP_1) | instskip(SKIP_3) | instid1(VALU_DEP_4)
	v_fma_f32 v20, -v31, v29, 1.0
	v_mul_f32_e32 v66, v51, v55
	v_fma_f32 v65, -v28, v57, v39
	v_cndmask_b32_e64 v1, v1, v7, s11
	v_fmac_f32_e32 v29, v20, v29
	v_fma_f32 v20, -v41, v52, 1.0
	s_delay_alu instid0(VALU_DEP_4) | instskip(NEXT) | instid1(VALU_DEP_4)
	v_fmac_f32_e32 v57, v65, v49
	v_cmp_lt_f32_e64 s14, v1, v10
	v_fma_f32 v65, -v50, v66, v51
	v_mul_f32_e32 v59, v32, v29
	v_fmac_f32_e32 v52, v20, v52
	v_fma_f32 v28, -v28, v57, v39
	v_cndmask_b32_e64 v20, v1, v10, s14
	v_fmac_f32_e32 v66, v65, v55
	v_fma_f32 v1, -v31, v59, v32
	v_add_f32_e32 v4, 1.0, v4
	s_delay_alu instid0(VALU_DEP_2) | instskip(NEXT) | instid1(VALU_DEP_2)
	v_dual_mul_f32 v58, v42, v52 :: v_dual_fmac_f32 v59, v1, v29
	v_div_scale_f32 v33, null, v4, v4, 1.0
	v_div_scale_f32 v34, s17, 1.0, v4, 1.0
	s_delay_alu instid0(VALU_DEP_3) | instskip(NEXT) | instid1(VALU_DEP_3)
	v_fma_f32 v1, -v41, v58, v42
	v_rcp_f32_e32 v43, v33
	v_fma_f32 v31, -v31, v59, v32
	s_delay_alu instid0(VALU_DEP_2) | instskip(NEXT) | instid1(VALU_DEP_2)
	v_fmac_f32_e32 v58, v1, v52
	v_div_fmas_f32 v1, v31, v29, v59
	s_mov_b32 vcc_lo, s20
	s_delay_alu instid0(VALU_DEP_2) | instskip(SKIP_4) | instid1(VALU_DEP_3)
	v_fma_f32 v29, -v41, v58, v42
	s_waitcnt_depctr 0xfff
	v_fma_f32 v56, -v33, v43, 1.0
	v_div_fixup_f32 v1, v1, v2, 1.0
	v_div_fmas_f32 v2, v29, v52, v58
	v_fmac_f32_e32 v43, v56, v43
	v_fma_f32 v56, -v44, v53, 1.0
	s_mov_b32 vcc_lo, s17
	s_cselect_b32 s17, -1, 0
	v_div_fixup_f32 v2, v2, v3, 1.0
	s_delay_alu instid0(VALU_DEP_2) | instskip(SKIP_2) | instid1(VALU_DEP_2)
	v_dual_mul_f32 v60, v34, v43 :: v_dual_fmac_f32 v53, v56, v53
	v_mul_f32_e32 v56, v37, v46
	s_cmp_lt_i32 s24, 1
	v_fma_f32 v61, -v33, v60, v34
	s_delay_alu instid0(VALU_DEP_3) | instskip(NEXT) | instid1(VALU_DEP_3)
	v_mul_f32_e32 v62, v45, v53
	v_fma_f32 v63, -v36, v56, v37
	s_delay_alu instid0(VALU_DEP_3) | instskip(NEXT) | instid1(VALU_DEP_3)
	v_fmac_f32_e32 v60, v61, v43
	v_fma_f32 v61, -v44, v62, v45
	s_delay_alu instid0(VALU_DEP_3) | instskip(SKIP_1) | instid1(VALU_DEP_4)
	v_fmac_f32_e32 v56, v63, v46
	v_fma_f32 v63, -v47, v64, v48
	v_fma_f32 v32, -v33, v60, v34
	s_delay_alu instid0(VALU_DEP_4) | instskip(NEXT) | instid1(VALU_DEP_4)
	v_fmac_f32_e32 v62, v61, v53
	v_fma_f32 v33, -v36, v56, v37
	s_delay_alu instid0(VALU_DEP_4)
	v_fmac_f32_e32 v64, v63, v54
	v_fma_f32 v36, -v50, v66, v51
	v_div_fmas_f32 v29, v32, v43, v60
	v_fma_f32 v31, -v44, v62, v45
	s_mov_b32 vcc_lo, s21
	v_fma_f32 v34, -v47, v64, v48
	s_delay_alu instid0(VALU_DEP_3) | instskip(NEXT) | instid1(VALU_DEP_3)
	v_div_fixup_f32 v3, v29, v4, 1.0
	v_div_fmas_f32 v31, v31, v53, v62
	s_mov_b32 vcc_lo, s18
	v_div_fmas_f32 v32, v33, v46, v56
	s_mov_b32 vcc_lo, s22
	s_delay_alu instid0(VALU_DEP_2)
	v_div_fixup_f32 v4, v31, v35, 1.0
	v_div_fmas_f32 v29, v34, v54, v64
	s_mov_b32 vcc_lo, s19
	v_div_fmas_f32 v33, v28, v49, v57
	s_mov_b32 vcc_lo, s23
	v_div_fixup_f32 v28, v32, v23, 1.0
	v_div_fmas_f32 v34, v36, v55, v66
	v_mov_b32_e32 v23, 0
	v_div_fixup_f32 v29, v29, v38, 1.0
	v_div_fixup_f32 v30, v33, v30, 1.0
	s_delay_alu instid0(VALU_DEP_4)
	v_div_fixup_f32 v31, v34, v40, 1.0
	s_clause 0x1
	global_store_b128 v[5:6], v[1:4], off
	global_store_b128 v[5:6], v[28:31], off offset:16
	s_cbranch_scc1 .LBB155_8
; %bb.5:
	v_cndmask_b32_e64 v1, 0, 1, s2
	v_sub_f32_e32 v23, v20, v20
	v_mul_lo_u32 v2, v27, s30
	v_mul_lo_u32 v28, v27, s24
	s_delay_alu instid0(VALU_DEP_4) | instskip(NEXT) | instid1(VALU_DEP_4)
	v_cndmask_b32_e64 v1, v1, 2, s3
	v_mul_f32_e32 v3, 0x3fb8aa3b, v23
	s_delay_alu instid0(VALU_DEP_2) | instskip(NEXT) | instid1(VALU_DEP_2)
	v_cndmask_b32_e64 v1, v1, 3, s4
	v_rndne_f32_e32 v4, v3
	v_fma_f32 v5, 0x3fb8aa3b, v23, -v3
	s_delay_alu instid0(VALU_DEP_3) | instskip(NEXT) | instid1(VALU_DEP_3)
	v_cndmask_b32_e64 v1, v1, 4, s5
	v_sub_f32_e32 v3, v3, v4
	s_delay_alu instid0(VALU_DEP_3) | instskip(SKIP_1) | instid1(VALU_DEP_4)
	v_fmac_f32_e32 v5, 0x32a5705f, v23
	v_cvt_i32_f32_e32 v32, v4
	v_cndmask_b32_e64 v1, v1, 5, s6
	s_delay_alu instid0(VALU_DEP_3) | instskip(SKIP_1) | instid1(VALU_DEP_3)
	v_add_f32_e32 v30, v3, v5
	v_ashrrev_i32_e32 v3, 31, v2
	v_cndmask_b32_e64 v1, v1, 6, s8
	s_delay_alu instid0(VALU_DEP_3) | instskip(NEXT) | instid1(VALU_DEP_1)
	v_exp_f32_e32 v30, v30
	v_cndmask_b32_e64 v1, v1, 7, s7
	s_load_b128 s[4:7], s[0:1], 0x20
	s_delay_alu instid0(VALU_DEP_1) | instskip(SKIP_3) | instid1(VALU_DEP_1)
	v_cndmask_b32_e64 v1, v1, 8, s9
	s_waitcnt_depctr 0xfff
	v_ldexp_f32 v30, v30, v32
	v_cndmask_b32_e64 v1, v1, 9, s12
	v_cndmask_b32_e64 v6, v1, 10, s15
	v_ashrrev_i32_e32 v1, 31, v0
	s_delay_alu instid0(VALU_DEP_2) | instskip(NEXT) | instid1(VALU_DEP_2)
	v_cndmask_b32_e64 v29, v6, 11, s16
	v_lshlrev_b64 v[5:6], 2, v[0:1]
	v_lshlrev_b64 v[1:2], 2, v[2:3]
	s_delay_alu instid0(VALU_DEP_3) | instskip(SKIP_1) | instid1(VALU_DEP_4)
	v_cndmask_b32_e64 v31, v29, 12, s13
	v_ashrrev_i32_e32 v29, 31, v28
	v_add_co_u32 v5, vcc_lo, s28, v5
	v_add_co_ci_u32_e32 v6, vcc_lo, s29, v6, vcc_lo
	s_delay_alu instid0(VALU_DEP_4) | instskip(NEXT) | instid1(VALU_DEP_4)
	v_cndmask_b32_e64 v31, v31, 13, s10
	v_lshlrev_b64 v[3:4], 2, v[28:29]
	s_waitcnt lgkmcnt(0)
	v_add_co_u32 v28, vcc_lo, s4, v1
	v_add_co_ci_u32_e32 v29, vcc_lo, s5, v2, vcc_lo
	v_cndmask_b32_e64 v31, v31, 14, s11
	v_cmp_ngt_f32_e32 vcc_lo, 0xc2ce8ed0, v23
	s_delay_alu instid0(VALU_DEP_2) | instskip(SKIP_3) | instid1(VALU_DEP_4)
	v_cndmask_b32_e64 v33, v31, 15, s14
	v_cndmask_b32_e32 v32, 0, v30, vcc_lo
	v_add_co_u32 v30, vcc_lo, s6, v3
	v_add_co_ci_u32_e32 v31, vcc_lo, s7, v4, vcc_lo
	v_cmp_ne_u32_e64 s1, 15, v33
	v_cmp_nlt_f32_e32 vcc_lo, 0x42b17218, v23
	v_cmp_gt_i32_e64 s0, s26, v33
	s_delay_alu instid0(VALU_DEP_3) | instskip(SKIP_4) | instid1(VALU_DEP_4)
	v_cndmask_b32_e64 v10, 0xff800000, v10, s1
	v_cmp_ne_u32_e64 s1, 14, v33
	v_cndmask_b32_e32 v23, 0x7f800000, v32, vcc_lo
	v_cmp_le_i32_e32 vcc_lo, s25, v33
	v_subrev_nc_u32_e32 v32, s25, v33
	v_cndmask_b32_e64 v7, 0xff800000, v7, s1
	v_cmp_ne_u32_e64 s1, 13, v33
	s_and_b32 s0, vcc_lo, s0
	v_cmp_ne_u32_e32 vcc_lo, 3, v33
	global_store_b32 v[5:6], v23, off
	v_cndmask_b32_e64 v12, 0xff800000, v12, s1
	v_cmp_ne_u32_e64 s1, 12, v33
	v_cndmask_b32_e32 v22, 0xff800000, v22, vcc_lo
	s_and_b32 vcc_lo, s34, s0
	s_cmp_eq_u32 s24, 1
	v_cndmask_b32_e32 v32, 16, v32, vcc_lo
	v_cndmask_b32_e64 v8, 0xff800000, v8, s1
	v_cmp_ne_u32_e64 s1, 11, v33
	v_cmp_ne_u32_e32 vcc_lo, 2, v33
	global_store_b32 v[28:29], v32, off
	global_store_b32 v[30:31], v27, off
	v_cndmask_b32_e64 v14, 0xff800000, v14, s1
	v_cmp_ne_u32_e64 s1, 10, v33
	v_cndmask_b32_e32 v17, 0xff800000, v17, vcc_lo
	v_cmp_ne_u32_e32 vcc_lo, 1, v33
	s_delay_alu instid0(VALU_DEP_3) | instskip(SKIP_3) | instid1(VALU_DEP_3)
	v_cndmask_b32_e64 v9, 0xff800000, v9, s1
	v_cmp_ne_u32_e64 s1, 9, v33
	v_cndmask_b32_e32 v24, 0xff800000, v24, vcc_lo
	v_cmp_ne_u32_e32 vcc_lo, 0, v33
	v_cndmask_b32_e64 v16, 0xff800000, v16, s1
	v_cmp_ne_u32_e64 s1, 8, v33
	v_cndmask_b32_e32 v19, 0xff800000, v19, vcc_lo
	s_delay_alu instid0(VALU_DEP_2) | instskip(SKIP_1) | instid1(VALU_DEP_1)
	v_cndmask_b32_e64 v11, 0xff800000, v11, s1
	v_cmp_ne_u32_e64 s1, 7, v33
	v_cndmask_b32_e64 v18, 0xff800000, v18, s1
	v_cmp_ne_u32_e64 s1, 6, v33
	s_delay_alu instid0(VALU_DEP_1) | instskip(SKIP_1) | instid1(VALU_DEP_1)
	v_cndmask_b32_e64 v13, 0xff800000, v13, s1
	v_cmp_ne_u32_e64 s1, 5, v33
	v_cndmask_b32_e64 v21, 0xff800000, v21, s1
	v_cmp_ne_u32_e64 s1, 4, v33
	s_delay_alu instid0(VALU_DEP_1)
	v_cndmask_b32_e64 v15, 0xff800000, v15, s1
	s_cbranch_scc1 .LBB155_8
; %bb.6:
	v_add_co_u32 v3, vcc_lo, v3, s6
	v_add_co_ci_u32_e32 v4, vcc_lo, s7, v4, vcc_lo
	v_add_co_u32 v27, vcc_lo, v1, s4
	v_add_co_ci_u32_e32 v28, vcc_lo, s5, v2, vcc_lo
	s_delay_alu instid0(VALU_DEP_4) | instskip(NEXT) | instid1(VALU_DEP_4)
	v_add_co_u32 v1, vcc_lo, v3, 4
	v_add_co_ci_u32_e32 v2, vcc_lo, 0, v4, vcc_lo
	s_delay_alu instid0(VALU_DEP_4) | instskip(NEXT) | instid1(VALU_DEP_4)
	v_add_co_u32 v3, vcc_lo, v27, 4
	v_add_co_ci_u32_e32 v4, vcc_lo, 0, v28, vcc_lo
	s_add_i32 s35, s35, s33
	v_add_co_u32 v5, vcc_lo, v5, 4
	v_add_co_ci_u32_e32 v6, vcc_lo, 0, v6, vcc_lo
	v_add3_u32 v25, s35, v26, v25
	s_add_i32 s2, s24, -1
.LBB155_7:                              ; =>This Inner Loop Header: Depth=1
	v_cmp_gt_f32_e32 vcc_lo, v24, v19
	s_add_i32 s2, s2, -1
	v_cndmask_b32_e32 v26, v19, v24, vcc_lo
	v_cndmask_b32_e64 v27, 0, 1, vcc_lo
	s_delay_alu instid0(VALU_DEP_2) | instskip(SKIP_1) | instid1(VALU_DEP_3)
	v_cmp_gt_f32_e32 vcc_lo, v17, v26
	v_cndmask_b32_e32 v26, v26, v17, vcc_lo
	v_cndmask_b32_e64 v27, v27, 2, vcc_lo
	s_delay_alu instid0(VALU_DEP_2) | instskip(SKIP_1) | instid1(VALU_DEP_3)
	v_cmp_gt_f32_e32 vcc_lo, v22, v26
	;; [unrolled: 4-line block ×13, first 2 shown]
	v_cndmask_b32_e32 v26, v26, v7, vcc_lo
	v_cndmask_b32_e64 v27, v27, 14, vcc_lo
	s_delay_alu instid0(VALU_DEP_2) | instskip(NEXT) | instid1(VALU_DEP_2)
	v_cmp_gt_f32_e32 vcc_lo, v10, v26
	v_cndmask_b32_e64 v27, v27, 15, vcc_lo
	v_cndmask_b32_e32 v26, v26, v10, vcc_lo
	s_delay_alu instid0(VALU_DEP_2) | instskip(NEXT) | instid1(VALU_DEP_2)
	v_cmp_ne_u32_e64 s1, 15, v27
	v_sub_f32_e32 v26, v26, v20
	v_cmp_le_i32_e32 vcc_lo, s25, v27
	v_cmp_gt_i32_e64 s0, s26, v27
	v_subrev_nc_u32_e32 v29, s25, v27
	v_cndmask_b32_e64 v10, 0xff800000, v10, s1
	v_cmp_ne_u32_e64 s1, 14, v27
	v_mul_f32_e32 v28, 0x3fb8aa3b, v26
	s_and_b32 s0, vcc_lo, s0
	s_delay_alu instid0(SALU_CYCLE_1) | instskip(NEXT) | instid1(VALU_DEP_2)
	s_and_b32 vcc_lo, s34, s0
	v_cndmask_b32_e64 v7, 0xff800000, v7, s1
	v_cmp_ne_u32_e64 s1, 13, v27
	v_rndne_f32_e32 v30, v28
	v_cndmask_b32_e32 v29, 16, v29, vcc_lo
	global_store_b32 v[3:4], v29, off
	global_store_b32 v[1:2], v25, off
	v_cndmask_b32_e64 v12, 0xff800000, v12, s1
	v_cmp_ne_u32_e64 s1, 12, v27
	v_add_co_u32 v1, vcc_lo, v1, 4
	v_add_co_ci_u32_e32 v2, vcc_lo, 0, v2, vcc_lo
	s_delay_alu instid0(VALU_DEP_3) | instskip(SKIP_3) | instid1(VALU_DEP_3)
	v_cndmask_b32_e64 v8, 0xff800000, v8, s1
	v_cmp_ne_u32_e64 s1, 11, v27
	v_add_co_u32 v3, vcc_lo, v3, 4
	v_add_co_ci_u32_e32 v4, vcc_lo, 0, v4, vcc_lo
	v_cndmask_b32_e64 v14, 0xff800000, v14, s1
	v_cmp_ne_u32_e64 s1, 10, v27
	v_cmp_ngt_f32_e32 vcc_lo, 0xc2ce8ed0, v26
	v_add_nc_u32_e32 v25, s33, v25
	s_cmp_eq_u32 s2, 0
	s_delay_alu instid0(VALU_DEP_3) | instskip(SKIP_1) | instid1(VALU_DEP_1)
	v_cndmask_b32_e64 v9, 0xff800000, v9, s1
	v_cmp_ne_u32_e64 s1, 9, v27
	v_cndmask_b32_e64 v16, 0xff800000, v16, s1
	v_cmp_ne_u32_e64 s1, 8, v27
	s_delay_alu instid0(VALU_DEP_1) | instskip(SKIP_1) | instid1(VALU_DEP_1)
	v_cndmask_b32_e64 v11, 0xff800000, v11, s1
	v_cmp_ne_u32_e64 s1, 7, v27
	v_cndmask_b32_e64 v18, 0xff800000, v18, s1
	v_cmp_ne_u32_e64 s1, 6, v27
	s_delay_alu instid0(VALU_DEP_1) | instskip(SKIP_1) | instid1(VALU_DEP_1)
	;; [unrolled: 5-line block ×4, first 2 shown]
	v_cndmask_b32_e64 v17, 0xff800000, v17, s1
	v_cmp_ne_u32_e64 s1, 1, v27
	v_cndmask_b32_e64 v24, 0xff800000, v24, s1
	v_cmp_ne_u32_e64 s1, 0, v27
	v_fma_f32 v27, 0x3fb8aa3b, v26, -v28
	v_sub_f32_e32 v28, v28, v30
	v_cvt_i32_f32_e32 v30, v30
	s_delay_alu instid0(VALU_DEP_4) | instskip(NEXT) | instid1(VALU_DEP_4)
	v_cndmask_b32_e64 v19, 0xff800000, v19, s1
	v_fmac_f32_e32 v27, 0x32a5705f, v26
	s_delay_alu instid0(VALU_DEP_1) | instskip(NEXT) | instid1(VALU_DEP_1)
	v_add_f32_e32 v27, v28, v27
	v_exp_f32_e32 v27, v27
	s_waitcnt_depctr 0xfff
	v_ldexp_f32 v27, v27, v30
	s_delay_alu instid0(VALU_DEP_1) | instskip(SKIP_1) | instid1(VALU_DEP_2)
	v_cndmask_b32_e32 v27, 0, v27, vcc_lo
	v_cmp_nlt_f32_e32 vcc_lo, 0x42b17218, v26
	v_cndmask_b32_e32 v26, 0x7f800000, v27, vcc_lo
	global_store_b32 v[5:6], v26, off
	v_add_co_u32 v5, vcc_lo, v5, 4
	v_add_f32_e32 v23, v23, v26
	v_add_co_ci_u32_e32 v6, vcc_lo, 0, v6, vcc_lo
	s_cbranch_scc0 .LBB155_7
.LBB155_8:
	v_sub_f32_e32 v2, v24, v20
	v_sub_f32_e32 v4, v17, v20
	;; [unrolled: 1-line block ×5, first 2 shown]
	v_mul_f32_e32 v5, 0x3fb8aa3b, v2
	v_sub_f32_e32 v9, v9, v20
	v_sub_f32_e32 v7, v7, v20
	;; [unrolled: 1-line block ×4, first 2 shown]
	v_fma_f32 v22, 0x3fb8aa3b, v2, -v5
	v_sub_f32_e32 v1, v19, v20
	v_rndne_f32_e32 v24, v5
	s_delay_alu instid0(VALU_DEP_3) | instskip(NEXT) | instid1(VALU_DEP_3)
	v_fmac_f32_e32 v22, 0x32a5705f, v2
	v_mul_f32_e32 v3, 0x3fb8aa3b, v1
	v_cmp_ngt_f32_e32 vcc_lo, 0xc2ce8ed0, v1
	s_delay_alu instid0(VALU_DEP_2) | instskip(SKIP_1) | instid1(VALU_DEP_2)
	v_fma_f32 v17, 0x3fb8aa3b, v1, -v3
	v_rndne_f32_e32 v19, v3
	v_fmac_f32_e32 v17, 0x32a5705f, v1
	v_dual_sub_f32 v15, v15, v20 :: v_dual_mul_f32 v26, 0x3fb8aa3b, v6
	s_delay_alu instid0(VALU_DEP_1) | instskip(NEXT) | instid1(VALU_DEP_2)
	v_mul_f32_e32 v27, 0x3fb8aa3b, v15
	v_fma_f32 v28, 0x3fb8aa3b, v6, -v26
	v_sub_f32_e32 v3, v3, v19
	v_sub_f32_e32 v5, v5, v24
	v_cvt_i32_f32_e32 v19, v19
	v_cvt_i32_f32_e32 v24, v24
	s_delay_alu instid0(VALU_DEP_4) | instskip(NEXT) | instid1(VALU_DEP_4)
	v_dual_fmac_f32 v28, 0x32a5705f, v6 :: v_dual_add_f32 v3, v3, v17
	v_add_f32_e32 v5, v5, v22
	v_rndne_f32_e32 v29, v26
	s_delay_alu instid0(VALU_DEP_3) | instskip(NEXT) | instid1(VALU_DEP_2)
	v_exp_f32_e32 v3, v3
	v_exp_f32_e32 v5, v5
	s_waitcnt_depctr 0xfff
	v_ldexp_f32 v3, v3, v19
	v_ldexp_f32 v5, v5, v24
	v_sub_f32_e32 v19, v26, v29
	s_delay_alu instid0(VALU_DEP_3) | instskip(SKIP_1) | instid1(VALU_DEP_4)
	v_cndmask_b32_e32 v3, 0, v3, vcc_lo
	v_cmp_ngt_f32_e32 vcc_lo, 0xc2ce8ed0, v2
	v_cndmask_b32_e32 v5, 0, v5, vcc_lo
	v_cmp_nlt_f32_e32 vcc_lo, 0x42b17218, v1
	s_delay_alu instid0(VALU_DEP_4) | instskip(SKIP_1) | instid1(VALU_DEP_4)
	v_cndmask_b32_e32 v1, 0x7f800000, v3, vcc_lo
	v_cmp_nlt_f32_e32 vcc_lo, 0x42b17218, v2
	v_dual_add_f32 v19, v19, v28 :: v_dual_cndmask_b32 v2, 0x7f800000, v5
	v_cmp_ngt_f32_e32 vcc_lo, 0xc2ce8ed0, v4
	v_mul_f32_e32 v25, 0x3fb8aa3b, v4
	s_delay_alu instid0(VALU_DEP_3) | instskip(NEXT) | instid1(VALU_DEP_3)
	v_exp_f32_e32 v19, v19
	v_add_f32_e32 v1, v1, v2
	s_delay_alu instid0(VALU_DEP_2) | instskip(SKIP_1) | instid1(VALU_DEP_2)
	v_fma_f32 v17, 0x3fb8aa3b, v4, -v25
	v_rndne_f32_e32 v22, v25
	v_fmac_f32_e32 v17, 0x32a5705f, v4
	s_delay_alu instid0(VALU_DEP_2) | instskip(SKIP_1) | instid1(VALU_DEP_2)
	v_sub_f32_e32 v25, v25, v22
	v_cvt_i32_f32_e32 v22, v22
	v_add_f32_e32 v17, v25, v17
	s_delay_alu instid0(VALU_DEP_1) | instskip(SKIP_2) | instid1(VALU_DEP_1)
	v_exp_f32_e32 v17, v17
	s_waitcnt_depctr 0xfff
	v_ldexp_f32 v5, v17, v22
	v_cndmask_b32_e32 v2, 0, v5, vcc_lo
	v_cvt_i32_f32_e32 v5, v29
	v_cmp_nlt_f32_e32 vcc_lo, 0x42b17218, v4
	s_delay_alu instid0(VALU_DEP_2) | instskip(NEXT) | instid1(VALU_DEP_4)
	v_ldexp_f32 v4, v19, v5
	v_cndmask_b32_e32 v2, 0x7f800000, v2, vcc_lo
	v_cmp_ngt_f32_e32 vcc_lo, 0xc2ce8ed0, v6
	v_mul_f32_e32 v5, 0x3fb8aa3b, v21
	s_delay_alu instid0(VALU_DEP_3) | instskip(SKIP_2) | instid1(VALU_DEP_4)
	v_dual_add_f32 v1, v1, v2 :: v_dual_cndmask_b32 v2, 0, v4
	v_fma_f32 v3, 0x3fb8aa3b, v15, -v27
	v_rndne_f32_e32 v17, v27
	v_fma_f32 v4, 0x3fb8aa3b, v21, -v5
	v_rndne_f32_e32 v19, v5
	v_cmp_nlt_f32_e32 vcc_lo, 0x42b17218, v6
	s_delay_alu instid0(VALU_DEP_4) | instskip(SKIP_3) | instid1(VALU_DEP_4)
	v_dual_fmac_f32 v3, 0x32a5705f, v15 :: v_dual_sub_f32 v22, v27, v17
	v_cvt_i32_f32_e32 v6, v17
	v_fmac_f32_e32 v4, 0x32a5705f, v21
	v_dual_cndmask_b32 v2, 0x7f800000, v2 :: v_dual_sub_f32 v5, v5, v19
	v_add_f32_e32 v3, v22, v3
	v_mul_f32_e32 v17, 0x3fb8aa3b, v13
	v_cmp_ngt_f32_e32 vcc_lo, 0xc2ce8ed0, v15
	s_delay_alu instid0(VALU_DEP_4) | instskip(NEXT) | instid1(VALU_DEP_4)
	v_add_f32_e32 v1, v1, v2
	v_exp_f32_e32 v3, v3
	s_waitcnt_depctr 0xfff
	v_ldexp_f32 v2, v3, v6
	v_add_f32_e32 v3, v5, v4
	v_fma_f32 v4, 0x3fb8aa3b, v13, -v17
	v_rndne_f32_e32 v5, v17
	s_delay_alu instid0(VALU_DEP_4) | instskip(NEXT) | instid1(VALU_DEP_4)
	v_cndmask_b32_e32 v2, 0, v2, vcc_lo
	v_exp_f32_e32 v3, v3
	s_delay_alu instid0(VALU_DEP_3) | instskip(NEXT) | instid1(VALU_DEP_3)
	v_fmac_f32_e32 v4, 0x32a5705f, v13
	v_dual_sub_f32 v6, v17, v5 :: v_dual_sub_f32 v17, v18, v20
	v_cmp_nlt_f32_e32 vcc_lo, 0x42b17218, v15
	v_cvt_i32_f32_e32 v15, v19
	v_cvt_i32_f32_e32 v5, v5
	s_delay_alu instid0(VALU_DEP_4) | instskip(SKIP_3) | instid1(VALU_DEP_2)
	v_add_f32_e32 v4, v6, v4
	v_mul_f32_e32 v6, 0x3fb8aa3b, v17
	v_cndmask_b32_e32 v2, 0x7f800000, v2, vcc_lo
	v_mul_f32_e32 v18, 0x3fb8aa3b, v14
	v_add_f32_e32 v1, v1, v2
	v_ldexp_f32 v2, v3, v15
	v_exp_f32_e32 v3, v4
	v_fma_f32 v4, 0x3fb8aa3b, v17, -v6
	v_rndne_f32_e32 v15, v6
	s_delay_alu instid0(VALU_DEP_2) | instskip(SKIP_1) | instid1(VALU_DEP_3)
	v_fmac_f32_e32 v4, 0x32a5705f, v17
	v_cmp_ngt_f32_e32 vcc_lo, 0xc2ce8ed0, v21
	v_sub_f32_e32 v6, v6, v15
	s_waitcnt_depctr 0xfff
	v_ldexp_f32 v3, v3, v5
	v_cndmask_b32_e32 v2, 0, v2, vcc_lo
	v_cmp_nlt_f32_e32 vcc_lo, 0x42b17218, v21
	v_add_f32_e32 v4, v6, v4
	v_sub_f32_e32 v6, v16, v20
	v_sub_f32_e32 v5, v11, v20
	v_cvt_i32_f32_e32 v11, v15
	v_cndmask_b32_e32 v2, 0x7f800000, v2, vcc_lo
	v_cmp_ngt_f32_e32 vcc_lo, 0xc2ce8ed0, v13
	v_mul_f32_e32 v16, 0x3fb8aa3b, v6
	s_delay_alu instid0(VALU_DEP_3) | instskip(SKIP_3) | instid1(VALU_DEP_2)
	v_dual_add_f32 v1, v1, v2 :: v_dual_cndmask_b32 v2, 0, v3
	v_exp_f32_e32 v3, v4
	v_mul_f32_e32 v4, 0x3fb8aa3b, v5
	v_cmp_nlt_f32_e32 vcc_lo, 0x42b17218, v13
	v_rndne_f32_e32 v15, v4
	v_cndmask_b32_e32 v2, 0x7f800000, v2, vcc_lo
	v_cmp_ngt_f32_e32 vcc_lo, 0xc2ce8ed0, v17
	v_fma_f32 v13, 0x3fb8aa3b, v5, -v4
	s_delay_alu instid0(VALU_DEP_3) | instskip(NEXT) | instid1(TRANS32_DEP_1)
	v_add_f32_e32 v1, v1, v2
	v_ldexp_f32 v2, v3, v11
	v_rndne_f32_e32 v11, v16
	s_delay_alu instid0(VALU_DEP_2)
	v_cndmask_b32_e32 v2, 0, v2, vcc_lo
	v_cmp_nlt_f32_e32 vcc_lo, 0x42b17218, v17
	v_sub_f32_e32 v3, v4, v15
	v_fma_f32 v4, 0x3fb8aa3b, v6, -v16
	v_cvt_i32_f32_e32 v15, v15
	v_cndmask_b32_e32 v2, 0x7f800000, v2, vcc_lo
	s_delay_alu instid0(VALU_DEP_3) | instskip(SKIP_2) | instid1(VALU_DEP_4)
	v_fmac_f32_e32 v4, 0x32a5705f, v6
	v_cmp_ngt_f32_e32 vcc_lo, 0xc2ce8ed0, v5
	v_fmac_f32_e32 v13, 0x32a5705f, v5
	v_add_f32_e32 v1, v1, v2
	s_delay_alu instid0(VALU_DEP_2) | instskip(SKIP_1) | instid1(VALU_DEP_1)
	v_add_f32_e32 v3, v3, v13
	v_dual_sub_f32 v13, v16, v11 :: v_dual_mul_f32 v16, 0x3fb8aa3b, v9
	v_add_f32_e32 v4, v13, v4
	s_delay_alu instid0(VALU_DEP_3) | instskip(NEXT) | instid1(VALU_DEP_2)
	v_exp_f32_e32 v3, v3
	v_fma_f32 v13, 0x3fb8aa3b, v9, -v16
	v_rndne_f32_e32 v17, v16
	s_delay_alu instid0(VALU_DEP_3) | instskip(NEXT) | instid1(VALU_DEP_1)
	v_exp_f32_e32 v4, v4
	v_sub_f32_e32 v16, v16, v17
	s_waitcnt_depctr 0xfff
	v_ldexp_f32 v2, v3, v15
	v_cvt_i32_f32_e32 v3, v11
	v_rndne_f32_e32 v15, v18
	s_delay_alu instid0(VALU_DEP_3) | instskip(SKIP_1) | instid1(VALU_DEP_4)
	v_cndmask_b32_e32 v2, 0, v2, vcc_lo
	v_cmp_nlt_f32_e32 vcc_lo, 0x42b17218, v5
	v_ldexp_f32 v3, v4, v3
	v_cvt_i32_f32_e32 v5, v17
	s_delay_alu instid0(VALU_DEP_4) | instskip(SKIP_1) | instid1(VALU_DEP_2)
	v_cndmask_b32_e32 v2, 0x7f800000, v2, vcc_lo
	v_cmp_ngt_f32_e32 vcc_lo, 0xc2ce8ed0, v6
	v_add_f32_e32 v1, v1, v2
	v_cndmask_b32_e32 v3, 0, v3, vcc_lo
	v_cmp_nlt_f32_e32 vcc_lo, 0x42b17218, v6
	s_delay_alu instid0(VALU_DEP_2) | instskip(SKIP_2) | instid1(VALU_DEP_3)
	v_cndmask_b32_e32 v3, 0x7f800000, v3, vcc_lo
	v_cmp_ngt_f32_e32 vcc_lo, 0xc2ce8ed0, v9
	v_fmac_f32_e32 v13, 0x32a5705f, v9
	v_add_f32_e32 v1, v1, v3
	v_cvt_i32_f32_e32 v3, v15
	s_delay_alu instid0(VALU_DEP_3) | instskip(SKIP_1) | instid1(VALU_DEP_2)
	v_add_f32_e32 v11, v16, v13
	v_fma_f32 v13, 0x3fb8aa3b, v14, -v18
	v_exp_f32_e32 v4, v11
	v_sub_f32_e32 v11, v18, v15
	s_waitcnt_depctr 0xfff
	v_ldexp_f32 v2, v4, v5
	v_sub_f32_e32 v5, v8, v20
	v_sub_f32_e32 v8, v12, v20
	s_delay_alu instid0(VALU_DEP_3) | instskip(SKIP_1) | instid1(VALU_DEP_3)
	v_cndmask_b32_e32 v2, 0, v2, vcc_lo
	v_cmp_nlt_f32_e32 vcc_lo, 0x42b17218, v9
	v_dual_mul_f32 v6, 0x3fb8aa3b, v5 :: v_dual_mul_f32 v9, 0x3fb8aa3b, v8
	s_delay_alu instid0(VALU_DEP_3) | instskip(SKIP_1) | instid1(VALU_DEP_2)
	v_cndmask_b32_e32 v2, 0x7f800000, v2, vcc_lo
	v_cmp_ngt_f32_e32 vcc_lo, 0xc2ce8ed0, v14
	v_add_f32_e32 v1, v1, v2
	s_delay_alu instid0(VALU_DEP_4) | instskip(NEXT) | instid1(VALU_DEP_1)
	v_fma_f32 v2, 0x3fb8aa3b, v5, -v6
	v_dual_fmac_f32 v13, 0x32a5705f, v14 :: v_dual_fmac_f32 v2, 0x32a5705f, v5
	s_delay_alu instid0(VALU_DEP_1) | instskip(NEXT) | instid1(VALU_DEP_1)
	v_add_f32_e32 v11, v11, v13
	v_exp_f32_e32 v4, v11
	v_mul_f32_e32 v11, 0x3fb8aa3b, v7
	s_delay_alu instid0(VALU_DEP_1)
	v_fma_f32 v12, 0x3fb8aa3b, v7, -v11
	v_rndne_f32_e32 v13, v11
	s_waitcnt_depctr 0xfff
	v_ldexp_f32 v3, v4, v3
	v_rndne_f32_e32 v4, v6
	v_fmac_f32_e32 v12, 0x32a5705f, v7
	s_delay_alu instid0(VALU_DEP_3) | instskip(SKIP_1) | instid1(VALU_DEP_4)
	v_cndmask_b32_e32 v3, 0, v3, vcc_lo
	v_cmp_nlt_f32_e32 vcc_lo, 0x42b17218, v14
	v_sub_f32_e32 v6, v6, v4
	v_cvt_i32_f32_e32 v4, v4
	v_mul_f32_e32 v14, 0x3fb8aa3b, v10
	s_delay_alu instid0(VALU_DEP_3) | instskip(SKIP_2) | instid1(VALU_DEP_4)
	v_dual_cndmask_b32 v3, 0x7f800000, v3 :: v_dual_add_f32 v2, v6, v2
	v_rndne_f32_e32 v6, v9
	v_cmp_ngt_f32_e32 vcc_lo, 0xc2ce8ed0, v5
	v_rndne_f32_e32 v15, v14
	s_delay_alu instid0(VALU_DEP_4) | instskip(SKIP_4) | instid1(VALU_DEP_3)
	v_add_f32_e32 v1, v1, v3
	v_fma_f32 v3, 0x3fb8aa3b, v8, -v9
	v_exp_f32_e32 v2, v2
	v_sub_f32_e32 v9, v9, v6
	v_cvt_i32_f32_e32 v6, v6
	v_fmac_f32_e32 v3, 0x32a5705f, v8
	s_delay_alu instid0(VALU_DEP_1)
	v_add_f32_e32 v3, v9, v3
	v_sub_f32_e32 v9, v11, v13
	s_waitcnt_depctr 0xfff
	v_ldexp_f32 v2, v2, v4
	v_fma_f32 v11, 0x3fb8aa3b, v10, -v14
	v_exp_f32_e32 v3, v3
	v_add_f32_e32 v4, v9, v12
	s_delay_alu instid0(VALU_DEP_3)
	v_cndmask_b32_e32 v2, 0, v2, vcc_lo
	v_cmp_nlt_f32_e32 vcc_lo, 0x42b17218, v5
	v_fmac_f32_e32 v11, 0x32a5705f, v10
	v_sub_f32_e32 v9, v14, v15
	v_exp_f32_e32 v4, v4
	v_cvt_i32_f32_e32 v5, v13
	v_cndmask_b32_e32 v2, 0x7f800000, v2, vcc_lo
	v_cmp_ngt_f32_e32 vcc_lo, 0xc2ce8ed0, v8
	v_ldexp_f32 v3, v3, v6
	v_add_f32_e32 v9, v9, v11
	s_delay_alu instid0(VALU_DEP_4) | instskip(NEXT) | instid1(VALU_DEP_3)
	v_add_f32_e32 v1, v1, v2
	v_cndmask_b32_e32 v3, 0, v3, vcc_lo
	v_cmp_nlt_f32_e32 vcc_lo, 0x42b17218, v8
	s_delay_alu instid0(VALU_DEP_4) | instskip(SKIP_4) | instid1(VALU_DEP_2)
	v_exp_f32_e32 v6, v9
	v_ldexp_f32 v2, v4, v5
	v_cvt_i32_f32_e32 v4, v15
	v_cndmask_b32_e32 v3, 0x7f800000, v3, vcc_lo
	v_cmp_ngt_f32_e32 vcc_lo, 0xc2ce8ed0, v7
	v_dual_add_f32 v1, v1, v3 :: v_dual_cndmask_b32 v2, 0, v2
	v_cmp_nlt_f32_e32 vcc_lo, 0x42b17218, v7
	s_delay_alu instid0(TRANS32_DEP_1) | instskip(NEXT) | instid1(VALU_DEP_3)
	v_ldexp_f32 v4, v6, v4
	v_cndmask_b32_e32 v2, 0x7f800000, v2, vcc_lo
	v_cmp_ngt_f32_e32 vcc_lo, 0xc2ce8ed0, v10
	s_delay_alu instid0(VALU_DEP_2) | instskip(NEXT) | instid1(VALU_DEP_4)
	v_add_f32_e32 v1, v1, v2
	v_cndmask_b32_e32 v3, 0, v4, vcc_lo
	v_cmp_nlt_f32_e32 vcc_lo, 0x42b17218, v10
	s_delay_alu instid0(VALU_DEP_2) | instskip(NEXT) | instid1(VALU_DEP_1)
	v_cndmask_b32_e32 v2, 0x7f800000, v3, vcc_lo
	v_add_f32_e32 v1, v1, v2
	s_delay_alu instid0(VALU_DEP_1) | instskip(NEXT) | instid1(VALU_DEP_1)
	v_add_f32_e32 v2, v23, v1
	v_cmp_neq_f32_e32 vcc_lo, 0, v2
	s_and_b32 exec_lo, exec_lo, vcc_lo
	s_cbranch_execz .LBB155_12
; %bb.9:
	s_and_not1_b32 vcc_lo, exec_lo, s17
	s_cbranch_vccnz .LBB155_12
; %bb.10:
	v_div_scale_f32 v1, null, v2, v2, 1.0
	v_div_scale_f32 v5, vcc_lo, 1.0, v2, 1.0
	s_delay_alu instid0(VALU_DEP_2) | instskip(SKIP_2) | instid1(VALU_DEP_1)
	v_rcp_f32_e32 v3, v1
	s_waitcnt_depctr 0xfff
	v_fma_f32 v4, -v1, v3, 1.0
	v_fmac_f32_e32 v3, v4, v3
	s_delay_alu instid0(VALU_DEP_1) | instskip(NEXT) | instid1(VALU_DEP_1)
	v_mul_f32_e32 v4, v5, v3
	v_fma_f32 v6, -v1, v4, v5
	s_delay_alu instid0(VALU_DEP_1) | instskip(NEXT) | instid1(VALU_DEP_1)
	v_fmac_f32_e32 v4, v6, v3
	v_fma_f32 v5, -v1, v4, v5
	v_ashrrev_i32_e32 v1, 31, v0
	s_delay_alu instid0(VALU_DEP_2) | instskip(NEXT) | instid1(VALU_DEP_2)
	v_div_fmas_f32 v3, v5, v3, v4
	v_lshlrev_b64 v[0:1], 2, v[0:1]
	s_delay_alu instid0(VALU_DEP_2) | instskip(NEXT) | instid1(VALU_DEP_2)
	v_div_fixup_f32 v2, v3, v2, 1.0
	v_add_co_u32 v0, vcc_lo, s28, v0
	s_delay_alu instid0(VALU_DEP_3)
	v_add_co_ci_u32_e32 v1, vcc_lo, s29, v1, vcc_lo
.LBB155_11:                             ; =>This Inner Loop Header: Depth=1
	global_load_b32 v3, v[0:1], off
	s_add_i32 s24, s24, -1
	s_delay_alu instid0(SALU_CYCLE_1)
	s_cmp_lg_u32 s24, 0
	s_waitcnt vmcnt(0)
	v_mul_f32_e32 v3, v2, v3
	global_store_b32 v[0:1], v3, off
	v_add_co_u32 v0, vcc_lo, v0, 4
	v_add_co_ci_u32_e32 v1, vcc_lo, 0, v1, vcc_lo
	s_cbranch_scc1 .LBB155_11
.LBB155_12:
	s_nop 0
	s_sendmsg sendmsg(MSG_DEALLOC_VGPRS)
	s_endpgm
	.section	.rodata,"a",@progbits
	.p2align	6, 0x0
	.amdhsa_kernel _ZN4vllm3moe17topkGatingSoftmaxIDF16_Li16ELi16ELi8ELi32ELb0ELi8ELNS0_23SharedExpertScoringFuncE1EEEvPKT_PKbPfiPiS9_iiiiii
		.amdhsa_group_segment_fixed_size 0
		.amdhsa_private_segment_fixed_size 0
		.amdhsa_kernarg_size 72
		.amdhsa_user_sgpr_count 15
		.amdhsa_user_sgpr_dispatch_ptr 0
		.amdhsa_user_sgpr_queue_ptr 0
		.amdhsa_user_sgpr_kernarg_segment_ptr 1
		.amdhsa_user_sgpr_dispatch_id 0
		.amdhsa_user_sgpr_private_segment_size 0
		.amdhsa_wavefront_size32 1
		.amdhsa_uses_dynamic_stack 0
		.amdhsa_enable_private_segment 0
		.amdhsa_system_sgpr_workgroup_id_x 1
		.amdhsa_system_sgpr_workgroup_id_y 0
		.amdhsa_system_sgpr_workgroup_id_z 0
		.amdhsa_system_sgpr_workgroup_info 0
		.amdhsa_system_vgpr_workitem_id 1
		.amdhsa_next_free_vgpr 67
		.amdhsa_next_free_sgpr 36
		.amdhsa_reserve_vcc 1
		.amdhsa_float_round_mode_32 0
		.amdhsa_float_round_mode_16_64 0
		.amdhsa_float_denorm_mode_32 3
		.amdhsa_float_denorm_mode_16_64 3
		.amdhsa_dx10_clamp 1
		.amdhsa_ieee_mode 1
		.amdhsa_fp16_overflow 0
		.amdhsa_workgroup_processor_mode 1
		.amdhsa_memory_ordered 1
		.amdhsa_forward_progress 0
		.amdhsa_shared_vgpr_count 0
		.amdhsa_exception_fp_ieee_invalid_op 0
		.amdhsa_exception_fp_denorm_src 0
		.amdhsa_exception_fp_ieee_div_zero 0
		.amdhsa_exception_fp_ieee_overflow 0
		.amdhsa_exception_fp_ieee_underflow 0
		.amdhsa_exception_fp_ieee_inexact 0
		.amdhsa_exception_int_div_zero 0
	.end_amdhsa_kernel
	.section	.text._ZN4vllm3moe17topkGatingSoftmaxIDF16_Li16ELi16ELi8ELi32ELb0ELi8ELNS0_23SharedExpertScoringFuncE1EEEvPKT_PKbPfiPiS9_iiiiii,"axG",@progbits,_ZN4vllm3moe17topkGatingSoftmaxIDF16_Li16ELi16ELi8ELi32ELb0ELi8ELNS0_23SharedExpertScoringFuncE1EEEvPKT_PKbPfiPiS9_iiiiii,comdat
.Lfunc_end155:
	.size	_ZN4vllm3moe17topkGatingSoftmaxIDF16_Li16ELi16ELi8ELi32ELb0ELi8ELNS0_23SharedExpertScoringFuncE1EEEvPKT_PKbPfiPiS9_iiiiii, .Lfunc_end155-_ZN4vllm3moe17topkGatingSoftmaxIDF16_Li16ELi16ELi8ELi32ELb0ELi8ELNS0_23SharedExpertScoringFuncE1EEEvPKT_PKbPfiPiS9_iiiiii
                                        ; -- End function
	.section	.AMDGPU.csdata,"",@progbits
; Kernel info:
; codeLenInByte = 5744
; NumSgprs: 38
; NumVgprs: 67
; ScratchSize: 0
; MemoryBound: 0
; FloatMode: 240
; IeeeMode: 1
; LDSByteSize: 0 bytes/workgroup (compile time only)
; SGPRBlocks: 4
; VGPRBlocks: 8
; NumSGPRsForWavesPerEU: 38
; NumVGPRsForWavesPerEU: 67
; Occupancy: 16
; WaveLimiterHint : 0
; COMPUTE_PGM_RSRC2:SCRATCH_EN: 0
; COMPUTE_PGM_RSRC2:USER_SGPR: 15
; COMPUTE_PGM_RSRC2:TRAP_HANDLER: 0
; COMPUTE_PGM_RSRC2:TGID_X_EN: 1
; COMPUTE_PGM_RSRC2:TGID_Y_EN: 0
; COMPUTE_PGM_RSRC2:TGID_Z_EN: 0
; COMPUTE_PGM_RSRC2:TIDIG_COMP_CNT: 1
	.section	.text._ZN4vllm3moe17topkGatingSoftmaxIDF16_Li16ELi32ELi8ELi32ELb1ELi0ELNS0_23SharedExpertScoringFuncE0EEEvPKT_PKbPfiPiS9_iiiiii,"axG",@progbits,_ZN4vllm3moe17topkGatingSoftmaxIDF16_Li16ELi32ELi8ELi32ELb1ELi0ELNS0_23SharedExpertScoringFuncE0EEEvPKT_PKbPfiPiS9_iiiiii,comdat
	.protected	_ZN4vllm3moe17topkGatingSoftmaxIDF16_Li16ELi32ELi8ELi32ELb1ELi0ELNS0_23SharedExpertScoringFuncE0EEEvPKT_PKbPfiPiS9_iiiiii ; -- Begin function _ZN4vllm3moe17topkGatingSoftmaxIDF16_Li16ELi32ELi8ELi32ELb1ELi0ELNS0_23SharedExpertScoringFuncE0EEEvPKT_PKbPfiPiS9_iiiiii
	.globl	_ZN4vllm3moe17topkGatingSoftmaxIDF16_Li16ELi32ELi8ELi32ELb1ELi0ELNS0_23SharedExpertScoringFuncE0EEEvPKT_PKbPfiPiS9_iiiiii
	.p2align	8
	.type	_ZN4vllm3moe17topkGatingSoftmaxIDF16_Li16ELi32ELi8ELi32ELb1ELi0ELNS0_23SharedExpertScoringFuncE0EEEvPKT_PKbPfiPiS9_iiiiii,@function
_ZN4vllm3moe17topkGatingSoftmaxIDF16_Li16ELi32ELi8ELi32ELb1ELi0ELNS0_23SharedExpertScoringFuncE0EEEvPKT_PKbPfiPiS9_iiiiii: ; @_ZN4vllm3moe17topkGatingSoftmaxIDF16_Li16ELi32ELi8ELi32ELb1ELi0ELNS0_23SharedExpertScoringFuncE0EEEvPKT_PKbPfiPiS9_iiiiii
; %bb.0:
	s_load_b32 s3, s[0:1], 0x18
	v_bfe_u32 v1, v0, 10, 10
	v_and_b32_e32 v0, 0x3ff, v0
	s_lshl_b32 s17, s15, 7
	s_mov_b32 s2, exec_lo
	s_delay_alu instid0(VALU_DEP_2) | instskip(NEXT) | instid1(VALU_DEP_2)
	v_lshlrev_b32_e32 v42, 4, v1
	v_lshrrev_b32_e32 v43, 1, v0
	s_delay_alu instid0(VALU_DEP_1) | instskip(SKIP_1) | instid1(VALU_DEP_1)
	v_add3_u32 v7, s17, v42, v43
	s_waitcnt lgkmcnt(0)
	v_cmpx_gt_i32_e64 s3, v7
	s_cbranch_execz .LBB156_20
; %bb.1:
	s_clause 0x1
	s_load_b128 s[4:7], s[0:1], 0x0
	s_load_b64 s[12:13], s[0:1], 0x10
	s_waitcnt lgkmcnt(0)
	s_cmp_eq_u64 s[6:7], 0
	s_cbranch_scc1 .LBB156_3
; %bb.2:
	v_ashrrev_i32_e32 v2, 31, v7
	v_add_co_u32 v1, vcc_lo, s6, v7
	s_delay_alu instid0(VALU_DEP_2) | instskip(SKIP_3) | instid1(VALU_DEP_1)
	v_add_co_ci_u32_e32 v2, vcc_lo, s7, v2, vcc_lo
	global_load_u8 v1, v[1:2], off
	s_waitcnt vmcnt(0)
	v_and_b32_e32 v1, 1, v1
	v_cmp_eq_u32_e32 vcc_lo, 1, v1
	s_xor_b32 s2, vcc_lo, -1
	s_delay_alu instid0(SALU_CYCLE_1)
	s_or_not1_b32 s16, s2, exec_lo
	s_branch .LBB156_4
.LBB156_3:
	s_mov_b32 s16, -1
.LBB156_4:
	s_load_b64 s[14:15], s[0:1], 0x40
	v_and_b32_e32 v8, 1, v0
	s_delay_alu instid0(VALU_DEP_1) | instskip(NEXT) | instid1(VALU_DEP_1)
	v_dual_mov_b32 v6, 0 :: v_dual_lshlrev_b32 v9, 4, v8
	v_or_b32_e32 v10, 1, v9
	v_or_b32_e32 v14, 2, v9
	s_waitcnt lgkmcnt(0)
	v_mul_lo_u32 v1, v7, s15
	s_delay_alu instid0(VALU_DEP_1) | instskip(NEXT) | instid1(VALU_DEP_1)
	v_ashrrev_i32_e32 v2, 31, v1
	v_lshlrev_b64 v[0:1], 1, v[1:2]
	v_lshlrev_b32_e32 v2, 5, v8
	s_delay_alu instid0(VALU_DEP_2) | instskip(NEXT) | instid1(VALU_DEP_3)
	v_add_co_u32 v0, vcc_lo, s4, v0
	v_add_co_ci_u32_e32 v1, vcc_lo, s5, v1, vcc_lo
	s_load_b128 s[4:7], s[0:1], 0x30
	s_delay_alu instid0(VALU_DEP_2) | instskip(NEXT) | instid1(VALU_DEP_2)
	v_add_co_u32 v4, vcc_lo, v0, v2
	v_add_co_ci_u32_e32 v5, vcc_lo, 0, v1, vcc_lo
	s_clause 0x1
	global_load_b128 v[0:3], v[4:5], off
	global_load_b128 v[35:38], v[4:5], off offset:16
	s_waitcnt lgkmcnt(0)
	s_cmp_gt_i32 s4, 0
	s_cselect_b32 s15, -1, 0
	s_cmp_lt_i32 s4, 1
	s_waitcnt vmcnt(1)
	v_lshrrev_b32_e32 v4, 16, v0
	v_cvt_f32_f16_e32 v11, v0
	v_cvt_f32_f16_e32 v13, v1
	;; [unrolled: 1-line block ×3, first 2 shown]
	v_lshrrev_b32_e32 v1, 16, v1
	v_cvt_f32_f16_e32 v12, v4
	v_cmp_lt_f16_e32 vcc_lo, v0, v4
	v_lshrrev_b32_e32 v2, 16, v2
	v_cvt_f32_f16_e32 v21, v3
	v_cvt_f32_f16_e32 v15, v1
	s_waitcnt vmcnt(0)
	v_cvt_f32_f16_e32 v25, v35
	v_cndmask_b32_e32 v4, v11, v12, vcc_lo
	v_cndmask_b32_e32 v0, v9, v10, vcc_lo
	v_cvt_f32_f16_e32 v19, v2
	v_lshrrev_b32_e32 v2, 16, v3
	v_cvt_f32_f16_e32 v29, v36
	v_cmp_lt_f32_e32 vcc_lo, v4, v13
	v_cvt_f32_f16_e32 v33, v37
	s_delay_alu instid0(VALU_DEP_4)
	v_cvt_f32_f16_e32 v23, v2
	v_lshrrev_b32_e32 v2, 16, v35
	v_cndmask_b32_e32 v1, v4, v13, vcc_lo
	v_cndmask_b32_e32 v0, v0, v14, vcc_lo
	v_or_b32_e32 v16, 3, v9
	v_or_b32_e32 v18, 4, v9
	;; [unrolled: 1-line block ×3, first 2 shown]
	v_cmp_lt_f32_e32 vcc_lo, v1, v15
	v_or_b32_e32 v22, 6, v9
	v_or_b32_e32 v24, 7, v9
	v_cvt_f32_f16_e32 v27, v2
	v_or_b32_e32 v26, 8, v9
	v_dual_cndmask_b32 v1, v1, v15 :: v_dual_cndmask_b32 v0, v0, v16
	v_or_b32_e32 v28, 9, v9
	v_lshrrev_b32_e32 v2, 16, v36
	v_or_b32_e32 v30, 10, v9
	s_delay_alu instid0(VALU_DEP_4)
	v_cmp_lt_f32_e32 vcc_lo, v1, v17
	v_or_b32_e32 v32, 11, v9
	v_or_b32_e32 v34, 12, v9
	v_cvt_f32_f16_e32 v31, v2
	v_lshrrev_b32_e32 v2, 16, v37
	v_dual_cndmask_b32 v1, v1, v17 :: v_dual_cndmask_b32 v0, v0, v18
	v_cvt_f32_f16_e32 v37, v38
	v_or_b32_e32 v36, 13, v9
	s_delay_alu instid0(VALU_DEP_4) | instskip(NEXT) | instid1(VALU_DEP_4)
	v_cvt_f32_f16_e32 v35, v2
	v_cmp_lt_f32_e32 vcc_lo, v1, v19
	v_lshrrev_b32_e32 v2, 16, v38
	v_or_b32_e32 v38, 14, v9
	v_or_b32_e32 v40, 15, v9
	v_dual_cndmask_b32 v1, v1, v19 :: v_dual_cndmask_b32 v0, v0, v20
	s_delay_alu instid0(VALU_DEP_4) | instskip(NEXT) | instid1(VALU_DEP_2)
	v_cvt_f32_f16_e32 v39, v2
	v_cmp_lt_f32_e32 vcc_lo, v1, v21
	s_delay_alu instid0(VALU_DEP_3) | instskip(NEXT) | instid1(VALU_DEP_1)
	v_dual_cndmask_b32 v1, v1, v21 :: v_dual_cndmask_b32 v0, v0, v22
	v_cmp_lt_f32_e32 vcc_lo, v1, v23
	s_delay_alu instid0(VALU_DEP_2) | instskip(NEXT) | instid1(VALU_DEP_1)
	v_dual_cndmask_b32 v1, v1, v23 :: v_dual_cndmask_b32 v0, v0, v24
	v_cmp_lt_f32_e32 vcc_lo, v1, v25
	s_delay_alu instid0(VALU_DEP_2) | instskip(NEXT) | instid1(VALU_DEP_1)
	;; [unrolled: 3-line block ×8, first 2 shown]
	v_dual_cndmask_b32 v1, v1, v37 :: v_dual_cndmask_b32 v0, v0, v38
	v_cmp_lt_f32_e32 vcc_lo, v1, v39
	s_delay_alu instid0(VALU_DEP_2) | instskip(SKIP_2) | instid1(VALU_DEP_3)
	v_cndmask_b32_e32 v0, v0, v40, vcc_lo
	v_cndmask_b32_e32 v2, v1, v39, vcc_lo
	v_cmp_eq_u32_e32 vcc_lo, 0, v8
	v_mov_b32_dpp v4, v0 quad_perm:[1,0,3,2] row_mask:0xf bank_mask:0xf
	s_delay_alu instid0(VALU_DEP_3)
	v_mov_b32_dpp v41, v2 quad_perm:[1,0,3,2] row_mask:0xf bank_mask:0xf
	s_cbranch_scc1 .LBB156_16
; %bb.5:
	s_load_b128 s[8:11], s[0:1], 0x20
	s_delay_alu instid0(VALU_DEP_1)
	v_cmp_eq_f32_e64 s0, v2, v41
	v_cmp_lt_i32_e64 s1, v4, v0
	v_cmp_lt_f32_e64 s2, v2, v41
	v_mul_lo_u32 v1, v7, s7
	v_mul_lo_u32 v3, v7, s14
	;; [unrolled: 1-line block ×3, first 2 shown]
	s_and_b32 s0, s0, s1
	v_mov_b32_e32 v6, 0
	s_or_b32 s0, s2, s0
	s_delay_alu instid0(SALU_CYCLE_1)
	v_cndmask_b32_e64 v0, v0, v4, s0
	v_cndmask_b32_e64 v41, v2, v41, s0
	s_and_saveexec_b32 s2, vcc_lo
	s_cbranch_execz .LBB156_7
; %bb.6:
	s_delay_alu instid0(VALU_DEP_1)
	v_sub_f32_e32 v50, v41, v41
	v_cmp_le_i32_e64 s0, s5, v0
	v_cmp_gt_i32_e64 s1, s6, v0
	v_subrev_nc_u32_e32 v51, s5, v0
	v_ashrrev_i32_e32 v6, 31, v5
	v_mul_f32_e32 v2, 0x3fb8aa3b, v50
	s_delay_alu instid0(VALU_DEP_4) | instskip(NEXT) | instid1(SALU_CYCLE_1)
	s_and_b32 s0, s0, s1
	s_and_b32 s0, s16, s0
	s_delay_alu instid0(VALU_DEP_1) | instskip(SKIP_2) | instid1(VALU_DEP_3)
	v_rndne_f32_e32 v46, v2
	v_fma_f32 v4, 0x3fb8aa3b, v50, -v2
	v_lshlrev_b64 v[48:49], 2, v[5:6]
	v_sub_f32_e32 v2, v2, v46
	s_delay_alu instid0(VALU_DEP_3) | instskip(NEXT) | instid1(VALU_DEP_1)
	v_fmamk_f32 v4, v50, 0x32a5705f, v4
	v_add_f32_e32 v4, v2, v4
	v_ashrrev_i32_e32 v2, 31, v1
	s_delay_alu instid0(VALU_DEP_2) | instskip(NEXT) | instid1(VALU_DEP_1)
	v_exp_f32_e32 v52, v4
	v_lshlrev_b64 v[44:45], 2, v[1:2]
	v_ashrrev_i32_e32 v4, 31, v3
	v_cvt_i32_f32_e32 v2, v46
	s_delay_alu instid0(VALU_DEP_2) | instskip(SKIP_2) | instid1(VALU_DEP_1)
	v_lshlrev_b64 v[46:47], 2, v[3:4]
	v_cndmask_b32_e64 v4, 32, v51, s0
	v_add_co_u32 v44, s0, s12, v44
	v_add_co_ci_u32_e64 v45, s0, s13, v45, s0
	s_delay_alu instid0(TRANS32_DEP_1) | instskip(SKIP_1) | instid1(VALU_DEP_1)
	v_ldexp_f32 v2, v52, v2
	v_cmp_ngt_f32_e64 s0, 0xc2ce8ed0, v50
	v_cndmask_b32_e64 v2, 0, v2, s0
	s_waitcnt lgkmcnt(0)
	v_add_co_u32 v46, s0, s8, v46
	s_delay_alu instid0(VALU_DEP_1) | instskip(SKIP_1) | instid1(VALU_DEP_1)
	v_add_co_ci_u32_e64 v47, s0, s9, v47, s0
	v_cmp_nlt_f32_e64 s0, 0x42b17218, v50
	v_cndmask_b32_e64 v6, 0x7f800000, v2, s0
	v_add_co_u32 v48, s0, s10, v48
	s_delay_alu instid0(VALU_DEP_1)
	v_add_co_ci_u32_e64 v49, s0, s11, v49, s0
	global_store_b32 v[46:47], v4, off
	global_store_b32 v[44:45], v6, off
	;; [unrolled: 1-line block ×3, first 2 shown]
.LBB156_7:
	s_or_b32 exec_lo, exec_lo, s2
	v_ashrrev_i32_e32 v4, 31, v0
	s_mov_b32 s1, exec_lo
	s_delay_alu instid0(VALU_DEP_1) | instskip(NEXT) | instid1(VALU_DEP_1)
	v_lshrrev_b32_e32 v2, 28, v4
	v_add_nc_u32_e32 v44, v0, v2
	s_delay_alu instid0(VALU_DEP_1) | instskip(SKIP_1) | instid1(VALU_DEP_1)
	v_ashrrev_i32_e32 v2, 4, v44
	v_lshrrev_b32_e32 v44, 31, v44
	v_add_nc_u32_e32 v44, v2, v44
	s_delay_alu instid0(VALU_DEP_1) | instskip(NEXT) | instid1(VALU_DEP_1)
	v_and_b32_e32 v44, -2, v44
	v_sub_nc_u32_e32 v44, v2, v44
	s_delay_alu instid0(VALU_DEP_1)
	v_cmpx_eq_u32_e64 v8, v44
	s_cbranch_execz .LBB156_9
; %bb.8:
	v_lshrrev_b32_e32 v4, 27, v4
	v_lshlrev_b32_e32 v2, 4, v2
	s_delay_alu instid0(VALU_DEP_2) | instskip(NEXT) | instid1(VALU_DEP_2)
	v_add_nc_u32_e32 v4, v0, v4
	v_sub_nc_u32_e32 v0, v0, v2
	s_delay_alu instid0(VALU_DEP_2) | instskip(NEXT) | instid1(VALU_DEP_1)
	v_ashrrev_i32_e32 v2, 5, v4
	v_lshl_add_u32 v0, v2, 4, v0
	s_delay_alu instid0(VALU_DEP_1) | instskip(NEXT) | instid1(VALU_DEP_1)
	v_cmp_ne_u32_e64 s0, 15, v0
	v_cndmask_b32_e64 v39, 0xff800000, v39, s0
	v_cmp_ne_u32_e64 s0, 14, v0
	s_delay_alu instid0(VALU_DEP_1) | instskip(SKIP_1) | instid1(VALU_DEP_1)
	v_cndmask_b32_e64 v37, 0xff800000, v37, s0
	v_cmp_ne_u32_e64 s0, 13, v0
	v_cndmask_b32_e64 v35, 0xff800000, v35, s0
	v_cmp_ne_u32_e64 s0, 12, v0
	s_delay_alu instid0(VALU_DEP_1) | instskip(SKIP_1) | instid1(VALU_DEP_1)
	v_cndmask_b32_e64 v33, 0xff800000, v33, s0
	;; [unrolled: 5-line block ×7, first 2 shown]
	v_cmp_ne_u32_e64 s0, 1, v0
	v_cndmask_b32_e64 v12, 0xff800000, v12, s0
	v_cmp_ne_u32_e64 s0, 0, v0
	s_delay_alu instid0(VALU_DEP_1)
	v_cndmask_b32_e64 v11, 0xff800000, v11, s0
.LBB156_9:
	s_or_b32 exec_lo, exec_lo, s1
	s_cmp_eq_u32 s4, 1
	s_cbranch_scc1 .LBB156_16
; %bb.10:
	s_add_i32 s17, s17, s3
	v_add_nc_u32_e32 v0, 1, v5
	v_add3_u32 v42, s17, v43, v42
	v_add_nc_u32_e32 v2, 1, v3
	v_add_nc_u32_e32 v4, 1, v1
	s_add_i32 s14, s4, -1
	s_branch .LBB156_12
.LBB156_11:                             ;   in Loop: Header=BB156_12 Depth=1
	s_or_b32 exec_lo, exec_lo, s1
	v_add_nc_u32_e32 v42, s3, v42
	v_add_nc_u32_e32 v0, 1, v0
	;; [unrolled: 1-line block ×4, first 2 shown]
	s_add_i32 s14, s14, -1
	s_delay_alu instid0(SALU_CYCLE_1)
	s_cmp_eq_u32 s14, 0
	s_cbranch_scc1 .LBB156_16
.LBB156_12:                             ; =>This Inner Loop Header: Depth=1
	v_cmp_gt_f32_e64 s0, v12, v11
	s_delay_alu instid0(VALU_DEP_1) | instskip(SKIP_1) | instid1(VALU_DEP_2)
	v_cndmask_b32_e64 v3, v11, v12, s0
	v_cndmask_b32_e64 v1, v9, v10, s0
	v_cmp_gt_f32_e64 s0, v13, v3
	s_delay_alu instid0(VALU_DEP_1) | instskip(NEXT) | instid1(VALU_DEP_3)
	v_cndmask_b32_e64 v3, v3, v13, s0
	v_cndmask_b32_e64 v1, v1, v14, s0
	s_delay_alu instid0(VALU_DEP_2) | instskip(NEXT) | instid1(VALU_DEP_1)
	v_cmp_gt_f32_e64 s0, v15, v3
	v_cndmask_b32_e64 v3, v3, v15, s0
	s_delay_alu instid0(VALU_DEP_3) | instskip(NEXT) | instid1(VALU_DEP_2)
	v_cndmask_b32_e64 v1, v1, v16, s0
	v_cmp_gt_f32_e64 s0, v17, v3
	s_delay_alu instid0(VALU_DEP_1) | instskip(NEXT) | instid1(VALU_DEP_3)
	v_cndmask_b32_e64 v3, v3, v17, s0
	v_cndmask_b32_e64 v1, v1, v18, s0
	s_delay_alu instid0(VALU_DEP_2) | instskip(NEXT) | instid1(VALU_DEP_1)
	v_cmp_gt_f32_e64 s0, v19, v3
	v_cndmask_b32_e64 v3, v3, v19, s0
	s_delay_alu instid0(VALU_DEP_3) | instskip(NEXT) | instid1(VALU_DEP_2)
	;; [unrolled: 9-line block ×6, first 2 shown]
	v_cndmask_b32_e64 v1, v1, v36, s0
	v_cmp_gt_f32_e64 s0, v37, v3
	s_delay_alu instid0(VALU_DEP_1) | instskip(NEXT) | instid1(VALU_DEP_3)
	v_cndmask_b32_e64 v3, v3, v37, s0
	v_cndmask_b32_e64 v1, v1, v38, s0
	s_delay_alu instid0(VALU_DEP_2) | instskip(NEXT) | instid1(VALU_DEP_1)
	v_cmp_gt_f32_e64 s0, v39, v3
	v_cndmask_b32_e64 v5, v1, v40, s0
	v_cndmask_b32_e64 v1, v3, v39, s0
	s_delay_alu instid0(VALU_DEP_2) | instskip(NEXT) | instid1(VALU_DEP_2)
	v_mov_b32_dpp v43, v5 quad_perm:[1,0,3,2] row_mask:0xf bank_mask:0xf
	v_mov_b32_dpp v3, v1 quad_perm:[1,0,3,2] row_mask:0xf bank_mask:0xf
	s_delay_alu instid0(VALU_DEP_2) | instskip(NEXT) | instid1(VALU_DEP_2)
	v_cmp_lt_i32_e64 s0, v43, v5
	v_cmp_eq_f32_e64 s1, v1, v3
	v_cmp_lt_f32_e64 s2, v1, v3
	s_delay_alu instid0(VALU_DEP_2)
	s_and_b32 s0, s1, s0
	s_delay_alu instid0(VALU_DEP_1) | instid1(SALU_CYCLE_1)
	s_or_b32 s0, s2, s0
	s_delay_alu instid0(SALU_CYCLE_1)
	v_cndmask_b32_e64 v43, v5, v43, s0
	s_and_saveexec_b32 s2, vcc_lo
	s_cbranch_execz .LBB156_14
; %bb.13:                               ;   in Loop: Header=BB156_12 Depth=1
	v_cndmask_b32_e64 v1, v1, v3, s0
	s_delay_alu instid0(VALU_DEP_2) | instskip(SKIP_4) | instid1(VALU_DEP_4)
	v_cmp_le_i32_e64 s0, s5, v43
	v_cmp_gt_i32_e64 s1, s6, v43
	v_ashrrev_i32_e32 v5, 31, v4
	v_subrev_nc_u32_e32 v51, s5, v43
	v_sub_f32_e32 v50, v1, v41
	s_and_b32 s0, s0, s1
	s_delay_alu instid0(SALU_CYCLE_1) | instskip(NEXT) | instid1(VALU_DEP_1)
	s_and_b32 s0, s16, s0
	v_mul_f32_e32 v1, 0x3fb8aa3b, v50
	s_delay_alu instid0(VALU_DEP_1) | instskip(SKIP_1) | instid1(VALU_DEP_2)
	v_fma_f32 v3, 0x3fb8aa3b, v50, -v1
	v_rndne_f32_e32 v44, v1
	v_fmac_f32_e32 v3, 0x32a5705f, v50
	s_delay_alu instid0(VALU_DEP_2) | instskip(SKIP_2) | instid1(VALU_DEP_3)
	v_sub_f32_e32 v1, v1, v44
	v_cvt_i32_f32_e32 v49, v44
	v_lshlrev_b64 v[44:45], 2, v[4:5]
	v_add_f32_e32 v1, v1, v3
	v_ashrrev_i32_e32 v3, 31, v2
	s_delay_alu instid0(VALU_DEP_2) | instskip(SKIP_1) | instid1(VALU_DEP_2)
	v_exp_f32_e32 v48, v1
	v_ashrrev_i32_e32 v1, 31, v0
	v_lshlrev_b64 v[46:47], 2, v[2:3]
	s_waitcnt_depctr 0xfff
	v_ldexp_f32 v3, v48, v49
	v_lshlrev_b64 v[48:49], 2, v[0:1]
	v_cndmask_b32_e64 v1, 32, v51, s0
	v_cmp_ngt_f32_e64 s0, 0xc2ce8ed0, v50
	s_delay_alu instid0(VALU_DEP_1) | instskip(SKIP_1) | instid1(VALU_DEP_1)
	v_cndmask_b32_e64 v3, 0, v3, s0
	v_add_co_u32 v44, s0, s12, v44
	v_add_co_ci_u32_e64 v45, s0, s13, v45, s0
	v_cmp_nlt_f32_e64 s0, 0x42b17218, v50
	s_delay_alu instid0(VALU_DEP_1) | instskip(SKIP_2) | instid1(VALU_DEP_1)
	v_cndmask_b32_e64 v3, 0x7f800000, v3, s0
	s_waitcnt lgkmcnt(0)
	v_add_co_u32 v46, s0, s8, v46
	v_add_co_ci_u32_e64 v47, s0, s9, v47, s0
	s_delay_alu instid0(VALU_DEP_3) | instskip(SKIP_1) | instid1(VALU_DEP_1)
	v_add_f32_e32 v6, v6, v3
	v_add_co_u32 v48, s0, s10, v48
	v_add_co_ci_u32_e64 v49, s0, s11, v49, s0
	global_store_b32 v[44:45], v3, off
	global_store_b32 v[46:47], v1, off
	;; [unrolled: 1-line block ×3, first 2 shown]
.LBB156_14:                             ;   in Loop: Header=BB156_12 Depth=1
	s_or_b32 exec_lo, exec_lo, s2
	s_delay_alu instid0(VALU_DEP_1) | instskip(SKIP_1) | instid1(VALU_DEP_1)
	v_ashrrev_i32_e32 v3, 31, v43
	s_mov_b32 s1, exec_lo
	v_lshrrev_b32_e32 v1, 28, v3
	s_delay_alu instid0(VALU_DEP_1) | instskip(NEXT) | instid1(VALU_DEP_1)
	v_add_nc_u32_e32 v5, v43, v1
	v_ashrrev_i32_e32 v1, 4, v5
	v_lshrrev_b32_e32 v5, 31, v5
	s_delay_alu instid0(VALU_DEP_1) | instskip(NEXT) | instid1(VALU_DEP_1)
	v_add_nc_u32_e32 v5, v1, v5
	v_and_b32_e32 v5, -2, v5
	s_delay_alu instid0(VALU_DEP_1) | instskip(NEXT) | instid1(VALU_DEP_1)
	v_sub_nc_u32_e32 v5, v1, v5
	v_cmpx_eq_u32_e64 v8, v5
	s_cbranch_execz .LBB156_11
; %bb.15:                               ;   in Loop: Header=BB156_12 Depth=1
	v_lshrrev_b32_e32 v3, 27, v3
	v_lshlrev_b32_e32 v1, 4, v1
	s_delay_alu instid0(VALU_DEP_2) | instskip(NEXT) | instid1(VALU_DEP_2)
	v_add_nc_u32_e32 v3, v43, v3
	v_sub_nc_u32_e32 v1, v43, v1
	s_delay_alu instid0(VALU_DEP_2) | instskip(NEXT) | instid1(VALU_DEP_1)
	v_ashrrev_i32_e32 v3, 5, v3
	v_lshl_add_u32 v1, v3, 4, v1
	s_delay_alu instid0(VALU_DEP_1) | instskip(NEXT) | instid1(VALU_DEP_1)
	v_cmp_ne_u32_e64 s0, 15, v1
	v_cndmask_b32_e64 v39, 0xff800000, v39, s0
	v_cmp_ne_u32_e64 s0, 14, v1
	s_delay_alu instid0(VALU_DEP_1) | instskip(SKIP_1) | instid1(VALU_DEP_1)
	v_cndmask_b32_e64 v37, 0xff800000, v37, s0
	v_cmp_ne_u32_e64 s0, 13, v1
	v_cndmask_b32_e64 v35, 0xff800000, v35, s0
	v_cmp_ne_u32_e64 s0, 12, v1
	s_delay_alu instid0(VALU_DEP_1) | instskip(SKIP_1) | instid1(VALU_DEP_1)
	v_cndmask_b32_e64 v33, 0xff800000, v33, s0
	;; [unrolled: 5-line block ×7, first 2 shown]
	v_cmp_ne_u32_e64 s0, 1, v1
	v_cndmask_b32_e64 v12, 0xff800000, v12, s0
	v_cmp_ne_u32_e64 s0, 0, v1
	s_delay_alu instid0(VALU_DEP_1)
	v_cndmask_b32_e64 v11, 0xff800000, v11, s0
	s_branch .LBB156_11
.LBB156_16:
	v_cmp_eq_u32_e32 vcc_lo, 0, v8
	v_cmp_neq_f32_e64 s0, 0, v6
	s_delay_alu instid0(VALU_DEP_1) | instskip(NEXT) | instid1(SALU_CYCLE_1)
	s_and_b32 s0, vcc_lo, s0
	s_and_b32 exec_lo, exec_lo, s0
	s_cbranch_execz .LBB156_20
; %bb.17:
	s_and_not1_b32 vcc_lo, exec_lo, s15
	s_cbranch_vccnz .LBB156_20
; %bb.18:
	v_div_scale_f32 v1, null, v6, v6, 1.0
	v_div_scale_f32 v3, vcc_lo, 1.0, v6, 1.0
	s_delay_alu instid0(VALU_DEP_2) | instskip(SKIP_2) | instid1(VALU_DEP_1)
	v_rcp_f32_e32 v2, v1
	s_waitcnt_depctr 0xfff
	v_fma_f32 v0, -v1, v2, 1.0
	v_fmac_f32_e32 v2, v0, v2
	v_mul_lo_u32 v0, v7, s7
	s_delay_alu instid0(VALU_DEP_2) | instskip(NEXT) | instid1(VALU_DEP_1)
	v_mul_f32_e32 v4, v3, v2
	v_fma_f32 v5, -v1, v4, v3
	s_delay_alu instid0(VALU_DEP_1) | instskip(NEXT) | instid1(VALU_DEP_1)
	v_fmac_f32_e32 v4, v5, v2
	v_fma_f32 v3, -v1, v4, v3
	v_ashrrev_i32_e32 v1, 31, v0
	s_delay_alu instid0(VALU_DEP_2) | instskip(NEXT) | instid1(VALU_DEP_2)
	v_div_fmas_f32 v2, v3, v2, v4
	v_lshlrev_b64 v[0:1], 2, v[0:1]
	s_delay_alu instid0(VALU_DEP_2) | instskip(NEXT) | instid1(VALU_DEP_2)
	v_div_fixup_f32 v2, v2, v6, 1.0
	v_add_co_u32 v0, vcc_lo, s12, v0
	s_delay_alu instid0(VALU_DEP_3)
	v_add_co_ci_u32_e32 v1, vcc_lo, s13, v1, vcc_lo
.LBB156_19:                             ; =>This Inner Loop Header: Depth=1
	global_load_b32 v3, v[0:1], off
	s_add_i32 s4, s4, -1
	s_delay_alu instid0(SALU_CYCLE_1)
	s_cmp_lg_u32 s4, 0
	s_waitcnt vmcnt(0)
	v_mul_f32_e32 v3, v2, v3
	global_store_b32 v[0:1], v3, off
	v_add_co_u32 v0, vcc_lo, v0, 4
	v_add_co_ci_u32_e32 v1, vcc_lo, 0, v1, vcc_lo
	s_cbranch_scc1 .LBB156_19
.LBB156_20:
	s_nop 0
	s_sendmsg sendmsg(MSG_DEALLOC_VGPRS)
	s_endpgm
	.section	.rodata,"a",@progbits
	.p2align	6, 0x0
	.amdhsa_kernel _ZN4vllm3moe17topkGatingSoftmaxIDF16_Li16ELi32ELi8ELi32ELb1ELi0ELNS0_23SharedExpertScoringFuncE0EEEvPKT_PKbPfiPiS9_iiiiii
		.amdhsa_group_segment_fixed_size 0
		.amdhsa_private_segment_fixed_size 0
		.amdhsa_kernarg_size 72
		.amdhsa_user_sgpr_count 15
		.amdhsa_user_sgpr_dispatch_ptr 0
		.amdhsa_user_sgpr_queue_ptr 0
		.amdhsa_user_sgpr_kernarg_segment_ptr 1
		.amdhsa_user_sgpr_dispatch_id 0
		.amdhsa_user_sgpr_private_segment_size 0
		.amdhsa_wavefront_size32 1
		.amdhsa_uses_dynamic_stack 0
		.amdhsa_enable_private_segment 0
		.amdhsa_system_sgpr_workgroup_id_x 1
		.amdhsa_system_sgpr_workgroup_id_y 0
		.amdhsa_system_sgpr_workgroup_id_z 0
		.amdhsa_system_sgpr_workgroup_info 0
		.amdhsa_system_vgpr_workitem_id 1
		.amdhsa_next_free_vgpr 53
		.amdhsa_next_free_sgpr 18
		.amdhsa_reserve_vcc 1
		.amdhsa_float_round_mode_32 0
		.amdhsa_float_round_mode_16_64 0
		.amdhsa_float_denorm_mode_32 3
		.amdhsa_float_denorm_mode_16_64 3
		.amdhsa_dx10_clamp 1
		.amdhsa_ieee_mode 1
		.amdhsa_fp16_overflow 0
		.amdhsa_workgroup_processor_mode 1
		.amdhsa_memory_ordered 1
		.amdhsa_forward_progress 0
		.amdhsa_shared_vgpr_count 0
		.amdhsa_exception_fp_ieee_invalid_op 0
		.amdhsa_exception_fp_denorm_src 0
		.amdhsa_exception_fp_ieee_div_zero 0
		.amdhsa_exception_fp_ieee_overflow 0
		.amdhsa_exception_fp_ieee_underflow 0
		.amdhsa_exception_fp_ieee_inexact 0
		.amdhsa_exception_int_div_zero 0
	.end_amdhsa_kernel
	.section	.text._ZN4vllm3moe17topkGatingSoftmaxIDF16_Li16ELi32ELi8ELi32ELb1ELi0ELNS0_23SharedExpertScoringFuncE0EEEvPKT_PKbPfiPiS9_iiiiii,"axG",@progbits,_ZN4vllm3moe17topkGatingSoftmaxIDF16_Li16ELi32ELi8ELi32ELb1ELi0ELNS0_23SharedExpertScoringFuncE0EEEvPKT_PKbPfiPiS9_iiiiii,comdat
.Lfunc_end156:
	.size	_ZN4vllm3moe17topkGatingSoftmaxIDF16_Li16ELi32ELi8ELi32ELb1ELi0ELNS0_23SharedExpertScoringFuncE0EEEvPKT_PKbPfiPiS9_iiiiii, .Lfunc_end156-_ZN4vllm3moe17topkGatingSoftmaxIDF16_Li16ELi32ELi8ELi32ELb1ELi0ELNS0_23SharedExpertScoringFuncE0EEEvPKT_PKbPfiPiS9_iiiiii
                                        ; -- End function
	.section	.AMDGPU.csdata,"",@progbits
; Kernel info:
; codeLenInByte = 3176
; NumSgprs: 20
; NumVgprs: 53
; ScratchSize: 0
; MemoryBound: 0
; FloatMode: 240
; IeeeMode: 1
; LDSByteSize: 0 bytes/workgroup (compile time only)
; SGPRBlocks: 2
; VGPRBlocks: 6
; NumSGPRsForWavesPerEU: 20
; NumVGPRsForWavesPerEU: 53
; Occupancy: 16
; WaveLimiterHint : 0
; COMPUTE_PGM_RSRC2:SCRATCH_EN: 0
; COMPUTE_PGM_RSRC2:USER_SGPR: 15
; COMPUTE_PGM_RSRC2:TRAP_HANDLER: 0
; COMPUTE_PGM_RSRC2:TGID_X_EN: 1
; COMPUTE_PGM_RSRC2:TGID_Y_EN: 0
; COMPUTE_PGM_RSRC2:TGID_Z_EN: 0
; COMPUTE_PGM_RSRC2:TIDIG_COMP_CNT: 1
	.section	.text._ZN4vllm3moe17topkGatingSoftmaxIDF16_Li16ELi32ELi8ELi32ELb0ELi0ELNS0_23SharedExpertScoringFuncE0EEEvPKT_PKbPfiPiS9_iiiiii,"axG",@progbits,_ZN4vllm3moe17topkGatingSoftmaxIDF16_Li16ELi32ELi8ELi32ELb0ELi0ELNS0_23SharedExpertScoringFuncE0EEEvPKT_PKbPfiPiS9_iiiiii,comdat
	.protected	_ZN4vllm3moe17topkGatingSoftmaxIDF16_Li16ELi32ELi8ELi32ELb0ELi0ELNS0_23SharedExpertScoringFuncE0EEEvPKT_PKbPfiPiS9_iiiiii ; -- Begin function _ZN4vllm3moe17topkGatingSoftmaxIDF16_Li16ELi32ELi8ELi32ELb0ELi0ELNS0_23SharedExpertScoringFuncE0EEEvPKT_PKbPfiPiS9_iiiiii
	.globl	_ZN4vllm3moe17topkGatingSoftmaxIDF16_Li16ELi32ELi8ELi32ELb0ELi0ELNS0_23SharedExpertScoringFuncE0EEEvPKT_PKbPfiPiS9_iiiiii
	.p2align	8
	.type	_ZN4vllm3moe17topkGatingSoftmaxIDF16_Li16ELi32ELi8ELi32ELb0ELi0ELNS0_23SharedExpertScoringFuncE0EEEvPKT_PKbPfiPiS9_iiiiii,@function
_ZN4vllm3moe17topkGatingSoftmaxIDF16_Li16ELi32ELi8ELi32ELb0ELi0ELNS0_23SharedExpertScoringFuncE0EEEvPKT_PKbPfiPiS9_iiiiii: ; @_ZN4vllm3moe17topkGatingSoftmaxIDF16_Li16ELi32ELi8ELi32ELb0ELi0ELNS0_23SharedExpertScoringFuncE0EEEvPKT_PKbPfiPiS9_iiiiii
; %bb.0:
	s_load_b32 s16, s[0:1], 0x18
	v_bfe_u32 v1, v0, 10, 10
	v_and_b32_e32 v0, 0x3ff, v0
	s_lshl_b32 s18, s15, 7
	s_mov_b32 s2, exec_lo
	s_delay_alu instid0(VALU_DEP_2) | instskip(NEXT) | instid1(VALU_DEP_2)
	v_lshlrev_b32_e32 v42, 4, v1
	v_lshrrev_b32_e32 v43, 1, v0
	s_delay_alu instid0(VALU_DEP_1) | instskip(SKIP_1) | instid1(VALU_DEP_1)
	v_add3_u32 v7, s18, v42, v43
	s_waitcnt lgkmcnt(0)
	v_cmpx_gt_i32_e64 s16, v7
	s_cbranch_execz .LBB157_21
; %bb.1:
	s_clause 0x1
	s_load_b128 s[4:7], s[0:1], 0x0
	s_load_b64 s[12:13], s[0:1], 0x10
	s_waitcnt lgkmcnt(0)
	s_cmp_eq_u64 s[6:7], 0
	s_cbranch_scc1 .LBB157_3
; %bb.2:
	v_ashrrev_i32_e32 v2, 31, v7
	v_add_co_u32 v1, vcc_lo, s6, v7
	s_delay_alu instid0(VALU_DEP_2) | instskip(SKIP_3) | instid1(VALU_DEP_1)
	v_add_co_ci_u32_e32 v2, vcc_lo, s7, v2, vcc_lo
	global_load_u8 v1, v[1:2], off
	s_waitcnt vmcnt(0)
	v_and_b32_e32 v1, 1, v1
	v_cmp_eq_u32_e32 vcc_lo, 1, v1
	s_xor_b32 s2, vcc_lo, -1
	s_delay_alu instid0(SALU_CYCLE_1)
	s_or_not1_b32 s17, s2, exec_lo
	s_branch .LBB157_4
.LBB157_3:
	s_mov_b32 s17, -1
.LBB157_4:
	s_load_b64 s[14:15], s[0:1], 0x40
	v_and_b32_e32 v8, 1, v0
	v_mov_b32_e32 v6, 0
	s_waitcnt lgkmcnt(0)
	v_mul_lo_u32 v1, v7, s15
	s_delay_alu instid0(VALU_DEP_1) | instskip(NEXT) | instid1(VALU_DEP_1)
	v_ashrrev_i32_e32 v2, 31, v1
	v_lshlrev_b64 v[0:1], 1, v[1:2]
	v_lshlrev_b32_e32 v2, 5, v8
	s_delay_alu instid0(VALU_DEP_2) | instskip(NEXT) | instid1(VALU_DEP_3)
	v_add_co_u32 v0, vcc_lo, s4, v0
	v_add_co_ci_u32_e32 v1, vcc_lo, s5, v1, vcc_lo
	s_load_b128 s[4:7], s[0:1], 0x30
	s_delay_alu instid0(VALU_DEP_2) | instskip(NEXT) | instid1(VALU_DEP_2)
	v_add_co_u32 v4, vcc_lo, v0, v2
	v_add_co_ci_u32_e32 v5, vcc_lo, 0, v1, vcc_lo
	s_clause 0x1
	global_load_b128 v[0:3], v[4:5], off
	global_load_b128 v[37:40], v[4:5], off offset:16
	s_waitcnt vmcnt(1)
	v_lshrrev_b32_e32 v4, 16, v0
	v_cvt_f32_f16_e32 v26, v0
	v_cvt_f32_f16_e32 v21, v2
	v_lshlrev_b32_e32 v24, 4, v8
	v_cvt_f32_f16_e32 v23, v1
	v_cvt_f32_f16_e32 v25, v4
	v_cmp_lt_f16_e32 vcc_lo, v0, v4
	v_lshrrev_b32_e32 v2, 16, v2
	v_or_b32_e32 v27, 1, v24
	v_cvt_f32_f16_e32 v19, v3
	v_lshrrev_b32_e32 v1, 16, v1
	v_cndmask_b32_e32 v4, v26, v25, vcc_lo
	v_cvt_f32_f16_e32 v20, v2
	v_cndmask_b32_e32 v0, v24, v27, vcc_lo
	v_or_b32_e32 v28, 2, v24
	v_cvt_f32_f16_e32 v22, v1
	v_cmp_lt_f32_e32 vcc_lo, v4, v23
	v_lshrrev_b32_e32 v2, 16, v3
	v_or_b32_e32 v29, 3, v24
	s_waitcnt vmcnt(0)
	v_cvt_f32_f16_e32 v17, v37
	v_cvt_f32_f16_e32 v15, v38
	v_cndmask_b32_e32 v1, v4, v23, vcc_lo
	v_cvt_f32_f16_e32 v18, v2
	v_cndmask_b32_e32 v0, v0, v28, vcc_lo
	v_lshrrev_b32_e32 v2, 16, v37
	v_cvt_f32_f16_e32 v13, v39
	v_cmp_lt_f32_e32 vcc_lo, v1, v22
	v_cvt_f32_f16_e32 v10, v40
	s_delay_alu instid0(VALU_DEP_4) | instskip(SKIP_2) | instid1(VALU_DEP_2)
	v_cvt_f32_f16_e32 v16, v2
	v_lshrrev_b32_e32 v2, 16, v38
	v_dual_cndmask_b32 v1, v1, v22 :: v_dual_cndmask_b32 v0, v0, v29
	v_cvt_f32_f16_e32 v14, v2
	s_delay_alu instid0(VALU_DEP_2)
	v_cmp_lt_f32_e32 vcc_lo, v1, v21
	v_lshrrev_b32_e32 v2, 16, v39
	v_cndmask_b32_e32 v1, v1, v21, vcc_lo
	v_or_b32_e32 v30, 4, v24
	v_or_b32_e32 v31, 5, v24
	;; [unrolled: 1-line block ×4, first 2 shown]
	v_cvt_f32_f16_e32 v12, v2
	v_cndmask_b32_e32 v0, v0, v30, vcc_lo
	v_cmp_lt_f32_e32 vcc_lo, v1, v20
	v_or_b32_e32 v34, 8, v24
	v_or_b32_e32 v35, 9, v24
	;; [unrolled: 1-line block ×3, first 2 shown]
	v_lshrrev_b32_e32 v2, 16, v40
	v_dual_cndmask_b32 v1, v1, v20 :: v_dual_cndmask_b32 v0, v0, v31
	v_or_b32_e32 v37, 11, v24
	v_or_b32_e32 v38, 12, v24
	s_delay_alu instid0(VALU_DEP_4) | instskip(NEXT) | instid1(VALU_DEP_4)
	v_cvt_f32_f16_e32 v9, v2
	v_cmp_lt_f32_e32 vcc_lo, v1, v19
	v_or_b32_e32 v39, 13, v24
	v_or_b32_e32 v40, 14, v24
	;; [unrolled: 1-line block ×3, first 2 shown]
	v_dual_cndmask_b32 v1, v1, v19 :: v_dual_cndmask_b32 v0, v0, v32
	s_delay_alu instid0(VALU_DEP_1) | instskip(NEXT) | instid1(VALU_DEP_2)
	v_cmp_lt_f32_e32 vcc_lo, v1, v18
	v_dual_cndmask_b32 v1, v1, v18 :: v_dual_cndmask_b32 v0, v0, v33
	s_delay_alu instid0(VALU_DEP_1) | instskip(NEXT) | instid1(VALU_DEP_2)
	v_cmp_lt_f32_e32 vcc_lo, v1, v17
	;; [unrolled: 3-line block ×8, first 2 shown]
	v_dual_cndmask_b32 v1, v1, v10 :: v_dual_cndmask_b32 v0, v0, v40
	s_delay_alu instid0(VALU_DEP_1) | instskip(SKIP_1) | instid1(VALU_DEP_3)
	v_cmp_lt_f32_e32 vcc_lo, v1, v9
	v_cndmask_b32_e32 v1, v1, v9, vcc_lo
	v_cndmask_b32_e32 v0, v0, v41, vcc_lo
	s_delay_alu instid0(VALU_DEP_2) | instskip(NEXT) | instid1(VALU_DEP_2)
	v_mov_b32_dpp v3, v1 quad_perm:[1,0,3,2] row_mask:0xf bank_mask:0xf
	v_mov_b32_dpp v2, v0 quad_perm:[1,0,3,2] row_mask:0xf bank_mask:0xf
	s_delay_alu instid0(VALU_DEP_2) | instskip(NEXT) | instid1(VALU_DEP_2)
	v_cmp_eq_f32_e64 s2, v1, v3
	v_cmp_lt_i32_e32 vcc_lo, v2, v0
	v_cmp_lt_f32_e64 s3, v1, v3
	s_delay_alu instid0(VALU_DEP_3) | instskip(SKIP_1) | instid1(VALU_DEP_2)
	s_and_b32 s2, s2, vcc_lo
	v_cmp_eq_u32_e32 vcc_lo, 0, v8
	s_or_b32 s2, s3, s2
	s_waitcnt lgkmcnt(0)
	s_cmp_gt_i32 s4, 0
	v_cndmask_b32_e64 v11, v1, v3, s2
	s_cselect_b32 s3, -1, 0
	s_cmp_lt_i32 s4, 1
	s_cbranch_scc1 .LBB157_16
; %bb.5:
	s_load_b128 s[8:11], s[0:1], 0x20
	v_mul_lo_u32 v1, v7, s7
	v_mul_lo_u32 v3, v7, s14
	;; [unrolled: 1-line block ×3, first 2 shown]
	v_cndmask_b32_e64 v0, v0, v2, s2
	v_mov_b32_e32 v6, 0
	s_and_saveexec_b32 s2, vcc_lo
	s_cbranch_execz .LBB157_7
; %bb.6:
	v_sub_f32_e32 v50, v11, v11
	v_cmp_le_i32_e64 s0, s5, v0
	v_cmp_gt_i32_e64 s1, s6, v0
	v_subrev_nc_u32_e32 v51, s5, v0
	v_ashrrev_i32_e32 v6, 31, v5
	v_mul_f32_e32 v2, 0x3fb8aa3b, v50
	s_delay_alu instid0(VALU_DEP_4) | instskip(NEXT) | instid1(SALU_CYCLE_1)
	s_and_b32 s0, s0, s1
	s_and_b32 s0, s17, s0
	s_delay_alu instid0(VALU_DEP_1) | instskip(SKIP_2) | instid1(VALU_DEP_3)
	v_rndne_f32_e32 v46, v2
	v_fma_f32 v4, 0x3fb8aa3b, v50, -v2
	v_lshlrev_b64 v[48:49], 2, v[5:6]
	v_sub_f32_e32 v2, v2, v46
	s_delay_alu instid0(VALU_DEP_3) | instskip(NEXT) | instid1(VALU_DEP_1)
	v_fmamk_f32 v4, v50, 0x32a5705f, v4
	v_add_f32_e32 v4, v2, v4
	v_ashrrev_i32_e32 v2, 31, v1
	s_delay_alu instid0(VALU_DEP_2) | instskip(NEXT) | instid1(VALU_DEP_1)
	v_exp_f32_e32 v52, v4
	v_lshlrev_b64 v[44:45], 2, v[1:2]
	v_ashrrev_i32_e32 v4, 31, v3
	v_cvt_i32_f32_e32 v2, v46
	s_delay_alu instid0(VALU_DEP_2) | instskip(SKIP_2) | instid1(VALU_DEP_1)
	v_lshlrev_b64 v[46:47], 2, v[3:4]
	v_cndmask_b32_e64 v4, 32, v51, s0
	v_add_co_u32 v44, s0, s12, v44
	v_add_co_ci_u32_e64 v45, s0, s13, v45, s0
	s_delay_alu instid0(TRANS32_DEP_1) | instskip(SKIP_1) | instid1(VALU_DEP_1)
	v_ldexp_f32 v2, v52, v2
	v_cmp_ngt_f32_e64 s0, 0xc2ce8ed0, v50
	v_cndmask_b32_e64 v2, 0, v2, s0
	s_waitcnt lgkmcnt(0)
	v_add_co_u32 v46, s0, s8, v46
	s_delay_alu instid0(VALU_DEP_1) | instskip(SKIP_1) | instid1(VALU_DEP_1)
	v_add_co_ci_u32_e64 v47, s0, s9, v47, s0
	v_cmp_nlt_f32_e64 s0, 0x42b17218, v50
	v_cndmask_b32_e64 v6, 0x7f800000, v2, s0
	v_add_co_u32 v48, s0, s10, v48
	s_delay_alu instid0(VALU_DEP_1)
	v_add_co_ci_u32_e64 v49, s0, s11, v49, s0
	global_store_b32 v[46:47], v4, off
	global_store_b32 v[44:45], v6, off
	;; [unrolled: 1-line block ×3, first 2 shown]
.LBB157_7:
	s_or_b32 exec_lo, exec_lo, s2
	v_ashrrev_i32_e32 v4, 31, v0
	s_mov_b32 s1, exec_lo
	s_delay_alu instid0(VALU_DEP_1) | instskip(NEXT) | instid1(VALU_DEP_1)
	v_lshrrev_b32_e32 v2, 28, v4
	v_add_nc_u32_e32 v44, v0, v2
	s_delay_alu instid0(VALU_DEP_1) | instskip(SKIP_1) | instid1(VALU_DEP_1)
	v_ashrrev_i32_e32 v2, 4, v44
	v_lshrrev_b32_e32 v44, 31, v44
	v_add_nc_u32_e32 v44, v2, v44
	s_delay_alu instid0(VALU_DEP_1) | instskip(NEXT) | instid1(VALU_DEP_1)
	v_and_b32_e32 v44, -2, v44
	v_sub_nc_u32_e32 v44, v2, v44
	s_delay_alu instid0(VALU_DEP_1)
	v_cmpx_eq_u32_e64 v8, v44
	s_cbranch_execz .LBB157_9
; %bb.8:
	v_lshrrev_b32_e32 v4, 27, v4
	v_lshlrev_b32_e32 v2, 4, v2
	s_delay_alu instid0(VALU_DEP_2) | instskip(NEXT) | instid1(VALU_DEP_2)
	v_add_nc_u32_e32 v4, v0, v4
	v_sub_nc_u32_e32 v0, v0, v2
	s_delay_alu instid0(VALU_DEP_2) | instskip(NEXT) | instid1(VALU_DEP_1)
	v_ashrrev_i32_e32 v2, 5, v4
	v_lshl_add_u32 v0, v2, 4, v0
	s_delay_alu instid0(VALU_DEP_1) | instskip(NEXT) | instid1(VALU_DEP_1)
	v_cmp_ne_u32_e64 s0, 15, v0
	v_cndmask_b32_e64 v9, 0xff800000, v9, s0
	v_cmp_ne_u32_e64 s0, 14, v0
	s_delay_alu instid0(VALU_DEP_1) | instskip(SKIP_1) | instid1(VALU_DEP_1)
	v_cndmask_b32_e64 v10, 0xff800000, v10, s0
	v_cmp_ne_u32_e64 s0, 13, v0
	v_cndmask_b32_e64 v12, 0xff800000, v12, s0
	v_cmp_ne_u32_e64 s0, 12, v0
	s_delay_alu instid0(VALU_DEP_1) | instskip(SKIP_1) | instid1(VALU_DEP_1)
	v_cndmask_b32_e64 v13, 0xff800000, v13, s0
	;; [unrolled: 5-line block ×7, first 2 shown]
	v_cmp_ne_u32_e64 s0, 1, v0
	v_cndmask_b32_e64 v25, 0xff800000, v25, s0
	v_cmp_ne_u32_e64 s0, 0, v0
	s_delay_alu instid0(VALU_DEP_1)
	v_cndmask_b32_e64 v26, 0xff800000, v26, s0
.LBB157_9:
	s_or_b32 exec_lo, exec_lo, s1
	s_cmp_eq_u32 s4, 1
	s_cbranch_scc1 .LBB157_16
; %bb.10:
	s_add_i32 s18, s18, s16
	v_add_nc_u32_e32 v0, 1, v5
	v_add3_u32 v42, s18, v43, v42
	v_add_nc_u32_e32 v2, 1, v3
	v_add_nc_u32_e32 v4, 1, v1
	s_add_i32 s14, s4, -1
	s_branch .LBB157_12
.LBB157_11:                             ;   in Loop: Header=BB157_12 Depth=1
	s_or_b32 exec_lo, exec_lo, s1
	v_add_nc_u32_e32 v42, s16, v42
	v_add_nc_u32_e32 v0, 1, v0
	;; [unrolled: 1-line block ×4, first 2 shown]
	s_add_i32 s14, s14, -1
	s_delay_alu instid0(SALU_CYCLE_1)
	s_cmp_eq_u32 s14, 0
	s_cbranch_scc1 .LBB157_16
.LBB157_12:                             ; =>This Inner Loop Header: Depth=1
	v_cmp_gt_f32_e64 s0, v25, v26
	s_delay_alu instid0(VALU_DEP_1) | instskip(SKIP_1) | instid1(VALU_DEP_2)
	v_cndmask_b32_e64 v3, v26, v25, s0
	v_cndmask_b32_e64 v1, v24, v27, s0
	v_cmp_gt_f32_e64 s0, v23, v3
	s_delay_alu instid0(VALU_DEP_1) | instskip(NEXT) | instid1(VALU_DEP_3)
	v_cndmask_b32_e64 v3, v3, v23, s0
	v_cndmask_b32_e64 v1, v1, v28, s0
	s_delay_alu instid0(VALU_DEP_2) | instskip(NEXT) | instid1(VALU_DEP_1)
	v_cmp_gt_f32_e64 s0, v22, v3
	v_cndmask_b32_e64 v3, v3, v22, s0
	s_delay_alu instid0(VALU_DEP_3) | instskip(NEXT) | instid1(VALU_DEP_2)
	v_cndmask_b32_e64 v1, v1, v29, s0
	v_cmp_gt_f32_e64 s0, v21, v3
	s_delay_alu instid0(VALU_DEP_1) | instskip(NEXT) | instid1(VALU_DEP_3)
	v_cndmask_b32_e64 v3, v3, v21, s0
	v_cndmask_b32_e64 v1, v1, v30, s0
	s_delay_alu instid0(VALU_DEP_2) | instskip(NEXT) | instid1(VALU_DEP_1)
	v_cmp_gt_f32_e64 s0, v20, v3
	v_cndmask_b32_e64 v3, v3, v20, s0
	s_delay_alu instid0(VALU_DEP_3) | instskip(NEXT) | instid1(VALU_DEP_2)
	;; [unrolled: 9-line block ×6, first 2 shown]
	v_cndmask_b32_e64 v1, v1, v39, s0
	v_cmp_gt_f32_e64 s0, v10, v3
	s_delay_alu instid0(VALU_DEP_1) | instskip(NEXT) | instid1(VALU_DEP_3)
	v_cndmask_b32_e64 v3, v3, v10, s0
	v_cndmask_b32_e64 v1, v1, v40, s0
	s_delay_alu instid0(VALU_DEP_2) | instskip(NEXT) | instid1(VALU_DEP_1)
	v_cmp_gt_f32_e64 s0, v9, v3
	v_cndmask_b32_e64 v5, v1, v41, s0
	v_cndmask_b32_e64 v1, v3, v9, s0
	s_delay_alu instid0(VALU_DEP_2) | instskip(NEXT) | instid1(VALU_DEP_2)
	v_mov_b32_dpp v43, v5 quad_perm:[1,0,3,2] row_mask:0xf bank_mask:0xf
	v_mov_b32_dpp v3, v1 quad_perm:[1,0,3,2] row_mask:0xf bank_mask:0xf
	s_delay_alu instid0(VALU_DEP_2) | instskip(NEXT) | instid1(VALU_DEP_2)
	v_cmp_lt_i32_e64 s0, v43, v5
	v_cmp_eq_f32_e64 s1, v1, v3
	v_cmp_lt_f32_e64 s2, v1, v3
	s_delay_alu instid0(VALU_DEP_2)
	s_and_b32 s0, s1, s0
	s_delay_alu instid0(VALU_DEP_1) | instid1(SALU_CYCLE_1)
	s_or_b32 s0, s2, s0
	s_delay_alu instid0(SALU_CYCLE_1)
	v_cndmask_b32_e64 v43, v5, v43, s0
	s_and_saveexec_b32 s2, vcc_lo
	s_cbranch_execz .LBB157_14
; %bb.13:                               ;   in Loop: Header=BB157_12 Depth=1
	v_cndmask_b32_e64 v1, v1, v3, s0
	s_delay_alu instid0(VALU_DEP_2) | instskip(SKIP_4) | instid1(VALU_DEP_4)
	v_cmp_le_i32_e64 s0, s5, v43
	v_cmp_gt_i32_e64 s1, s6, v43
	v_ashrrev_i32_e32 v5, 31, v4
	v_subrev_nc_u32_e32 v51, s5, v43
	v_sub_f32_e32 v50, v1, v11
	s_and_b32 s0, s0, s1
	s_delay_alu instid0(SALU_CYCLE_1) | instskip(NEXT) | instid1(VALU_DEP_1)
	s_and_b32 s0, s17, s0
	v_mul_f32_e32 v1, 0x3fb8aa3b, v50
	s_delay_alu instid0(VALU_DEP_1) | instskip(SKIP_1) | instid1(VALU_DEP_2)
	v_fma_f32 v3, 0x3fb8aa3b, v50, -v1
	v_rndne_f32_e32 v44, v1
	v_fmac_f32_e32 v3, 0x32a5705f, v50
	s_delay_alu instid0(VALU_DEP_2) | instskip(SKIP_2) | instid1(VALU_DEP_3)
	v_sub_f32_e32 v1, v1, v44
	v_cvt_i32_f32_e32 v49, v44
	v_lshlrev_b64 v[44:45], 2, v[4:5]
	v_add_f32_e32 v1, v1, v3
	v_ashrrev_i32_e32 v3, 31, v2
	s_delay_alu instid0(VALU_DEP_2) | instskip(SKIP_1) | instid1(VALU_DEP_2)
	v_exp_f32_e32 v48, v1
	v_ashrrev_i32_e32 v1, 31, v0
	v_lshlrev_b64 v[46:47], 2, v[2:3]
	s_waitcnt_depctr 0xfff
	v_ldexp_f32 v3, v48, v49
	v_lshlrev_b64 v[48:49], 2, v[0:1]
	v_cndmask_b32_e64 v1, 32, v51, s0
	v_cmp_ngt_f32_e64 s0, 0xc2ce8ed0, v50
	s_delay_alu instid0(VALU_DEP_1) | instskip(SKIP_1) | instid1(VALU_DEP_1)
	v_cndmask_b32_e64 v3, 0, v3, s0
	v_add_co_u32 v44, s0, s12, v44
	v_add_co_ci_u32_e64 v45, s0, s13, v45, s0
	v_cmp_nlt_f32_e64 s0, 0x42b17218, v50
	s_delay_alu instid0(VALU_DEP_1) | instskip(SKIP_2) | instid1(VALU_DEP_1)
	v_cndmask_b32_e64 v3, 0x7f800000, v3, s0
	s_waitcnt lgkmcnt(0)
	v_add_co_u32 v46, s0, s8, v46
	v_add_co_ci_u32_e64 v47, s0, s9, v47, s0
	s_delay_alu instid0(VALU_DEP_3) | instskip(SKIP_1) | instid1(VALU_DEP_1)
	v_add_f32_e32 v6, v6, v3
	v_add_co_u32 v48, s0, s10, v48
	v_add_co_ci_u32_e64 v49, s0, s11, v49, s0
	global_store_b32 v[44:45], v3, off
	global_store_b32 v[46:47], v1, off
	;; [unrolled: 1-line block ×3, first 2 shown]
.LBB157_14:                             ;   in Loop: Header=BB157_12 Depth=1
	s_or_b32 exec_lo, exec_lo, s2
	s_delay_alu instid0(VALU_DEP_1) | instskip(SKIP_1) | instid1(VALU_DEP_1)
	v_ashrrev_i32_e32 v3, 31, v43
	s_mov_b32 s1, exec_lo
	v_lshrrev_b32_e32 v1, 28, v3
	s_delay_alu instid0(VALU_DEP_1) | instskip(NEXT) | instid1(VALU_DEP_1)
	v_add_nc_u32_e32 v5, v43, v1
	v_ashrrev_i32_e32 v1, 4, v5
	v_lshrrev_b32_e32 v5, 31, v5
	s_delay_alu instid0(VALU_DEP_1) | instskip(NEXT) | instid1(VALU_DEP_1)
	v_add_nc_u32_e32 v5, v1, v5
	v_and_b32_e32 v5, -2, v5
	s_delay_alu instid0(VALU_DEP_1) | instskip(NEXT) | instid1(VALU_DEP_1)
	v_sub_nc_u32_e32 v5, v1, v5
	v_cmpx_eq_u32_e64 v8, v5
	s_cbranch_execz .LBB157_11
; %bb.15:                               ;   in Loop: Header=BB157_12 Depth=1
	v_lshrrev_b32_e32 v3, 27, v3
	v_lshlrev_b32_e32 v1, 4, v1
	s_delay_alu instid0(VALU_DEP_2) | instskip(NEXT) | instid1(VALU_DEP_2)
	v_add_nc_u32_e32 v3, v43, v3
	v_sub_nc_u32_e32 v1, v43, v1
	s_delay_alu instid0(VALU_DEP_2) | instskip(NEXT) | instid1(VALU_DEP_1)
	v_ashrrev_i32_e32 v3, 5, v3
	v_lshl_add_u32 v1, v3, 4, v1
	s_delay_alu instid0(VALU_DEP_1) | instskip(NEXT) | instid1(VALU_DEP_1)
	v_cmp_ne_u32_e64 s0, 15, v1
	v_cndmask_b32_e64 v9, 0xff800000, v9, s0
	v_cmp_ne_u32_e64 s0, 14, v1
	s_delay_alu instid0(VALU_DEP_1) | instskip(SKIP_1) | instid1(VALU_DEP_1)
	v_cndmask_b32_e64 v10, 0xff800000, v10, s0
	v_cmp_ne_u32_e64 s0, 13, v1
	v_cndmask_b32_e64 v12, 0xff800000, v12, s0
	v_cmp_ne_u32_e64 s0, 12, v1
	s_delay_alu instid0(VALU_DEP_1) | instskip(SKIP_1) | instid1(VALU_DEP_1)
	v_cndmask_b32_e64 v13, 0xff800000, v13, s0
	;; [unrolled: 5-line block ×7, first 2 shown]
	v_cmp_ne_u32_e64 s0, 1, v1
	v_cndmask_b32_e64 v25, 0xff800000, v25, s0
	v_cmp_ne_u32_e64 s0, 0, v1
	s_delay_alu instid0(VALU_DEP_1)
	v_cndmask_b32_e64 v26, 0xff800000, v26, s0
	s_branch .LBB157_11
.LBB157_16:
	s_delay_alu instid0(VALU_DEP_1) | instskip(SKIP_3) | instid1(VALU_DEP_4)
	v_sub_f32_e32 v5, v22, v11
	v_sub_f32_e32 v0, v26, v11
	;; [unrolled: 1-line block ×4, first 2 shown]
	v_dual_sub_f32 v12, v12, v11 :: v_dual_mul_f32 v27, 0x3fb8aa3b, v5
	s_delay_alu instid0(VALU_DEP_4) | instskip(SKIP_2) | instid1(VALU_DEP_4)
	v_dual_sub_f32 v1, v25, v11 :: v_dual_mul_f32 v2, 0x3fb8aa3b, v0
	v_sub_f32_e32 v3, v23, v11
	v_cmp_ngt_f32_e32 vcc_lo, 0xc2ce8ed0, v0
	v_rndne_f32_e32 v30, v27
	s_delay_alu instid0(VALU_DEP_4)
	v_mul_f32_e32 v4, 0x3fb8aa3b, v1
	v_fma_f32 v22, 0x3fb8aa3b, v0, -v2
	v_rndne_f32_e32 v23, v2
	v_mul_f32_e32 v26, 0x3fb8aa3b, v3
	v_sub_f32_e32 v10, v10, v11
	v_fma_f32 v24, 0x3fb8aa3b, v1, -v4
	v_rndne_f32_e32 v25, v4
	v_fmac_f32_e32 v22, 0x32a5705f, v0
	v_fma_f32 v29, 0x3fb8aa3b, v5, -v27
	v_sub_f32_e32 v2, v2, v23
	v_dual_sub_f32 v21, v21, v11 :: v_dual_fmac_f32 v24, 0x32a5705f, v1
	v_sub_f32_e32 v4, v4, v25
	s_delay_alu instid0(VALU_DEP_3) | instskip(SKIP_2) | instid1(VALU_DEP_4)
	v_dual_fmac_f32 v29, 0x32a5705f, v5 :: v_dual_add_f32 v2, v2, v22
	v_cvt_i32_f32_e32 v23, v23
	v_cvt_i32_f32_e32 v25, v25
	v_dual_add_f32 v4, v4, v24 :: v_dual_sub_f32 v19, v19, v11
	s_delay_alu instid0(VALU_DEP_4) | instskip(SKIP_2) | instid1(VALU_DEP_3)
	v_exp_f32_e32 v2, v2
	v_sub_f32_e32 v15, v15, v11
	v_sub_f32_e32 v14, v14, v11
	v_exp_f32_e32 v4, v4
	v_sub_f32_e32 v9, v9, v11
	s_waitcnt_depctr 0xfff
	v_ldexp_f32 v2, v2, v23
	v_sub_f32_e32 v23, v27, v30
	v_fma_f32 v22, 0x3fb8aa3b, v3, -v26
	v_rndne_f32_e32 v24, v26
	v_ldexp_f32 v4, v4, v25
	v_cndmask_b32_e32 v2, 0, v2, vcc_lo
	v_cmp_ngt_f32_e32 vcc_lo, 0xc2ce8ed0, v1
	v_fmac_f32_e32 v22, 0x32a5705f, v3
	v_sub_f32_e32 v26, v26, v24
	v_cvt_i32_f32_e32 v24, v24
	v_dual_add_f32 v23, v23, v29 :: v_dual_cndmask_b32 v4, 0, v4
	v_cmp_nlt_f32_e32 vcc_lo, 0x42b17218, v0
	s_delay_alu instid0(VALU_DEP_2) | instskip(SKIP_3) | instid1(VALU_DEP_1)
	v_exp_f32_e32 v23, v23
	v_cndmask_b32_e32 v0, 0x7f800000, v2, vcc_lo
	v_cmp_nlt_f32_e32 vcc_lo, 0x42b17218, v1
	v_dual_add_f32 v22, v26, v22 :: v_dual_cndmask_b32 v1, 0x7f800000, v4
	v_exp_f32_e32 v22, v22
	v_cmp_ngt_f32_e32 vcc_lo, 0xc2ce8ed0, v3
	s_delay_alu instid0(VALU_DEP_2) | instskip(SKIP_2) | instid1(VALU_DEP_1)
	v_add_f32_e32 v0, v0, v1
	s_waitcnt_depctr 0xfff
	v_ldexp_f32 v4, v22, v24
	v_dual_mul_f32 v28, 0x3fb8aa3b, v21 :: v_dual_cndmask_b32 v1, 0, v4
	v_cvt_i32_f32_e32 v4, v30
	v_cmp_nlt_f32_e32 vcc_lo, 0x42b17218, v3
	s_delay_alu instid0(VALU_DEP_3) | instskip(SKIP_1) | instid1(VALU_DEP_4)
	v_fma_f32 v2, 0x3fb8aa3b, v21, -v28
	v_rndne_f32_e32 v22, v28
	v_ldexp_f32 v3, v23, v4
	v_cndmask_b32_e32 v1, 0x7f800000, v1, vcc_lo
	v_cmp_ngt_f32_e32 vcc_lo, 0xc2ce8ed0, v5
	v_fmac_f32_e32 v2, 0x32a5705f, v21
	s_delay_alu instid0(VALU_DEP_3) | instskip(SKIP_3) | instid1(VALU_DEP_2)
	v_dual_add_f32 v0, v0, v1 :: v_dual_cndmask_b32 v1, 0, v3
	v_cmp_nlt_f32_e32 vcc_lo, 0x42b17218, v5
	v_sub_f32_e32 v24, v28, v22
	v_cvt_i32_f32_e32 v5, v22
	v_dual_cndmask_b32 v1, 0x7f800000, v1 :: v_dual_add_f32 v2, v24, v2
	v_cmp_ngt_f32_e32 vcc_lo, 0xc2ce8ed0, v21
	s_delay_alu instid0(VALU_DEP_2) | instskip(NEXT) | instid1(VALU_DEP_3)
	v_add_f32_e32 v0, v0, v1
	v_exp_f32_e32 v2, v2
	s_waitcnt_depctr 0xfff
	v_ldexp_f32 v1, v2, v5
	s_delay_alu instid0(VALU_DEP_1) | instskip(SKIP_1) | instid1(VALU_DEP_2)
	v_cndmask_b32_e32 v1, 0, v1, vcc_lo
	v_cmp_nlt_f32_e32 vcc_lo, 0x42b17218, v21
	v_cndmask_b32_e32 v1, 0x7f800000, v1, vcc_lo
	v_mul_f32_e32 v4, 0x3fb8aa3b, v20
	v_cmp_ngt_f32_e32 vcc_lo, 0xc2ce8ed0, v20
	s_delay_alu instid0(VALU_DEP_3) | instskip(NEXT) | instid1(VALU_DEP_3)
	v_add_f32_e32 v0, v0, v1
	v_fma_f32 v3, 0x3fb8aa3b, v20, -v4
	v_rndne_f32_e32 v23, v4
	s_delay_alu instid0(VALU_DEP_1) | instskip(SKIP_1) | instid1(VALU_DEP_2)
	v_dual_fmac_f32 v3, 0x32a5705f, v20 :: v_dual_sub_f32 v4, v4, v23
	v_cvt_i32_f32_e32 v21, v23
	v_add_f32_e32 v2, v4, v3
	s_delay_alu instid0(VALU_DEP_1) | instskip(SKIP_2) | instid1(VALU_DEP_1)
	v_exp_f32_e32 v2, v2
	s_waitcnt_depctr 0xfff
	v_ldexp_f32 v1, v2, v21
	v_cndmask_b32_e32 v1, 0, v1, vcc_lo
	v_cmp_nlt_f32_e32 vcc_lo, 0x42b17218, v20
	s_delay_alu instid0(VALU_DEP_2) | instskip(SKIP_2) | instid1(VALU_DEP_3)
	v_cndmask_b32_e32 v1, 0x7f800000, v1, vcc_lo
	v_cmp_ngt_f32_e32 vcc_lo, 0xc2ce8ed0, v19
	v_mul_f32_e32 v22, 0x3fb8aa3b, v19
	v_add_f32_e32 v0, v0, v1
	s_delay_alu instid0(VALU_DEP_2) | instskip(SKIP_1) | instid1(VALU_DEP_2)
	v_fma_f32 v3, 0x3fb8aa3b, v19, -v22
	v_rndne_f32_e32 v4, v22
	v_fmac_f32_e32 v3, 0x32a5705f, v19
	s_delay_alu instid0(VALU_DEP_2) | instskip(SKIP_1) | instid1(VALU_DEP_2)
	v_sub_f32_e32 v5, v22, v4
	v_cvt_i32_f32_e32 v4, v4
	v_add_f32_e32 v3, v5, v3
	s_delay_alu instid0(VALU_DEP_1) | instskip(SKIP_2) | instid1(VALU_DEP_1)
	v_exp_f32_e32 v2, v3
	s_waitcnt_depctr 0xfff
	v_ldexp_f32 v2, v2, v4
	v_cndmask_b32_e32 v1, 0, v2, vcc_lo
	v_cmp_nlt_f32_e32 vcc_lo, 0x42b17218, v19
	s_delay_alu instid0(VALU_DEP_2) | instskip(SKIP_2) | instid1(VALU_DEP_3)
	v_cndmask_b32_e32 v1, 0x7f800000, v1, vcc_lo
	v_mul_f32_e32 v5, 0x3fb8aa3b, v18
	v_cmp_ngt_f32_e32 vcc_lo, 0xc2ce8ed0, v18
	v_add_f32_e32 v0, v0, v1
	s_delay_alu instid0(VALU_DEP_3) | instskip(SKIP_1) | instid1(VALU_DEP_2)
	v_fma_f32 v3, 0x3fb8aa3b, v18, -v5
	v_rndne_f32_e32 v21, v5
	v_fmac_f32_e32 v3, 0x32a5705f, v18
	s_delay_alu instid0(VALU_DEP_2) | instskip(NEXT) | instid1(VALU_DEP_1)
	v_sub_f32_e32 v5, v5, v21
	v_add_f32_e32 v3, v5, v3
	v_sub_f32_e32 v5, v16, v11
	v_cvt_i32_f32_e32 v16, v21
	s_delay_alu instid0(VALU_DEP_3) | instskip(SKIP_2) | instid1(VALU_DEP_1)
	v_exp_f32_e32 v2, v3
	s_waitcnt_depctr 0xfff
	v_ldexp_f32 v1, v2, v16
	v_dual_sub_f32 v4, v17, v11 :: v_dual_cndmask_b32 v1, 0, v1
	s_delay_alu instid0(VALU_DEP_1) | instskip(SKIP_1) | instid1(VALU_DEP_2)
	v_mul_f32_e32 v3, 0x3fb8aa3b, v4
	v_cmp_nlt_f32_e32 vcc_lo, 0x42b17218, v18
	v_fma_f32 v17, 0x3fb8aa3b, v4, -v3
	v_rndne_f32_e32 v19, v3
	v_cndmask_b32_e32 v1, 0x7f800000, v1, vcc_lo
	v_cmp_ngt_f32_e32 vcc_lo, 0xc2ce8ed0, v4
	s_delay_alu instid0(VALU_DEP_3) | instskip(SKIP_1) | instid1(VALU_DEP_2)
	v_dual_fmac_f32 v17, 0x32a5705f, v4 :: v_dual_sub_f32 v2, v3, v19
	v_cvt_i32_f32_e32 v19, v19
	v_add_f32_e32 v2, v2, v17
	v_mul_f32_e32 v20, 0x3fb8aa3b, v5
	s_delay_alu instid0(VALU_DEP_2) | instskip(NEXT) | instid1(VALU_DEP_1)
	v_exp_f32_e32 v2, v2
	v_fma_f32 v3, 0x3fb8aa3b, v5, -v20
	v_rndne_f32_e32 v16, v20
	s_delay_alu instid0(VALU_DEP_2) | instskip(NEXT) | instid1(VALU_DEP_2)
	v_fmac_f32_e32 v3, 0x32a5705f, v5
	v_dual_sub_f32 v17, v20, v16 :: v_dual_mul_f32 v20, 0x3fb8aa3b, v15
	s_delay_alu instid0(VALU_DEP_1) | instskip(NEXT) | instid1(VALU_DEP_2)
	v_add_f32_e32 v3, v17, v3
	v_fma_f32 v17, 0x3fb8aa3b, v15, -v20
	v_rndne_f32_e32 v18, v20
	s_delay_alu instid0(VALU_DEP_3) | instskip(NEXT) | instid1(VALU_DEP_2)
	v_exp_f32_e32 v3, v3
	v_fmac_f32_e32 v17, 0x32a5705f, v15
	v_dual_mul_f32 v21, 0x3fb8aa3b, v14 :: v_dual_add_f32 v0, v0, v1
	v_ldexp_f32 v1, v2, v19
	v_sub_f32_e32 v20, v20, v18
	v_cvt_i32_f32_e32 v2, v16
	s_delay_alu instid0(VALU_DEP_4) | instskip(NEXT) | instid1(VALU_DEP_4)
	v_rndne_f32_e32 v19, v21
	v_cndmask_b32_e32 v1, 0, v1, vcc_lo
	s_delay_alu instid0(VALU_DEP_4) | instskip(SKIP_4) | instid1(VALU_DEP_4)
	v_add_f32_e32 v16, v20, v17
	v_fma_f32 v17, 0x3fb8aa3b, v14, -v21
	v_ldexp_f32 v2, v3, v2
	v_cmp_nlt_f32_e32 vcc_lo, 0x42b17218, v4
	v_cvt_i32_f32_e32 v4, v18
	v_fmac_f32_e32 v17, 0x32a5705f, v14
	v_exp_f32_e32 v3, v16
	v_dual_sub_f32 v16, v21, v19 :: v_dual_cndmask_b32 v1, 0x7f800000, v1
	v_cmp_ngt_f32_e32 vcc_lo, 0xc2ce8ed0, v5
	s_delay_alu instid0(VALU_DEP_2)
	v_add_f32_e32 v0, v0, v1
	s_waitcnt_depctr 0xfff
	v_ldexp_f32 v1, v3, v4
	v_cndmask_b32_e32 v2, 0, v2, vcc_lo
	v_cmp_nlt_f32_e32 vcc_lo, 0x42b17218, v5
	v_sub_f32_e32 v4, v13, v11
	v_dual_add_f32 v16, v16, v17 :: v_dual_mul_f32 v13, 0x3fb8aa3b, v12
	s_delay_alu instid0(VALU_DEP_2) | instskip(SKIP_2) | instid1(VALU_DEP_4)
	v_mul_f32_e32 v5, 0x3fb8aa3b, v4
	v_cndmask_b32_e32 v2, 0x7f800000, v2, vcc_lo
	v_cmp_ngt_f32_e32 vcc_lo, 0xc2ce8ed0, v15
	v_exp_f32_e32 v3, v16
	v_mul_f32_e32 v16, 0x3fb8aa3b, v9
	s_delay_alu instid0(VALU_DEP_3) | instskip(SKIP_2) | instid1(VALU_DEP_4)
	v_dual_add_f32 v0, v0, v2 :: v_dual_cndmask_b32 v1, 0, v1
	v_cmp_nlt_f32_e32 vcc_lo, 0x42b17218, v15
	v_cvt_i32_f32_e32 v2, v19
	v_rndne_f32_e32 v17, v16
	s_delay_alu instid0(VALU_DEP_4)
	v_cndmask_b32_e32 v1, 0x7f800000, v1, vcc_lo
	s_delay_alu instid0(TRANS32_DEP_1) | instid1(VALU_DEP_3)
	v_ldexp_f32 v2, v3, v2
	v_rndne_f32_e32 v3, v5
	v_cmp_ngt_f32_e32 vcc_lo, 0xc2ce8ed0, v14
	s_delay_alu instid0(VALU_DEP_4) | instskip(SKIP_1) | instid1(VALU_DEP_4)
	v_add_f32_e32 v0, v0, v1
	v_fma_f32 v1, 0x3fb8aa3b, v4, -v5
	v_sub_f32_e32 v5, v5, v3
	v_cvt_i32_f32_e32 v3, v3
	s_delay_alu instid0(VALU_DEP_3) | instskip(SKIP_1) | instid1(VALU_DEP_2)
	v_dual_fmac_f32 v1, 0x32a5705f, v4 :: v_dual_cndmask_b32 v2, 0, v2
	v_cmp_nlt_f32_e32 vcc_lo, 0x42b17218, v14
	v_dual_mul_f32 v14, 0x3fb8aa3b, v10 :: v_dual_add_f32 v1, v5, v1
	v_rndne_f32_e32 v5, v13
	s_delay_alu instid0(VALU_DEP_2) | instskip(SKIP_1) | instid1(VALU_DEP_4)
	v_rndne_f32_e32 v15, v14
	v_cndmask_b32_e32 v2, 0x7f800000, v2, vcc_lo
	v_exp_f32_e32 v1, v1
	s_delay_alu instid0(VALU_DEP_3)
	v_sub_f32_e32 v11, v13, v5
	v_cmp_ngt_f32_e32 vcc_lo, 0xc2ce8ed0, v4
	v_cvt_i32_f32_e32 v5, v5
	s_waitcnt_depctr 0xfff
	v_ldexp_f32 v1, v1, v3
	v_add_f32_e32 v0, v0, v2
	v_fma_f32 v2, 0x3fb8aa3b, v12, -v13
	v_fma_f32 v13, 0x3fb8aa3b, v10, -v14
	s_delay_alu instid0(VALU_DEP_4) | instskip(SKIP_1) | instid1(VALU_DEP_3)
	v_cndmask_b32_e32 v1, 0, v1, vcc_lo
	v_cmp_nlt_f32_e32 vcc_lo, 0x42b17218, v4
	v_dual_fmac_f32 v2, 0x32a5705f, v12 :: v_dual_fmac_f32 v13, 0x32a5705f, v10
	v_cvt_i32_f32_e32 v4, v15
	s_delay_alu instid0(VALU_DEP_2) | instskip(SKIP_3) | instid1(VALU_DEP_4)
	v_dual_cndmask_b32 v1, 0x7f800000, v1 :: v_dual_add_f32 v2, v11, v2
	v_sub_f32_e32 v11, v14, v15
	v_fma_f32 v14, 0x3fb8aa3b, v9, -v16
	v_cmp_ngt_f32_e32 vcc_lo, 0xc2ce8ed0, v12
	v_add_f32_e32 v0, v0, v1
	v_exp_f32_e32 v2, v2
	v_add_f32_e32 v3, v11, v13
	v_fmac_f32_e32 v14, 0x32a5705f, v9
	v_sub_f32_e32 v11, v16, v17
	s_delay_alu instid0(VALU_DEP_3) | instskip(NEXT) | instid1(VALU_DEP_1)
	v_exp_f32_e32 v3, v3
	v_add_f32_e32 v11, v11, v14
	s_waitcnt_depctr 0xfff
	v_ldexp_f32 v2, v2, v5
	v_exp_f32_e32 v5, v11
	v_ldexp_f32 v1, v3, v4
	s_delay_alu instid0(VALU_DEP_2) | instskip(SKIP_2) | instid1(VALU_DEP_3)
	v_cndmask_b32_e32 v2, 0, v2, vcc_lo
	v_cmp_nlt_f32_e32 vcc_lo, 0x42b17218, v12
	v_cvt_i32_f32_e32 v3, v17
	v_cndmask_b32_e32 v2, 0x7f800000, v2, vcc_lo
	v_cmp_ngt_f32_e32 vcc_lo, 0xc2ce8ed0, v10
	s_delay_alu instid0(TRANS32_DEP_1) | instid1(VALU_DEP_3)
	v_ldexp_f32 v3, v5, v3
	v_cndmask_b32_e32 v1, 0, v1, vcc_lo
	v_cmp_nlt_f32_e32 vcc_lo, 0x42b17218, v10
	s_delay_alu instid0(VALU_DEP_2) | instskip(SKIP_1) | instid1(VALU_DEP_2)
	v_dual_add_f32 v0, v0, v2 :: v_dual_cndmask_b32 v1, 0x7f800000, v1
	v_cmp_ngt_f32_e32 vcc_lo, 0xc2ce8ed0, v9
	v_add_f32_e32 v0, v0, v1
	v_cndmask_b32_e32 v2, 0, v3, vcc_lo
	v_cmp_nlt_f32_e32 vcc_lo, 0x42b17218, v9
	s_delay_alu instid0(VALU_DEP_2) | instskip(SKIP_1) | instid1(VALU_DEP_2)
	v_cndmask_b32_e32 v1, 0x7f800000, v2, vcc_lo
	v_cmp_eq_u32_e32 vcc_lo, 0, v8
	v_add_f32_e32 v0, v0, v1
	s_delay_alu instid0(VALU_DEP_1)
	v_mov_b32_dpp v1, v0 quad_perm:[1,0,3,2] row_mask:0xf bank_mask:0xf
	s_and_b32 exec_lo, exec_lo, vcc_lo
	s_cbranch_execz .LBB157_21
; %bb.17:
	s_delay_alu instid0(VALU_DEP_1) | instskip(NEXT) | instid1(VALU_DEP_1)
	v_add_f32_e32 v0, v0, v1
	v_add_f32_e32 v0, v6, v0
	s_delay_alu instid0(VALU_DEP_1)
	v_cmp_neq_f32_e32 vcc_lo, 0, v0
	s_and_b32 exec_lo, exec_lo, vcc_lo
	s_cbranch_execz .LBB157_21
; %bb.18:
	s_and_not1_b32 vcc_lo, exec_lo, s3
	s_cbranch_vccnz .LBB157_21
; %bb.19:
	v_div_scale_f32 v2, null, v0, v0, 1.0
	v_div_scale_f32 v4, vcc_lo, 1.0, v0, 1.0
	s_delay_alu instid0(VALU_DEP_2) | instskip(SKIP_2) | instid1(VALU_DEP_1)
	v_rcp_f32_e32 v3, v2
	s_waitcnt_depctr 0xfff
	v_fma_f32 v1, -v2, v3, 1.0
	v_fmac_f32_e32 v3, v1, v3
	v_mul_lo_u32 v1, v7, s7
	s_delay_alu instid0(VALU_DEP_2) | instskip(NEXT) | instid1(VALU_DEP_1)
	v_mul_f32_e32 v5, v4, v3
	v_fma_f32 v6, -v2, v5, v4
	s_delay_alu instid0(VALU_DEP_1) | instskip(NEXT) | instid1(VALU_DEP_1)
	v_fmac_f32_e32 v5, v6, v3
	v_fma_f32 v4, -v2, v5, v4
	v_ashrrev_i32_e32 v2, 31, v1
	s_delay_alu instid0(VALU_DEP_2) | instskip(NEXT) | instid1(VALU_DEP_2)
	v_div_fmas_f32 v5, v4, v3, v5
	v_lshlrev_b64 v[3:4], 2, v[1:2]
	s_delay_alu instid0(VALU_DEP_2) | instskip(NEXT) | instid1(VALU_DEP_2)
	v_div_fixup_f32 v2, v5, v0, 1.0
	v_add_co_u32 v0, vcc_lo, s12, v3
	s_delay_alu instid0(VALU_DEP_3)
	v_add_co_ci_u32_e32 v1, vcc_lo, s13, v4, vcc_lo
.LBB157_20:                             ; =>This Inner Loop Header: Depth=1
	global_load_b32 v3, v[0:1], off
	s_add_i32 s4, s4, -1
	s_delay_alu instid0(SALU_CYCLE_1)
	s_cmp_lg_u32 s4, 0
	s_waitcnt vmcnt(0)
	v_mul_f32_e32 v3, v2, v3
	global_store_b32 v[0:1], v3, off
	v_add_co_u32 v0, vcc_lo, v0, 4
	v_add_co_ci_u32_e32 v1, vcc_lo, 0, v1, vcc_lo
	s_cbranch_scc1 .LBB157_20
.LBB157_21:
	s_nop 0
	s_sendmsg sendmsg(MSG_DEALLOC_VGPRS)
	s_endpgm
	.section	.rodata,"a",@progbits
	.p2align	6, 0x0
	.amdhsa_kernel _ZN4vllm3moe17topkGatingSoftmaxIDF16_Li16ELi32ELi8ELi32ELb0ELi0ELNS0_23SharedExpertScoringFuncE0EEEvPKT_PKbPfiPiS9_iiiiii
		.amdhsa_group_segment_fixed_size 0
		.amdhsa_private_segment_fixed_size 0
		.amdhsa_kernarg_size 72
		.amdhsa_user_sgpr_count 15
		.amdhsa_user_sgpr_dispatch_ptr 0
		.amdhsa_user_sgpr_queue_ptr 0
		.amdhsa_user_sgpr_kernarg_segment_ptr 1
		.amdhsa_user_sgpr_dispatch_id 0
		.amdhsa_user_sgpr_private_segment_size 0
		.amdhsa_wavefront_size32 1
		.amdhsa_uses_dynamic_stack 0
		.amdhsa_enable_private_segment 0
		.amdhsa_system_sgpr_workgroup_id_x 1
		.amdhsa_system_sgpr_workgroup_id_y 0
		.amdhsa_system_sgpr_workgroup_id_z 0
		.amdhsa_system_sgpr_workgroup_info 0
		.amdhsa_system_vgpr_workitem_id 1
		.amdhsa_next_free_vgpr 53
		.amdhsa_next_free_sgpr 19
		.amdhsa_reserve_vcc 1
		.amdhsa_float_round_mode_32 0
		.amdhsa_float_round_mode_16_64 0
		.amdhsa_float_denorm_mode_32 3
		.amdhsa_float_denorm_mode_16_64 3
		.amdhsa_dx10_clamp 1
		.amdhsa_ieee_mode 1
		.amdhsa_fp16_overflow 0
		.amdhsa_workgroup_processor_mode 1
		.amdhsa_memory_ordered 1
		.amdhsa_forward_progress 0
		.amdhsa_shared_vgpr_count 0
		.amdhsa_exception_fp_ieee_invalid_op 0
		.amdhsa_exception_fp_denorm_src 0
		.amdhsa_exception_fp_ieee_div_zero 0
		.amdhsa_exception_fp_ieee_overflow 0
		.amdhsa_exception_fp_ieee_underflow 0
		.amdhsa_exception_fp_ieee_inexact 0
		.amdhsa_exception_int_div_zero 0
	.end_amdhsa_kernel
	.section	.text._ZN4vllm3moe17topkGatingSoftmaxIDF16_Li16ELi32ELi8ELi32ELb0ELi0ELNS0_23SharedExpertScoringFuncE0EEEvPKT_PKbPfiPiS9_iiiiii,"axG",@progbits,_ZN4vllm3moe17topkGatingSoftmaxIDF16_Li16ELi32ELi8ELi32ELb0ELi0ELNS0_23SharedExpertScoringFuncE0EEEvPKT_PKbPfiPiS9_iiiiii,comdat
.Lfunc_end157:
	.size	_ZN4vllm3moe17topkGatingSoftmaxIDF16_Li16ELi32ELi8ELi32ELb0ELi0ELNS0_23SharedExpertScoringFuncE0EEEvPKT_PKbPfiPiS9_iiiiii, .Lfunc_end157-_ZN4vllm3moe17topkGatingSoftmaxIDF16_Li16ELi32ELi8ELi32ELb0ELi0ELNS0_23SharedExpertScoringFuncE0EEEvPKT_PKbPfiPiS9_iiiiii
                                        ; -- End function
	.section	.AMDGPU.csdata,"",@progbits
; Kernel info:
; codeLenInByte = 4864
; NumSgprs: 21
; NumVgprs: 53
; ScratchSize: 0
; MemoryBound: 0
; FloatMode: 240
; IeeeMode: 1
; LDSByteSize: 0 bytes/workgroup (compile time only)
; SGPRBlocks: 2
; VGPRBlocks: 6
; NumSGPRsForWavesPerEU: 21
; NumVGPRsForWavesPerEU: 53
; Occupancy: 16
; WaveLimiterHint : 0
; COMPUTE_PGM_RSRC2:SCRATCH_EN: 0
; COMPUTE_PGM_RSRC2:USER_SGPR: 15
; COMPUTE_PGM_RSRC2:TRAP_HANDLER: 0
; COMPUTE_PGM_RSRC2:TGID_X_EN: 1
; COMPUTE_PGM_RSRC2:TGID_Y_EN: 0
; COMPUTE_PGM_RSRC2:TGID_Z_EN: 0
; COMPUTE_PGM_RSRC2:TIDIG_COMP_CNT: 1
	.section	.text._ZN4vllm3moe17topkGatingSoftmaxIDF16_Li16ELi32ELi8ELi32ELb1ELi1ELNS0_23SharedExpertScoringFuncE1EEEvPKT_PKbPfiPiS9_iiiiii,"axG",@progbits,_ZN4vllm3moe17topkGatingSoftmaxIDF16_Li16ELi32ELi8ELi32ELb1ELi1ELNS0_23SharedExpertScoringFuncE1EEEvPKT_PKbPfiPiS9_iiiiii,comdat
	.protected	_ZN4vllm3moe17topkGatingSoftmaxIDF16_Li16ELi32ELi8ELi32ELb1ELi1ELNS0_23SharedExpertScoringFuncE1EEEvPKT_PKbPfiPiS9_iiiiii ; -- Begin function _ZN4vllm3moe17topkGatingSoftmaxIDF16_Li16ELi32ELi8ELi32ELb1ELi1ELNS0_23SharedExpertScoringFuncE1EEEvPKT_PKbPfiPiS9_iiiiii
	.globl	_ZN4vllm3moe17topkGatingSoftmaxIDF16_Li16ELi32ELi8ELi32ELb1ELi1ELNS0_23SharedExpertScoringFuncE1EEEvPKT_PKbPfiPiS9_iiiiii
	.p2align	8
	.type	_ZN4vllm3moe17topkGatingSoftmaxIDF16_Li16ELi32ELi8ELi32ELb1ELi1ELNS0_23SharedExpertScoringFuncE1EEEvPKT_PKbPfiPiS9_iiiiii,@function
_ZN4vllm3moe17topkGatingSoftmaxIDF16_Li16ELi32ELi8ELi32ELb1ELi1ELNS0_23SharedExpertScoringFuncE1EEEvPKT_PKbPfiPiS9_iiiiii: ; @_ZN4vllm3moe17topkGatingSoftmaxIDF16_Li16ELi32ELi8ELi32ELb1ELi1ELNS0_23SharedExpertScoringFuncE1EEEvPKT_PKbPfiPiS9_iiiiii
; %bb.0:
	s_load_b32 s3, s[0:1], 0x18
	v_bfe_u32 v1, v0, 10, 10
	v_and_b32_e32 v0, 0x3ff, v0
	s_lshl_b32 s17, s15, 7
	s_mov_b32 s2, exec_lo
	s_delay_alu instid0(VALU_DEP_2) | instskip(NEXT) | instid1(VALU_DEP_2)
	v_lshlrev_b32_e32 v42, 4, v1
	v_lshrrev_b32_e32 v43, 1, v0
	s_delay_alu instid0(VALU_DEP_1) | instskip(SKIP_1) | instid1(VALU_DEP_1)
	v_add3_u32 v10, s17, v42, v43
	s_waitcnt lgkmcnt(0)
	v_cmpx_gt_i32_e64 s3, v10
	s_cbranch_execz .LBB158_22
; %bb.1:
	s_clause 0x1
	s_load_b128 s[4:7], s[0:1], 0x0
	s_load_b64 s[12:13], s[0:1], 0x10
	s_waitcnt lgkmcnt(0)
	s_cmp_eq_u64 s[6:7], 0
	s_cbranch_scc1 .LBB158_3
; %bb.2:
	v_ashrrev_i32_e32 v2, 31, v10
	v_add_co_u32 v1, vcc_lo, s6, v10
	s_delay_alu instid0(VALU_DEP_2) | instskip(SKIP_3) | instid1(VALU_DEP_1)
	v_add_co_ci_u32_e32 v2, vcc_lo, s7, v2, vcc_lo
	global_load_u8 v1, v[1:2], off
	s_waitcnt vmcnt(0)
	v_and_b32_e32 v1, 1, v1
	v_cmp_eq_u32_e32 vcc_lo, 1, v1
	s_xor_b32 s2, vcc_lo, -1
	s_delay_alu instid0(SALU_CYCLE_1)
	s_or_not1_b32 s16, s2, exec_lo
	s_branch .LBB158_4
.LBB158_3:
	s_mov_b32 s16, -1
.LBB158_4:
	s_load_b64 s[14:15], s[0:1], 0x40
	v_and_b32_e32 v11, 1, v0
	s_delay_alu instid0(VALU_DEP_1) | instskip(SKIP_3) | instid1(VALU_DEP_1)
	v_dual_mov_b32 v13, 0 :: v_dual_lshlrev_b32 v12, 4, v11
	v_cmp_eq_u32_e64 s2, 0, v11
	s_waitcnt lgkmcnt(0)
	v_mul_lo_u32 v1, v10, s15
	v_ashrrev_i32_e32 v2, 31, v1
	s_delay_alu instid0(VALU_DEP_1) | instskip(SKIP_1) | instid1(VALU_DEP_2)
	v_lshlrev_b64 v[0:1], 1, v[1:2]
	v_lshlrev_b32_e32 v2, 5, v11
	v_add_co_u32 v8, vcc_lo, s4, v0
	s_delay_alu instid0(VALU_DEP_3) | instskip(SKIP_1) | instid1(VALU_DEP_2)
	v_add_co_ci_u32_e32 v9, vcc_lo, s5, v1, vcc_lo
	s_load_b128 s[4:7], s[0:1], 0x30
	v_add_co_u32 v4, vcc_lo, v8, v2
	s_delay_alu instid0(VALU_DEP_2)
	v_add_co_ci_u32_e32 v5, vcc_lo, 0, v9, vcc_lo
	s_clause 0x1
	global_load_b128 v[0:3], v[4:5], off offset:16
	global_load_b128 v[4:7], v[4:5], off
	s_and_saveexec_b32 s8, s2
	s_cbranch_execz .LBB158_6
; %bb.5:
	global_load_u16 v8, v[8:9], off offset:64
	s_mov_b32 s9, 0x3fb8aa3b
	s_waitcnt vmcnt(0)
	v_cvt_f32_f16_e64 v9, -v8
	s_delay_alu instid0(VALU_DEP_1) | instskip(SKIP_1) | instid1(VALU_DEP_2)
	v_mul_f32_e32 v14, 0x3fb8aa3b, v9
	v_cmp_ngt_f32_e32 vcc_lo, 0xc2ce8ed0, v9
	v_rndne_f32_e32 v15, v14
	v_fma_mix_f32 v16, -v8, s9, -v14 op_sel_hi:[1,0,0]
	s_mov_b32 s9, 0x32a5705f
	s_delay_alu instid0(VALU_DEP_2) | instskip(NEXT) | instid1(VALU_DEP_2)
	v_sub_f32_e32 v14, v14, v15
	v_fma_mix_f32 v8, -v8, s9, v16 op_sel_hi:[1,0,0]
	s_delay_alu instid0(VALU_DEP_1) | instskip(SKIP_1) | instid1(VALU_DEP_2)
	v_add_f32_e32 v8, v14, v8
	v_cvt_i32_f32_e32 v14, v15
	v_exp_f32_e32 v8, v8
	s_waitcnt_depctr 0xfff
	v_ldexp_f32 v8, v8, v14
	s_delay_alu instid0(VALU_DEP_1) | instskip(SKIP_1) | instid1(VALU_DEP_2)
	v_cndmask_b32_e32 v8, 0, v8, vcc_lo
	v_cmp_nlt_f32_e32 vcc_lo, 0x42b17218, v9
	v_cndmask_b32_e32 v8, 0x7f800000, v8, vcc_lo
	s_delay_alu instid0(VALU_DEP_1) | instskip(NEXT) | instid1(VALU_DEP_1)
	v_add_f32_e32 v14, 1.0, v8
	v_div_scale_f32 v15, null, v14, v14, 1.0
	v_div_scale_f32 v17, vcc_lo, 1.0, v14, 1.0
	s_delay_alu instid0(VALU_DEP_2) | instskip(SKIP_2) | instid1(VALU_DEP_1)
	v_rcp_f32_e32 v16, v15
	s_waitcnt_depctr 0xfff
	v_fma_f32 v8, -v15, v16, 1.0
	v_fmac_f32_e32 v16, v8, v16
	s_waitcnt lgkmcnt(0)
	v_mad_u64_u32 v[8:9], null, v10, s7, s[4:5]
	s_delay_alu instid0(VALU_DEP_2) | instskip(NEXT) | instid1(VALU_DEP_2)
	v_mul_f32_e32 v18, v17, v16
	v_ashrrev_i32_e32 v9, 31, v8
	s_delay_alu instid0(VALU_DEP_2) | instskip(NEXT) | instid1(VALU_DEP_2)
	v_fma_f32 v19, -v15, v18, v17
	v_lshlrev_b64 v[8:9], 2, v[8:9]
	s_delay_alu instid0(VALU_DEP_2) | instskip(NEXT) | instid1(VALU_DEP_1)
	v_fmac_f32_e32 v18, v19, v16
	v_fma_f32 v15, -v15, v18, v17
	s_delay_alu instid0(VALU_DEP_1) | instskip(NEXT) | instid1(VALU_DEP_4)
	v_div_fmas_f32 v15, v15, v16, v18
	v_add_co_u32 v8, vcc_lo, s12, v8
	v_add_co_ci_u32_e32 v9, vcc_lo, s13, v9, vcc_lo
	s_delay_alu instid0(VALU_DEP_3)
	v_div_fixup_f32 v14, v15, v14, 1.0
	global_store_b32 v[8:9], v14, off
.LBB158_6:
	s_or_b32 exec_lo, exec_lo, s8
	s_waitcnt vmcnt(0)
	v_lshrrev_b32_e32 v15, 16, v4
	v_cvt_f32_f16_e32 v8, v4
	v_or_b32_e32 v9, 1, v12
	v_or_b32_e32 v16, 2, v12
	v_cvt_f32_f16_e32 v19, v6
	v_cvt_f32_f16_e32 v14, v15
	v_cmp_lt_f16_e32 vcc_lo, v4, v15
	v_cvt_f32_f16_e32 v15, v5
	v_lshrrev_b32_e32 v5, 16, v5
	v_lshrrev_b32_e32 v6, 16, v6
	v_or_b32_e32 v20, 4, v12
	v_cvt_f32_f16_e32 v23, v7
	v_or_b32_e32 v22, 5, v12
	v_cvt_f32_f16_e32 v17, v5
	v_cndmask_b32_e32 v18, v8, v14, vcc_lo
	v_cndmask_b32_e32 v4, v12, v9, vcc_lo
	v_cvt_f32_f16_e32 v21, v6
	v_lshrrev_b32_e32 v6, 16, v7
	v_or_b32_e32 v7, 6, v12
	v_cmp_lt_f32_e32 vcc_lo, v18, v15
	v_cvt_f32_f16_e32 v30, v1
	v_lshrrev_b32_e32 v1, 16, v1
	v_cvt_f32_f16_e32 v24, v6
	v_or_b32_e32 v25, 7, v12
	v_dual_cndmask_b32 v5, v18, v15 :: v_dual_cndmask_b32 v4, v4, v16
	v_or_b32_e32 v18, 3, v12
	v_cvt_f32_f16_e32 v32, v1
	v_cvt_f32_f16_e32 v26, v0
	s_delay_alu instid0(VALU_DEP_4)
	v_cmp_lt_f32_e32 vcc_lo, v5, v17
	v_lshrrev_b32_e32 v0, 16, v0
	v_or_b32_e32 v27, 8, v12
	v_cvt_f32_f16_e32 v34, v2
	v_lshrrev_b32_e32 v2, 16, v2
	v_dual_cndmask_b32 v5, v5, v17 :: v_dual_cndmask_b32 v4, v4, v18
	v_cvt_f32_f16_e32 v28, v0
	v_or_b32_e32 v29, 9, v12
	s_delay_alu instid0(VALU_DEP_4) | instskip(NEXT) | instid1(VALU_DEP_4)
	v_cvt_f32_f16_e32 v36, v2
	v_cmp_lt_f32_e32 vcc_lo, v5, v19
	v_cvt_f32_f16_e32 v38, v3
	v_or_b32_e32 v31, 10, v12
	v_or_b32_e32 v33, 11, v12
	;; [unrolled: 1-line block ×3, first 2 shown]
	v_dual_cndmask_b32 v5, v5, v19 :: v_dual_cndmask_b32 v4, v4, v20
	v_or_b32_e32 v37, 13, v12
	v_lshrrev_b32_e32 v2, 16, v3
	v_or_b32_e32 v39, 14, v12
	s_delay_alu instid0(VALU_DEP_4)
	v_cmp_lt_f32_e32 vcc_lo, v5, v21
	v_or_b32_e32 v41, 15, v12
	s_waitcnt lgkmcnt(0)
	s_cmp_gt_i32 s4, 0
	v_cvt_f32_f16_e32 v40, v2
	s_cselect_b32 s15, -1, 0
	v_dual_cndmask_b32 v5, v5, v21 :: v_dual_cndmask_b32 v4, v4, v22
	s_delay_alu instid0(VALU_DEP_1) | instskip(SKIP_1) | instid1(VALU_DEP_3)
	v_cmp_lt_f32_e32 vcc_lo, v5, v23
	v_cndmask_b32_e32 v5, v5, v23, vcc_lo
	v_cndmask_b32_e32 v4, v4, v7, vcc_lo
	s_delay_alu instid0(VALU_DEP_2) | instskip(NEXT) | instid1(VALU_DEP_2)
	v_cmp_lt_f32_e32 vcc_lo, v5, v24
	v_dual_cndmask_b32 v5, v5, v24 :: v_dual_cndmask_b32 v4, v4, v25
	s_delay_alu instid0(VALU_DEP_1) | instskip(NEXT) | instid1(VALU_DEP_2)
	v_cmp_lt_f32_e32 vcc_lo, v5, v26
	v_cndmask_b32_e32 v0, v4, v27, vcc_lo
	v_cndmask_b32_e32 v4, v5, v26, vcc_lo
	s_delay_alu instid0(VALU_DEP_1) | instskip(SKIP_1) | instid1(VALU_DEP_4)
	v_cmp_lt_f32_e32 vcc_lo, v4, v28
	v_cndmask_b32_e32 v4, v4, v28, vcc_lo
	v_cndmask_b32_e32 v0, v0, v29, vcc_lo
	s_delay_alu instid0(VALU_DEP_2) | instskip(SKIP_1) | instid1(VALU_DEP_3)
	v_cmp_lt_f32_e32 vcc_lo, v4, v30
	v_cndmask_b32_e32 v1, v4, v30, vcc_lo
	v_cndmask_b32_e32 v0, v0, v31, vcc_lo
	s_delay_alu instid0(VALU_DEP_2) | instskip(NEXT) | instid1(VALU_DEP_2)
	v_cmp_lt_f32_e32 vcc_lo, v1, v32
	v_dual_cndmask_b32 v1, v1, v32 :: v_dual_cndmask_b32 v0, v0, v33
	s_delay_alu instid0(VALU_DEP_1) | instskip(NEXT) | instid1(VALU_DEP_2)
	v_cmp_lt_f32_e32 vcc_lo, v1, v34
	v_dual_cndmask_b32 v1, v1, v34 :: v_dual_cndmask_b32 v0, v0, v35
	s_delay_alu instid0(VALU_DEP_1) | instskip(NEXT) | instid1(VALU_DEP_2)
	;; [unrolled: 3-line block ×4, first 2 shown]
	v_cmp_lt_f32_e32 vcc_lo, v1, v40
	v_cndmask_b32_e32 v0, v0, v41, vcc_lo
	v_cndmask_b32_e32 v2, v1, v40, vcc_lo
	s_and_b32 vcc_lo, exec_lo, s15
	s_delay_alu instid0(VALU_DEP_2) | instskip(NEXT) | instid1(VALU_DEP_2)
	v_mov_b32_dpp v4, v0 quad_perm:[1,0,3,2] row_mask:0xf bank_mask:0xf
	v_mov_b32_dpp v6, v2 quad_perm:[1,0,3,2] row_mask:0xf bank_mask:0xf
	s_cbranch_vccz .LBB158_18
; %bb.7:
	s_load_b128 s[8:11], s[0:1], 0x20
	s_delay_alu instid0(VALU_DEP_1)
	v_cmp_eq_f32_e32 vcc_lo, v2, v6
	v_cmp_lt_i32_e64 s0, v4, v0
	v_cmp_lt_f32_e64 s1, v2, v6
	v_mul_lo_u32 v1, v10, s7
	v_mul_lo_u32 v3, v10, s14
	;; [unrolled: 1-line block ×3, first 2 shown]
	s_and_b32 s0, vcc_lo, s0
	v_mov_b32_e32 v13, 0
	s_or_b32 vcc_lo, s1, s0
	v_cndmask_b32_e32 v0, v0, v4, vcc_lo
	v_cndmask_b32_e32 v44, v2, v6, vcc_lo
	s_and_saveexec_b32 s1, s2
	s_cbranch_execz .LBB158_9
; %bb.8:
	s_delay_alu instid0(VALU_DEP_1)
	v_sub_f32_e32 v13, v44, v44
	v_cmp_le_i32_e32 vcc_lo, s5, v0
	v_cmp_gt_i32_e64 s0, s6, v0
	v_subrev_nc_u32_e32 v51, s5, v0
	v_ashrrev_i32_e32 v6, 31, v5
	v_mul_f32_e32 v2, 0x3fb8aa3b, v13
	s_delay_alu instid0(VALU_DEP_4) | instskip(NEXT) | instid1(SALU_CYCLE_1)
	s_and_b32 s0, vcc_lo, s0
	s_and_b32 vcc_lo, s16, s0
	s_delay_alu instid0(VALU_DEP_1) | instskip(SKIP_2) | instid1(VALU_DEP_3)
	v_rndne_f32_e32 v47, v2
	v_fma_f32 v4, 0x3fb8aa3b, v13, -v2
	v_lshlrev_b64 v[49:50], 2, v[5:6]
	v_sub_f32_e32 v2, v2, v47
	s_delay_alu instid0(VALU_DEP_3) | instskip(NEXT) | instid1(VALU_DEP_1)
	v_fmamk_f32 v4, v13, 0x32a5705f, v4
	v_add_f32_e32 v4, v2, v4
	v_ashrrev_i32_e32 v2, 31, v1
	s_delay_alu instid0(VALU_DEP_2) | instskip(NEXT) | instid1(VALU_DEP_1)
	v_exp_f32_e32 v52, v4
	v_lshlrev_b64 v[45:46], 2, v[1:2]
	v_ashrrev_i32_e32 v4, 31, v3
	v_cvt_i32_f32_e32 v2, v47
	s_delay_alu instid0(VALU_DEP_2) | instskip(SKIP_3) | instid1(TRANS32_DEP_1)
	v_lshlrev_b64 v[47:48], 2, v[3:4]
	v_cndmask_b32_e32 v4, 32, v51, vcc_lo
	v_add_co_u32 v45, vcc_lo, s12, v45
	v_add_co_ci_u32_e32 v46, vcc_lo, s13, v46, vcc_lo
	v_ldexp_f32 v2, v52, v2
	v_cmp_ngt_f32_e32 vcc_lo, 0xc2ce8ed0, v13
	s_delay_alu instid0(VALU_DEP_2)
	v_cndmask_b32_e32 v2, 0, v2, vcc_lo
	s_waitcnt lgkmcnt(0)
	v_add_co_u32 v47, vcc_lo, s8, v47
	v_add_co_ci_u32_e32 v48, vcc_lo, s9, v48, vcc_lo
	v_cmp_nlt_f32_e32 vcc_lo, 0x42b17218, v13
	v_cndmask_b32_e32 v13, 0x7f800000, v2, vcc_lo
	v_add_co_u32 v49, vcc_lo, s10, v49
	v_add_co_ci_u32_e32 v50, vcc_lo, s11, v50, vcc_lo
	global_store_b32 v[47:48], v4, off
	global_store_b32 v[45:46], v13, off
	;; [unrolled: 1-line block ×3, first 2 shown]
.LBB158_9:
	s_or_b32 exec_lo, exec_lo, s1
	v_ashrrev_i32_e32 v4, 31, v0
	s_mov_b32 s0, exec_lo
	s_delay_alu instid0(VALU_DEP_1) | instskip(NEXT) | instid1(VALU_DEP_1)
	v_lshrrev_b32_e32 v2, 28, v4
	v_add_nc_u32_e32 v6, v0, v2
	s_delay_alu instid0(VALU_DEP_1) | instskip(SKIP_1) | instid1(VALU_DEP_1)
	v_ashrrev_i32_e32 v2, 4, v6
	v_lshrrev_b32_e32 v6, 31, v6
	v_add_nc_u32_e32 v6, v2, v6
	s_delay_alu instid0(VALU_DEP_1) | instskip(NEXT) | instid1(VALU_DEP_1)
	v_and_b32_e32 v6, -2, v6
	v_sub_nc_u32_e32 v6, v2, v6
	s_delay_alu instid0(VALU_DEP_1)
	v_cmpx_eq_u32_e64 v11, v6
	s_cbranch_execz .LBB158_11
; %bb.10:
	v_lshrrev_b32_e32 v4, 27, v4
	v_lshlrev_b32_e32 v2, 4, v2
	s_delay_alu instid0(VALU_DEP_2) | instskip(NEXT) | instid1(VALU_DEP_2)
	v_add_nc_u32_e32 v4, v0, v4
	v_sub_nc_u32_e32 v0, v0, v2
	s_delay_alu instid0(VALU_DEP_2) | instskip(NEXT) | instid1(VALU_DEP_1)
	v_ashrrev_i32_e32 v2, 5, v4
	v_lshl_add_u32 v0, v2, 4, v0
	s_delay_alu instid0(VALU_DEP_1)
	v_cmp_ne_u32_e32 vcc_lo, 15, v0
	v_cndmask_b32_e32 v40, 0xff800000, v40, vcc_lo
	v_cmp_ne_u32_e32 vcc_lo, 14, v0
	v_cndmask_b32_e32 v38, 0xff800000, v38, vcc_lo
	;; [unrolled: 2-line block ×16, first 2 shown]
.LBB158_11:
	s_or_b32 exec_lo, exec_lo, s0
	s_cmp_eq_u32 s4, 1
	s_cbranch_scc1 .LBB158_18
; %bb.12:
	s_add_i32 s17, s17, s3
	v_add_nc_u32_e32 v0, 1, v5
	v_add3_u32 v6, s17, v43, v42
	v_add_nc_u32_e32 v2, 1, v3
	v_add_nc_u32_e32 v4, 1, v1
	s_add_i32 s14, s4, -1
	s_branch .LBB158_14
.LBB158_13:                             ;   in Loop: Header=BB158_14 Depth=1
	s_or_b32 exec_lo, exec_lo, s0
	v_add_nc_u32_e32 v6, s3, v6
	v_add_nc_u32_e32 v0, 1, v0
	;; [unrolled: 1-line block ×4, first 2 shown]
	s_add_i32 s14, s14, -1
	s_delay_alu instid0(SALU_CYCLE_1)
	s_cmp_eq_u32 s14, 0
	s_cbranch_scc1 .LBB158_18
.LBB158_14:                             ; =>This Inner Loop Header: Depth=1
	v_cmp_gt_f32_e32 vcc_lo, v14, v8
	v_cndmask_b32_e32 v3, v8, v14, vcc_lo
	v_cndmask_b32_e32 v1, v12, v9, vcc_lo
	s_delay_alu instid0(VALU_DEP_2) | instskip(SKIP_1) | instid1(VALU_DEP_3)
	v_cmp_gt_f32_e32 vcc_lo, v15, v3
	v_cndmask_b32_e32 v3, v3, v15, vcc_lo
	v_cndmask_b32_e32 v1, v1, v16, vcc_lo
	s_delay_alu instid0(VALU_DEP_2) | instskip(SKIP_1) | instid1(VALU_DEP_3)
	;; [unrolled: 4-line block ×13, first 2 shown]
	v_cmp_gt_f32_e32 vcc_lo, v38, v3
	v_cndmask_b32_e32 v3, v3, v38, vcc_lo
	v_cndmask_b32_e32 v1, v1, v39, vcc_lo
	s_delay_alu instid0(VALU_DEP_2) | instskip(NEXT) | instid1(VALU_DEP_2)
	v_cmp_gt_f32_e32 vcc_lo, v40, v3
	v_cndmask_b32_e32 v5, v1, v41, vcc_lo
	v_cndmask_b32_e32 v1, v3, v40, vcc_lo
	s_delay_alu instid0(VALU_DEP_2) | instskip(NEXT) | instid1(VALU_DEP_2)
	v_mov_b32_dpp v42, v5 quad_perm:[1,0,3,2] row_mask:0xf bank_mask:0xf
	v_mov_b32_dpp v3, v1 quad_perm:[1,0,3,2] row_mask:0xf bank_mask:0xf
	s_delay_alu instid0(VALU_DEP_2) | instskip(NEXT) | instid1(VALU_DEP_2)
	v_cmp_lt_i32_e32 vcc_lo, v42, v5
	v_cmp_eq_f32_e64 s0, v1, v3
	v_cmp_lt_f32_e64 s1, v1, v3
	s_delay_alu instid0(VALU_DEP_2)
	s_and_b32 s0, s0, vcc_lo
	s_delay_alu instid0(VALU_DEP_1) | instid1(SALU_CYCLE_1)
	s_or_b32 vcc_lo, s1, s0
	v_cndmask_b32_e32 v42, v5, v42, vcc_lo
	s_and_saveexec_b32 s1, s2
	s_cbranch_execz .LBB158_16
; %bb.15:                               ;   in Loop: Header=BB158_14 Depth=1
	v_cndmask_b32_e32 v1, v1, v3, vcc_lo
	s_delay_alu instid0(VALU_DEP_2) | instskip(SKIP_4) | instid1(VALU_DEP_4)
	v_cmp_le_i32_e32 vcc_lo, s5, v42
	v_cmp_gt_i32_e64 s0, s6, v42
	v_ashrrev_i32_e32 v5, 31, v4
	v_subrev_nc_u32_e32 v51, s5, v42
	v_sub_f32_e32 v43, v1, v44
	s_and_b32 s0, vcc_lo, s0
	s_delay_alu instid0(SALU_CYCLE_1) | instskip(NEXT) | instid1(VALU_DEP_1)
	s_and_b32 vcc_lo, s16, s0
	v_mul_f32_e32 v1, 0x3fb8aa3b, v43
	s_delay_alu instid0(VALU_DEP_1) | instskip(SKIP_1) | instid1(VALU_DEP_2)
	v_fma_f32 v3, 0x3fb8aa3b, v43, -v1
	v_rndne_f32_e32 v45, v1
	v_fmac_f32_e32 v3, 0x32a5705f, v43
	s_delay_alu instid0(VALU_DEP_2) | instskip(SKIP_2) | instid1(VALU_DEP_3)
	v_sub_f32_e32 v1, v1, v45
	v_cvt_i32_f32_e32 v50, v45
	v_lshlrev_b64 v[45:46], 2, v[4:5]
	v_add_f32_e32 v1, v1, v3
	v_ashrrev_i32_e32 v3, 31, v2
	s_delay_alu instid0(VALU_DEP_2) | instskip(SKIP_1) | instid1(VALU_DEP_2)
	v_exp_f32_e32 v49, v1
	v_ashrrev_i32_e32 v1, 31, v0
	v_lshlrev_b64 v[47:48], 2, v[2:3]
	s_waitcnt_depctr 0xfff
	v_ldexp_f32 v3, v49, v50
	v_lshlrev_b64 v[49:50], 2, v[0:1]
	v_cndmask_b32_e32 v1, 32, v51, vcc_lo
	v_cmp_ngt_f32_e32 vcc_lo, 0xc2ce8ed0, v43
	s_delay_alu instid0(VALU_DEP_4) | instskip(SKIP_3) | instid1(VALU_DEP_4)
	v_cndmask_b32_e32 v3, 0, v3, vcc_lo
	v_add_co_u32 v45, vcc_lo, s12, v45
	v_add_co_ci_u32_e32 v46, vcc_lo, s13, v46, vcc_lo
	v_cmp_nlt_f32_e32 vcc_lo, 0x42b17218, v43
	v_cndmask_b32_e32 v3, 0x7f800000, v3, vcc_lo
	s_waitcnt lgkmcnt(0)
	v_add_co_u32 v47, vcc_lo, s8, v47
	v_add_co_ci_u32_e32 v48, vcc_lo, s9, v48, vcc_lo
	v_add_co_u32 v49, vcc_lo, s10, v49
	v_add_f32_e32 v13, v13, v3
	v_add_co_ci_u32_e32 v50, vcc_lo, s11, v50, vcc_lo
	global_store_b32 v[45:46], v3, off
	global_store_b32 v[47:48], v1, off
	;; [unrolled: 1-line block ×3, first 2 shown]
.LBB158_16:                             ;   in Loop: Header=BB158_14 Depth=1
	s_or_b32 exec_lo, exec_lo, s1
	s_delay_alu instid0(VALU_DEP_1) | instskip(SKIP_1) | instid1(VALU_DEP_1)
	v_ashrrev_i32_e32 v3, 31, v42
	s_mov_b32 s0, exec_lo
	v_lshrrev_b32_e32 v1, 28, v3
	s_delay_alu instid0(VALU_DEP_1) | instskip(NEXT) | instid1(VALU_DEP_1)
	v_add_nc_u32_e32 v5, v42, v1
	v_ashrrev_i32_e32 v1, 4, v5
	v_lshrrev_b32_e32 v5, 31, v5
	s_delay_alu instid0(VALU_DEP_1) | instskip(NEXT) | instid1(VALU_DEP_1)
	v_add_nc_u32_e32 v5, v1, v5
	v_and_b32_e32 v5, -2, v5
	s_delay_alu instid0(VALU_DEP_1) | instskip(NEXT) | instid1(VALU_DEP_1)
	v_sub_nc_u32_e32 v5, v1, v5
	v_cmpx_eq_u32_e64 v11, v5
	s_cbranch_execz .LBB158_13
; %bb.17:                               ;   in Loop: Header=BB158_14 Depth=1
	v_lshrrev_b32_e32 v3, 27, v3
	v_lshlrev_b32_e32 v1, 4, v1
	s_delay_alu instid0(VALU_DEP_2) | instskip(NEXT) | instid1(VALU_DEP_2)
	v_add_nc_u32_e32 v3, v42, v3
	v_sub_nc_u32_e32 v1, v42, v1
	s_delay_alu instid0(VALU_DEP_2) | instskip(NEXT) | instid1(VALU_DEP_1)
	v_ashrrev_i32_e32 v3, 5, v3
	v_lshl_add_u32 v1, v3, 4, v1
	s_delay_alu instid0(VALU_DEP_1)
	v_cmp_ne_u32_e32 vcc_lo, 15, v1
	v_cndmask_b32_e32 v40, 0xff800000, v40, vcc_lo
	v_cmp_ne_u32_e32 vcc_lo, 14, v1
	v_cndmask_b32_e32 v38, 0xff800000, v38, vcc_lo
	;; [unrolled: 2-line block ×16, first 2 shown]
	s_branch .LBB158_13
.LBB158_18:
	v_cmp_neq_f32_e32 vcc_lo, 0, v13
	s_and_b32 s0, s2, vcc_lo
	s_delay_alu instid0(SALU_CYCLE_1)
	s_and_b32 exec_lo, exec_lo, s0
	s_cbranch_execz .LBB158_22
; %bb.19:
	s_and_not1_b32 vcc_lo, exec_lo, s15
	s_cbranch_vccnz .LBB158_22
; %bb.20:
	v_div_scale_f32 v1, null, v13, v13, 1.0
	v_div_scale_f32 v3, vcc_lo, 1.0, v13, 1.0
	s_delay_alu instid0(VALU_DEP_2) | instskip(SKIP_2) | instid1(VALU_DEP_1)
	v_rcp_f32_e32 v2, v1
	s_waitcnt_depctr 0xfff
	v_fma_f32 v0, -v1, v2, 1.0
	v_fmac_f32_e32 v2, v0, v2
	v_mul_lo_u32 v0, v10, s7
	s_delay_alu instid0(VALU_DEP_2) | instskip(NEXT) | instid1(VALU_DEP_1)
	v_mul_f32_e32 v4, v3, v2
	v_fma_f32 v5, -v1, v4, v3
	s_delay_alu instid0(VALU_DEP_1) | instskip(NEXT) | instid1(VALU_DEP_1)
	v_fmac_f32_e32 v4, v5, v2
	v_fma_f32 v3, -v1, v4, v3
	v_ashrrev_i32_e32 v1, 31, v0
	s_delay_alu instid0(VALU_DEP_2) | instskip(NEXT) | instid1(VALU_DEP_2)
	v_div_fmas_f32 v2, v3, v2, v4
	v_lshlrev_b64 v[0:1], 2, v[0:1]
	s_delay_alu instid0(VALU_DEP_2) | instskip(NEXT) | instid1(VALU_DEP_2)
	v_div_fixup_f32 v2, v2, v13, 1.0
	v_add_co_u32 v0, vcc_lo, s12, v0
	s_delay_alu instid0(VALU_DEP_3)
	v_add_co_ci_u32_e32 v1, vcc_lo, s13, v1, vcc_lo
.LBB158_21:                             ; =>This Inner Loop Header: Depth=1
	global_load_b32 v3, v[0:1], off
	s_add_i32 s4, s4, -1
	s_delay_alu instid0(SALU_CYCLE_1)
	s_cmp_lg_u32 s4, 0
	s_waitcnt vmcnt(0)
	v_mul_f32_e32 v3, v2, v3
	global_store_b32 v[0:1], v3, off
	v_add_co_u32 v0, vcc_lo, v0, 4
	v_add_co_ci_u32_e32 v1, vcc_lo, 0, v1, vcc_lo
	s_cbranch_scc1 .LBB158_21
.LBB158_22:
	s_nop 0
	s_sendmsg sendmsg(MSG_DEALLOC_VGPRS)
	s_endpgm
	.section	.rodata,"a",@progbits
	.p2align	6, 0x0
	.amdhsa_kernel _ZN4vllm3moe17topkGatingSoftmaxIDF16_Li16ELi32ELi8ELi32ELb1ELi1ELNS0_23SharedExpertScoringFuncE1EEEvPKT_PKbPfiPiS9_iiiiii
		.amdhsa_group_segment_fixed_size 0
		.amdhsa_private_segment_fixed_size 0
		.amdhsa_kernarg_size 72
		.amdhsa_user_sgpr_count 15
		.amdhsa_user_sgpr_dispatch_ptr 0
		.amdhsa_user_sgpr_queue_ptr 0
		.amdhsa_user_sgpr_kernarg_segment_ptr 1
		.amdhsa_user_sgpr_dispatch_id 0
		.amdhsa_user_sgpr_private_segment_size 0
		.amdhsa_wavefront_size32 1
		.amdhsa_uses_dynamic_stack 0
		.amdhsa_enable_private_segment 0
		.amdhsa_system_sgpr_workgroup_id_x 1
		.amdhsa_system_sgpr_workgroup_id_y 0
		.amdhsa_system_sgpr_workgroup_id_z 0
		.amdhsa_system_sgpr_workgroup_info 0
		.amdhsa_system_vgpr_workitem_id 1
		.amdhsa_next_free_vgpr 53
		.amdhsa_next_free_sgpr 18
		.amdhsa_reserve_vcc 1
		.amdhsa_float_round_mode_32 0
		.amdhsa_float_round_mode_16_64 0
		.amdhsa_float_denorm_mode_32 3
		.amdhsa_float_denorm_mode_16_64 3
		.amdhsa_dx10_clamp 1
		.amdhsa_ieee_mode 1
		.amdhsa_fp16_overflow 0
		.amdhsa_workgroup_processor_mode 1
		.amdhsa_memory_ordered 1
		.amdhsa_forward_progress 0
		.amdhsa_shared_vgpr_count 0
		.amdhsa_exception_fp_ieee_invalid_op 0
		.amdhsa_exception_fp_denorm_src 0
		.amdhsa_exception_fp_ieee_div_zero 0
		.amdhsa_exception_fp_ieee_overflow 0
		.amdhsa_exception_fp_ieee_underflow 0
		.amdhsa_exception_fp_ieee_inexact 0
		.amdhsa_exception_int_div_zero 0
	.end_amdhsa_kernel
	.section	.text._ZN4vllm3moe17topkGatingSoftmaxIDF16_Li16ELi32ELi8ELi32ELb1ELi1ELNS0_23SharedExpertScoringFuncE1EEEvPKT_PKbPfiPiS9_iiiiii,"axG",@progbits,_ZN4vllm3moe17topkGatingSoftmaxIDF16_Li16ELi32ELi8ELi32ELb1ELi1ELNS0_23SharedExpertScoringFuncE1EEEvPKT_PKbPfiPiS9_iiiiii,comdat
.Lfunc_end158:
	.size	_ZN4vllm3moe17topkGatingSoftmaxIDF16_Li16ELi32ELi8ELi32ELb1ELi1ELNS0_23SharedExpertScoringFuncE1EEEvPKT_PKbPfiPiS9_iiiiii, .Lfunc_end158-_ZN4vllm3moe17topkGatingSoftmaxIDF16_Li16ELi32ELi8ELi32ELb1ELi1ELNS0_23SharedExpertScoringFuncE1EEEvPKT_PKbPfiPiS9_iiiiii
                                        ; -- End function
	.section	.AMDGPU.csdata,"",@progbits
; Kernel info:
; codeLenInByte = 2816
; NumSgprs: 20
; NumVgprs: 53
; ScratchSize: 0
; MemoryBound: 0
; FloatMode: 240
; IeeeMode: 1
; LDSByteSize: 0 bytes/workgroup (compile time only)
; SGPRBlocks: 2
; VGPRBlocks: 6
; NumSGPRsForWavesPerEU: 20
; NumVGPRsForWavesPerEU: 53
; Occupancy: 16
; WaveLimiterHint : 0
; COMPUTE_PGM_RSRC2:SCRATCH_EN: 0
; COMPUTE_PGM_RSRC2:USER_SGPR: 15
; COMPUTE_PGM_RSRC2:TRAP_HANDLER: 0
; COMPUTE_PGM_RSRC2:TGID_X_EN: 1
; COMPUTE_PGM_RSRC2:TGID_Y_EN: 0
; COMPUTE_PGM_RSRC2:TGID_Z_EN: 0
; COMPUTE_PGM_RSRC2:TIDIG_COMP_CNT: 1
	.section	.text._ZN4vllm3moe17topkGatingSoftmaxIDF16_Li16ELi32ELi8ELi32ELb0ELi1ELNS0_23SharedExpertScoringFuncE1EEEvPKT_PKbPfiPiS9_iiiiii,"axG",@progbits,_ZN4vllm3moe17topkGatingSoftmaxIDF16_Li16ELi32ELi8ELi32ELb0ELi1ELNS0_23SharedExpertScoringFuncE1EEEvPKT_PKbPfiPiS9_iiiiii,comdat
	.protected	_ZN4vllm3moe17topkGatingSoftmaxIDF16_Li16ELi32ELi8ELi32ELb0ELi1ELNS0_23SharedExpertScoringFuncE1EEEvPKT_PKbPfiPiS9_iiiiii ; -- Begin function _ZN4vllm3moe17topkGatingSoftmaxIDF16_Li16ELi32ELi8ELi32ELb0ELi1ELNS0_23SharedExpertScoringFuncE1EEEvPKT_PKbPfiPiS9_iiiiii
	.globl	_ZN4vllm3moe17topkGatingSoftmaxIDF16_Li16ELi32ELi8ELi32ELb0ELi1ELNS0_23SharedExpertScoringFuncE1EEEvPKT_PKbPfiPiS9_iiiiii
	.p2align	8
	.type	_ZN4vllm3moe17topkGatingSoftmaxIDF16_Li16ELi32ELi8ELi32ELb0ELi1ELNS0_23SharedExpertScoringFuncE1EEEvPKT_PKbPfiPiS9_iiiiii,@function
_ZN4vllm3moe17topkGatingSoftmaxIDF16_Li16ELi32ELi8ELi32ELb0ELi1ELNS0_23SharedExpertScoringFuncE1EEEvPKT_PKbPfiPiS9_iiiiii: ; @_ZN4vllm3moe17topkGatingSoftmaxIDF16_Li16ELi32ELi8ELi32ELb0ELi1ELNS0_23SharedExpertScoringFuncE1EEEvPKT_PKbPfiPiS9_iiiiii
; %bb.0:
	s_load_b32 s16, s[0:1], 0x18
	v_bfe_u32 v1, v0, 10, 10
	v_and_b32_e32 v0, 0x3ff, v0
	s_lshl_b32 s18, s15, 7
	s_mov_b32 s2, exec_lo
	s_delay_alu instid0(VALU_DEP_2) | instskip(NEXT) | instid1(VALU_DEP_2)
	v_lshlrev_b32_e32 v40, 4, v1
	v_lshrrev_b32_e32 v42, 1, v0
	s_delay_alu instid0(VALU_DEP_1) | instskip(SKIP_1) | instid1(VALU_DEP_1)
	v_add3_u32 v10, s18, v40, v42
	s_waitcnt lgkmcnt(0)
	v_cmpx_gt_i32_e64 s16, v10
	s_cbranch_execz .LBB159_23
; %bb.1:
	s_clause 0x1
	s_load_b128 s[4:7], s[0:1], 0x0
	s_load_b64 s[12:13], s[0:1], 0x10
	s_waitcnt lgkmcnt(0)
	s_cmp_eq_u64 s[6:7], 0
	s_cbranch_scc1 .LBB159_3
; %bb.2:
	v_ashrrev_i32_e32 v2, 31, v10
	v_add_co_u32 v1, vcc_lo, s6, v10
	s_delay_alu instid0(VALU_DEP_2) | instskip(SKIP_3) | instid1(VALU_DEP_1)
	v_add_co_ci_u32_e32 v2, vcc_lo, s7, v2, vcc_lo
	global_load_u8 v1, v[1:2], off
	s_waitcnt vmcnt(0)
	v_and_b32_e32 v1, 1, v1
	v_cmp_eq_u32_e32 vcc_lo, 1, v1
	s_xor_b32 s2, vcc_lo, -1
	s_delay_alu instid0(SALU_CYCLE_1)
	s_or_not1_b32 s17, s2, exec_lo
	s_branch .LBB159_4
.LBB159_3:
	s_mov_b32 s17, -1
.LBB159_4:
	s_clause 0x1
	s_load_b64 s[14:15], s[0:1], 0x40
	s_load_b128 s[8:11], s[0:1], 0x30
	v_and_b32_e32 v21, 1, v0
	s_delay_alu instid0(VALU_DEP_1) | instskip(SKIP_3) | instid1(VALU_DEP_1)
	v_dual_mov_b32 v11, 0 :: v_dual_lshlrev_b32 v22, 4, v21
	v_cmp_eq_u32_e64 s2, 0, v21
	s_waitcnt lgkmcnt(0)
	v_mul_lo_u32 v1, v10, s15
	v_ashrrev_i32_e32 v2, 31, v1
	s_delay_alu instid0(VALU_DEP_1) | instskip(SKIP_1) | instid1(VALU_DEP_2)
	v_lshlrev_b64 v[0:1], 1, v[1:2]
	v_lshlrev_b32_e32 v2, 5, v21
	v_add_co_u32 v8, vcc_lo, s4, v0
	s_delay_alu instid0(VALU_DEP_3) | instskip(NEXT) | instid1(VALU_DEP_2)
	v_add_co_ci_u32_e32 v9, vcc_lo, s5, v1, vcc_lo
	v_add_co_u32 v4, vcc_lo, v8, v2
	s_delay_alu instid0(VALU_DEP_2)
	v_add_co_ci_u32_e32 v5, vcc_lo, 0, v9, vcc_lo
	s_clause 0x1
	global_load_b128 v[0:3], v[4:5], off offset:16
	global_load_b128 v[4:7], v[4:5], off
	s_and_saveexec_b32 s3, s2
	s_cbranch_execz .LBB159_6
; %bb.5:
	global_load_u16 v8, v[8:9], off offset:64
	s_mov_b32 s4, 0x3fb8aa3b
	s_waitcnt vmcnt(0)
	v_cvt_f32_f16_e64 v9, -v8
	s_delay_alu instid0(VALU_DEP_1) | instskip(SKIP_1) | instid1(VALU_DEP_2)
	v_mul_f32_e32 v12, 0x3fb8aa3b, v9
	v_cmp_ngt_f32_e32 vcc_lo, 0xc2ce8ed0, v9
	v_rndne_f32_e32 v13, v12
	v_fma_mix_f32 v14, -v8, s4, -v12 op_sel_hi:[1,0,0]
	s_mov_b32 s4, 0x32a5705f
	s_delay_alu instid0(VALU_DEP_2) | instskip(NEXT) | instid1(VALU_DEP_2)
	v_sub_f32_e32 v12, v12, v13
	v_fma_mix_f32 v8, -v8, s4, v14 op_sel_hi:[1,0,0]
	s_delay_alu instid0(VALU_DEP_1) | instskip(SKIP_1) | instid1(VALU_DEP_2)
	v_add_f32_e32 v8, v12, v8
	v_cvt_i32_f32_e32 v12, v13
	v_exp_f32_e32 v8, v8
	s_waitcnt_depctr 0xfff
	v_ldexp_f32 v8, v8, v12
	s_delay_alu instid0(VALU_DEP_1) | instskip(SKIP_1) | instid1(VALU_DEP_2)
	v_cndmask_b32_e32 v8, 0, v8, vcc_lo
	v_cmp_nlt_f32_e32 vcc_lo, 0x42b17218, v9
	v_cndmask_b32_e32 v8, 0x7f800000, v8, vcc_lo
	s_delay_alu instid0(VALU_DEP_1) | instskip(NEXT) | instid1(VALU_DEP_1)
	v_add_f32_e32 v12, 1.0, v8
	v_div_scale_f32 v13, null, v12, v12, 1.0
	v_div_scale_f32 v15, vcc_lo, 1.0, v12, 1.0
	s_delay_alu instid0(VALU_DEP_2) | instskip(SKIP_2) | instid1(VALU_DEP_1)
	v_rcp_f32_e32 v14, v13
	s_waitcnt_depctr 0xfff
	v_fma_f32 v8, -v13, v14, 1.0
	v_fmac_f32_e32 v14, v8, v14
	v_mad_u64_u32 v[8:9], null, v10, s11, s[8:9]
	s_delay_alu instid0(VALU_DEP_2) | instskip(NEXT) | instid1(VALU_DEP_2)
	v_mul_f32_e32 v16, v15, v14
	v_ashrrev_i32_e32 v9, 31, v8
	s_delay_alu instid0(VALU_DEP_2) | instskip(NEXT) | instid1(VALU_DEP_2)
	v_fma_f32 v17, -v13, v16, v15
	v_lshlrev_b64 v[8:9], 2, v[8:9]
	s_delay_alu instid0(VALU_DEP_2) | instskip(NEXT) | instid1(VALU_DEP_1)
	v_fmac_f32_e32 v16, v17, v14
	v_fma_f32 v13, -v13, v16, v15
	s_delay_alu instid0(VALU_DEP_1) | instskip(NEXT) | instid1(VALU_DEP_4)
	v_div_fmas_f32 v13, v13, v14, v16
	v_add_co_u32 v8, vcc_lo, s12, v8
	v_add_co_ci_u32_e32 v9, vcc_lo, s13, v9, vcc_lo
	s_delay_alu instid0(VALU_DEP_3)
	v_div_fixup_f32 v12, v13, v12, 1.0
	global_store_b32 v[8:9], v12, off
.LBB159_6:
	s_or_b32 exec_lo, exec_lo, s3
	s_waitcnt vmcnt(0)
	v_lshrrev_b32_e32 v8, 16, v4
	v_cvt_f32_f16_e32 v24, v4
	v_cvt_f32_f16_e32 v26, v5
	v_lshrrev_b32_e32 v5, 16, v5
	v_or_b32_e32 v28, 1, v22
	v_cvt_f32_f16_e32 v27, v8
	v_cmp_lt_f16_e32 vcc_lo, v4, v8
	v_or_b32_e32 v29, 2, v22
	v_cvt_f32_f16_e32 v25, v5
	v_cvt_f32_f16_e32 v23, v6
	v_or_b32_e32 v30, 3, v22
	v_cndmask_b32_e32 v8, v24, v27, vcc_lo
	v_cndmask_b32_e32 v4, v22, v28, vcc_lo
	v_lshrrev_b32_e32 v6, 16, v6
	v_or_b32_e32 v31, 4, v22
	v_or_b32_e32 v32, 5, v22
	v_cmp_lt_f32_e32 vcc_lo, v8, v26
	v_cvt_f32_f16_e32 v19, v7
	v_cvt_f32_f16_e32 v20, v6
	v_lshrrev_b32_e32 v6, 16, v7
	v_or_b32_e32 v33, 6, v22
	v_cndmask_b32_e32 v5, v8, v26, vcc_lo
	v_cndmask_b32_e32 v4, v4, v29, vcc_lo
	v_cvt_f32_f16_e32 v15, v1
	v_cvt_f32_f16_e32 v18, v6
	v_lshrrev_b32_e32 v1, 16, v1
	v_cmp_lt_f32_e32 vcc_lo, v5, v25
	v_or_b32_e32 v34, 7, v22
	v_cvt_f32_f16_e32 v17, v0
	v_lshrrev_b32_e32 v0, 16, v0
	v_cvt_f32_f16_e32 v14, v1
	v_dual_cndmask_b32 v5, v5, v25 :: v_dual_cndmask_b32 v4, v4, v30
	v_or_b32_e32 v35, 8, v22
	v_cvt_f32_f16_e32 v13, v2
	v_lshrrev_b32_e32 v2, 16, v2
	s_delay_alu instid0(VALU_DEP_4)
	v_cmp_lt_f32_e32 vcc_lo, v5, v23
	v_cvt_f32_f16_e32 v16, v0
	v_or_b32_e32 v36, 9, v22
	v_or_b32_e32 v37, 10, v22
	v_cvt_f32_f16_e32 v12, v2
	v_cndmask_b32_e32 v5, v5, v23, vcc_lo
	v_cndmask_b32_e32 v4, v4, v31, vcc_lo
	v_lshrrev_b32_e32 v2, 16, v3
	v_cvt_f32_f16_e32 v8, v3
	v_or_b32_e32 v38, 11, v22
	v_cmp_lt_f32_e32 vcc_lo, v5, v20
	v_or_b32_e32 v39, 12, v22
	v_cvt_f32_f16_e32 v7, v2
	v_or_b32_e32 v41, 13, v22
	v_or_b32_e32 v43, 14, v22
	v_cndmask_b32_e32 v5, v5, v20, vcc_lo
	v_cndmask_b32_e32 v4, v4, v32, vcc_lo
	v_or_b32_e32 v44, 15, v22
	s_delay_alu instid0(VALU_DEP_3) | instskip(NEXT) | instid1(VALU_DEP_3)
	v_cmp_lt_f32_e32 vcc_lo, v5, v19
	v_dual_cndmask_b32 v5, v5, v19 :: v_dual_cndmask_b32 v4, v4, v33
	s_delay_alu instid0(VALU_DEP_1) | instskip(SKIP_1) | instid1(VALU_DEP_3)
	v_cmp_lt_f32_e32 vcc_lo, v5, v18
	v_cndmask_b32_e32 v5, v5, v18, vcc_lo
	v_cndmask_b32_e32 v4, v4, v34, vcc_lo
	s_delay_alu instid0(VALU_DEP_2) | instskip(NEXT) | instid1(VALU_DEP_2)
	v_cmp_lt_f32_e32 vcc_lo, v5, v17
	v_cndmask_b32_e32 v0, v4, v35, vcc_lo
	v_cndmask_b32_e32 v4, v5, v17, vcc_lo
	s_delay_alu instid0(VALU_DEP_1) | instskip(SKIP_1) | instid1(VALU_DEP_4)
	v_cmp_lt_f32_e32 vcc_lo, v4, v16
	v_cndmask_b32_e32 v4, v4, v16, vcc_lo
	v_cndmask_b32_e32 v0, v0, v36, vcc_lo
	s_delay_alu instid0(VALU_DEP_2) | instskip(SKIP_1) | instid1(VALU_DEP_3)
	v_cmp_lt_f32_e32 vcc_lo, v4, v15
	v_cndmask_b32_e32 v1, v4, v15, vcc_lo
	v_cndmask_b32_e32 v0, v0, v37, vcc_lo
	s_delay_alu instid0(VALU_DEP_2) | instskip(SKIP_1) | instid1(VALU_DEP_3)
	v_cmp_lt_f32_e32 vcc_lo, v1, v14
	v_cndmask_b32_e32 v1, v1, v14, vcc_lo
	v_cndmask_b32_e32 v0, v0, v38, vcc_lo
	s_delay_alu instid0(VALU_DEP_2) | instskip(NEXT) | instid1(VALU_DEP_2)
	v_cmp_lt_f32_e32 vcc_lo, v1, v13
	v_dual_cndmask_b32 v1, v1, v13 :: v_dual_cndmask_b32 v0, v0, v39
	s_delay_alu instid0(VALU_DEP_1) | instskip(NEXT) | instid1(VALU_DEP_2)
	v_cmp_lt_f32_e32 vcc_lo, v1, v12
	v_dual_cndmask_b32 v1, v1, v12 :: v_dual_cndmask_b32 v0, v0, v41
	s_delay_alu instid0(VALU_DEP_1) | instskip(NEXT) | instid1(VALU_DEP_2)
	;; [unrolled: 3-line block ×4, first 2 shown]
	v_mov_b32_dpp v2, v0 quad_perm:[1,0,3,2] row_mask:0xf bank_mask:0xf
	v_mov_b32_dpp v3, v1 quad_perm:[1,0,3,2] row_mask:0xf bank_mask:0xf
	s_delay_alu instid0(VALU_DEP_2) | instskip(NEXT) | instid1(VALU_DEP_2)
	v_cmp_lt_i32_e64 s3, v2, v0
	v_cmp_eq_f32_e32 vcc_lo, v1, v3
	v_cmp_lt_f32_e64 s4, v1, v3
	s_delay_alu instid0(VALU_DEP_3)
	s_and_b32 s3, vcc_lo, s3
	s_delay_alu instid0(VALU_DEP_1) | instid1(SALU_CYCLE_1)
	s_or_b32 s3, s4, s3
	s_cmp_gt_i32 s8, 0
	v_cndmask_b32_e64 v9, v1, v3, s3
	s_cselect_b32 s15, -1, 0
	s_delay_alu instid0(SALU_CYCLE_1)
	s_and_b32 vcc_lo, exec_lo, s15
	s_cbranch_vccz .LBB159_18
; %bb.7:
	s_load_b128 s[4:7], s[0:1], 0x20
	v_mul_lo_u32 v1, v10, s11
	v_mul_lo_u32 v3, v10, s14
	;; [unrolled: 1-line block ×3, first 2 shown]
	v_cndmask_b32_e64 v0, v0, v2, s3
	v_mov_b32_e32 v11, 0
	s_and_saveexec_b32 s1, s2
	s_cbranch_execz .LBB159_9
; %bb.8:
	v_sub_f32_e32 v11, v9, v9
	v_cmp_le_i32_e32 vcc_lo, s9, v0
	v_cmp_gt_i32_e64 s0, s10, v0
	v_subrev_nc_u32_e32 v51, s9, v0
	v_ashrrev_i32_e32 v6, 31, v5
	v_mul_f32_e32 v2, 0x3fb8aa3b, v11
	s_delay_alu instid0(VALU_DEP_4) | instskip(NEXT) | instid1(SALU_CYCLE_1)
	s_and_b32 s0, vcc_lo, s0
	s_and_b32 vcc_lo, s17, s0
	s_delay_alu instid0(VALU_DEP_1) | instskip(SKIP_2) | instid1(VALU_DEP_3)
	v_rndne_f32_e32 v47, v2
	v_fma_f32 v4, 0x3fb8aa3b, v11, -v2
	v_lshlrev_b64 v[49:50], 2, v[5:6]
	v_sub_f32_e32 v2, v2, v47
	s_delay_alu instid0(VALU_DEP_3) | instskip(NEXT) | instid1(VALU_DEP_1)
	v_fmamk_f32 v4, v11, 0x32a5705f, v4
	v_add_f32_e32 v4, v2, v4
	v_ashrrev_i32_e32 v2, 31, v1
	s_delay_alu instid0(VALU_DEP_2) | instskip(NEXT) | instid1(VALU_DEP_1)
	v_exp_f32_e32 v52, v4
	v_lshlrev_b64 v[45:46], 2, v[1:2]
	v_ashrrev_i32_e32 v4, 31, v3
	v_cvt_i32_f32_e32 v2, v47
	s_delay_alu instid0(VALU_DEP_2) | instskip(SKIP_3) | instid1(TRANS32_DEP_1)
	v_lshlrev_b64 v[47:48], 2, v[3:4]
	v_cndmask_b32_e32 v4, 32, v51, vcc_lo
	v_add_co_u32 v45, vcc_lo, s12, v45
	v_add_co_ci_u32_e32 v46, vcc_lo, s13, v46, vcc_lo
	v_ldexp_f32 v2, v52, v2
	v_cmp_ngt_f32_e32 vcc_lo, 0xc2ce8ed0, v11
	s_delay_alu instid0(VALU_DEP_2)
	v_cndmask_b32_e32 v2, 0, v2, vcc_lo
	s_waitcnt lgkmcnt(0)
	v_add_co_u32 v47, vcc_lo, s4, v47
	v_add_co_ci_u32_e32 v48, vcc_lo, s5, v48, vcc_lo
	v_cmp_nlt_f32_e32 vcc_lo, 0x42b17218, v11
	v_cndmask_b32_e32 v11, 0x7f800000, v2, vcc_lo
	v_add_co_u32 v49, vcc_lo, s6, v49
	v_add_co_ci_u32_e32 v50, vcc_lo, s7, v50, vcc_lo
	global_store_b32 v[47:48], v4, off
	global_store_b32 v[45:46], v11, off
	;; [unrolled: 1-line block ×3, first 2 shown]
.LBB159_9:
	s_or_b32 exec_lo, exec_lo, s1
	v_ashrrev_i32_e32 v4, 31, v0
	s_mov_b32 s0, exec_lo
	s_delay_alu instid0(VALU_DEP_1) | instskip(NEXT) | instid1(VALU_DEP_1)
	v_lshrrev_b32_e32 v2, 28, v4
	v_add_nc_u32_e32 v6, v0, v2
	s_delay_alu instid0(VALU_DEP_1) | instskip(SKIP_1) | instid1(VALU_DEP_1)
	v_ashrrev_i32_e32 v2, 4, v6
	v_lshrrev_b32_e32 v6, 31, v6
	v_add_nc_u32_e32 v6, v2, v6
	s_delay_alu instid0(VALU_DEP_1) | instskip(NEXT) | instid1(VALU_DEP_1)
	v_and_b32_e32 v6, -2, v6
	v_sub_nc_u32_e32 v6, v2, v6
	s_delay_alu instid0(VALU_DEP_1)
	v_cmpx_eq_u32_e64 v21, v6
	s_cbranch_execz .LBB159_11
; %bb.10:
	v_lshrrev_b32_e32 v4, 27, v4
	v_lshlrev_b32_e32 v2, 4, v2
	s_delay_alu instid0(VALU_DEP_2) | instskip(NEXT) | instid1(VALU_DEP_2)
	v_add_nc_u32_e32 v4, v0, v4
	v_sub_nc_u32_e32 v0, v0, v2
	s_delay_alu instid0(VALU_DEP_2) | instskip(NEXT) | instid1(VALU_DEP_1)
	v_ashrrev_i32_e32 v2, 5, v4
	v_lshl_add_u32 v0, v2, 4, v0
	s_delay_alu instid0(VALU_DEP_1)
	v_cmp_ne_u32_e32 vcc_lo, 15, v0
	v_cndmask_b32_e32 v7, 0xff800000, v7, vcc_lo
	v_cmp_ne_u32_e32 vcc_lo, 14, v0
	v_cndmask_b32_e32 v8, 0xff800000, v8, vcc_lo
	;; [unrolled: 2-line block ×16, first 2 shown]
.LBB159_11:
	s_or_b32 exec_lo, exec_lo, s0
	s_cmp_eq_u32 s8, 1
	s_cbranch_scc1 .LBB159_18
; %bb.12:
	s_add_i32 s18, s18, s16
	v_add_nc_u32_e32 v0, 1, v5
	v_add3_u32 v6, s18, v42, v40
	v_add_nc_u32_e32 v2, 1, v3
	v_add_nc_u32_e32 v4, 1, v1
	s_add_i32 s3, s8, -1
	s_branch .LBB159_14
.LBB159_13:                             ;   in Loop: Header=BB159_14 Depth=1
	s_or_b32 exec_lo, exec_lo, s0
	v_add_nc_u32_e32 v6, s16, v6
	v_add_nc_u32_e32 v0, 1, v0
	;; [unrolled: 1-line block ×4, first 2 shown]
	s_add_i32 s3, s3, -1
	s_delay_alu instid0(SALU_CYCLE_1)
	s_cmp_eq_u32 s3, 0
	s_cbranch_scc1 .LBB159_18
.LBB159_14:                             ; =>This Inner Loop Header: Depth=1
	v_cmp_gt_f32_e32 vcc_lo, v27, v24
	v_cndmask_b32_e32 v3, v24, v27, vcc_lo
	v_cndmask_b32_e32 v1, v22, v28, vcc_lo
	s_delay_alu instid0(VALU_DEP_2) | instskip(SKIP_1) | instid1(VALU_DEP_3)
	v_cmp_gt_f32_e32 vcc_lo, v26, v3
	v_cndmask_b32_e32 v3, v3, v26, vcc_lo
	v_cndmask_b32_e32 v1, v1, v29, vcc_lo
	s_delay_alu instid0(VALU_DEP_2) | instskip(SKIP_1) | instid1(VALU_DEP_3)
	;; [unrolled: 4-line block ×13, first 2 shown]
	v_cmp_gt_f32_e32 vcc_lo, v8, v3
	v_cndmask_b32_e32 v3, v3, v8, vcc_lo
	v_cndmask_b32_e32 v1, v1, v43, vcc_lo
	s_delay_alu instid0(VALU_DEP_2) | instskip(NEXT) | instid1(VALU_DEP_2)
	v_cmp_gt_f32_e32 vcc_lo, v7, v3
	v_cndmask_b32_e32 v5, v1, v44, vcc_lo
	v_cndmask_b32_e32 v1, v3, v7, vcc_lo
	s_delay_alu instid0(VALU_DEP_2) | instskip(NEXT) | instid1(VALU_DEP_2)
	v_mov_b32_dpp v40, v5 quad_perm:[1,0,3,2] row_mask:0xf bank_mask:0xf
	v_mov_b32_dpp v3, v1 quad_perm:[1,0,3,2] row_mask:0xf bank_mask:0xf
	s_delay_alu instid0(VALU_DEP_2) | instskip(NEXT) | instid1(VALU_DEP_2)
	v_cmp_lt_i32_e32 vcc_lo, v40, v5
	v_cmp_eq_f32_e64 s0, v1, v3
	v_cmp_lt_f32_e64 s1, v1, v3
	s_delay_alu instid0(VALU_DEP_2)
	s_and_b32 s0, s0, vcc_lo
	s_delay_alu instid0(VALU_DEP_1) | instid1(SALU_CYCLE_1)
	s_or_b32 vcc_lo, s1, s0
	v_cndmask_b32_e32 v40, v5, v40, vcc_lo
	s_and_saveexec_b32 s1, s2
	s_cbranch_execz .LBB159_16
; %bb.15:                               ;   in Loop: Header=BB159_14 Depth=1
	v_cndmask_b32_e32 v1, v1, v3, vcc_lo
	s_delay_alu instid0(VALU_DEP_2) | instskip(SKIP_3) | instid1(VALU_DEP_3)
	v_cmp_le_i32_e32 vcc_lo, s9, v40
	v_cmp_gt_i32_e64 s0, s10, v40
	v_subrev_nc_u32_e32 v51, s9, v40
	v_ashrrev_i32_e32 v5, 31, v4
	s_and_b32 s0, vcc_lo, s0
	s_delay_alu instid0(SALU_CYCLE_1) | instskip(SKIP_1) | instid1(VALU_DEP_1)
	s_and_b32 vcc_lo, s17, s0
	v_sub_f32_e32 v42, v1, v9
	v_mul_f32_e32 v1, 0x3fb8aa3b, v42
	s_delay_alu instid0(VALU_DEP_1) | instskip(SKIP_1) | instid1(VALU_DEP_2)
	v_fma_f32 v3, 0x3fb8aa3b, v42, -v1
	v_rndne_f32_e32 v45, v1
	v_fmac_f32_e32 v3, 0x32a5705f, v42
	s_delay_alu instid0(VALU_DEP_2) | instskip(SKIP_2) | instid1(VALU_DEP_3)
	v_sub_f32_e32 v1, v1, v45
	v_cvt_i32_f32_e32 v50, v45
	v_lshlrev_b64 v[45:46], 2, v[4:5]
	v_add_f32_e32 v1, v1, v3
	v_ashrrev_i32_e32 v3, 31, v2
	s_delay_alu instid0(VALU_DEP_2) | instskip(SKIP_1) | instid1(VALU_DEP_2)
	v_exp_f32_e32 v49, v1
	v_ashrrev_i32_e32 v1, 31, v0
	v_lshlrev_b64 v[47:48], 2, v[2:3]
	s_waitcnt_depctr 0xfff
	v_ldexp_f32 v3, v49, v50
	v_lshlrev_b64 v[49:50], 2, v[0:1]
	v_cndmask_b32_e32 v1, 32, v51, vcc_lo
	v_cmp_ngt_f32_e32 vcc_lo, 0xc2ce8ed0, v42
	s_delay_alu instid0(VALU_DEP_4) | instskip(SKIP_3) | instid1(VALU_DEP_4)
	v_cndmask_b32_e32 v3, 0, v3, vcc_lo
	v_add_co_u32 v45, vcc_lo, s12, v45
	v_add_co_ci_u32_e32 v46, vcc_lo, s13, v46, vcc_lo
	v_cmp_nlt_f32_e32 vcc_lo, 0x42b17218, v42
	v_cndmask_b32_e32 v3, 0x7f800000, v3, vcc_lo
	s_waitcnt lgkmcnt(0)
	v_add_co_u32 v47, vcc_lo, s4, v47
	v_add_co_ci_u32_e32 v48, vcc_lo, s5, v48, vcc_lo
	v_add_co_u32 v49, vcc_lo, s6, v49
	v_add_f32_e32 v11, v11, v3
	v_add_co_ci_u32_e32 v50, vcc_lo, s7, v50, vcc_lo
	global_store_b32 v[45:46], v3, off
	global_store_b32 v[47:48], v1, off
	;; [unrolled: 1-line block ×3, first 2 shown]
.LBB159_16:                             ;   in Loop: Header=BB159_14 Depth=1
	s_or_b32 exec_lo, exec_lo, s1
	s_delay_alu instid0(VALU_DEP_1) | instskip(SKIP_1) | instid1(VALU_DEP_1)
	v_ashrrev_i32_e32 v3, 31, v40
	s_mov_b32 s0, exec_lo
	v_lshrrev_b32_e32 v1, 28, v3
	s_delay_alu instid0(VALU_DEP_1) | instskip(NEXT) | instid1(VALU_DEP_1)
	v_add_nc_u32_e32 v5, v40, v1
	v_ashrrev_i32_e32 v1, 4, v5
	v_lshrrev_b32_e32 v5, 31, v5
	s_delay_alu instid0(VALU_DEP_1) | instskip(NEXT) | instid1(VALU_DEP_1)
	v_add_nc_u32_e32 v5, v1, v5
	v_and_b32_e32 v5, -2, v5
	s_delay_alu instid0(VALU_DEP_1) | instskip(NEXT) | instid1(VALU_DEP_1)
	v_sub_nc_u32_e32 v5, v1, v5
	v_cmpx_eq_u32_e64 v21, v5
	s_cbranch_execz .LBB159_13
; %bb.17:                               ;   in Loop: Header=BB159_14 Depth=1
	v_lshrrev_b32_e32 v3, 27, v3
	v_lshlrev_b32_e32 v1, 4, v1
	s_delay_alu instid0(VALU_DEP_2) | instskip(NEXT) | instid1(VALU_DEP_2)
	v_add_nc_u32_e32 v3, v40, v3
	v_sub_nc_u32_e32 v1, v40, v1
	s_delay_alu instid0(VALU_DEP_2) | instskip(NEXT) | instid1(VALU_DEP_1)
	v_ashrrev_i32_e32 v3, 5, v3
	v_lshl_add_u32 v1, v3, 4, v1
	s_delay_alu instid0(VALU_DEP_1)
	v_cmp_ne_u32_e32 vcc_lo, 15, v1
	v_cndmask_b32_e32 v7, 0xff800000, v7, vcc_lo
	v_cmp_ne_u32_e32 vcc_lo, 14, v1
	v_cndmask_b32_e32 v8, 0xff800000, v8, vcc_lo
	;; [unrolled: 2-line block ×16, first 2 shown]
	s_branch .LBB159_13
.LBB159_18:
	s_delay_alu instid0(VALU_DEP_1) | instskip(SKIP_3) | instid1(VALU_DEP_4)
	v_sub_f32_e32 v3, v26, v9
	v_sub_f32_e32 v0, v24, v9
	v_sub_f32_e32 v5, v25, v9
	v_sub_f32_e32 v18, v18, v9
	v_dual_sub_f32 v14, v14, v9 :: v_dual_mul_f32 v25, 0x3fb8aa3b, v3
	s_delay_alu instid0(VALU_DEP_4)
	v_dual_sub_f32 v1, v27, v9 :: v_dual_mul_f32 v2, 0x3fb8aa3b, v0
	v_cmp_ngt_f32_e32 vcc_lo, 0xc2ce8ed0, v0
	v_sub_f32_e32 v15, v15, v9
	v_sub_f32_e32 v8, v8, v9
	;; [unrolled: 1-line block ×3, first 2 shown]
	v_fma_f32 v21, 0x3fb8aa3b, v0, -v2
	v_sub_f32_e32 v6, v23, v9
	v_rndne_f32_e32 v22, v2
	v_sub_f32_e32 v19, v19, v9
	s_delay_alu instid0(VALU_DEP_4) | instskip(NEXT) | instid1(VALU_DEP_4)
	v_dual_sub_f32 v20, v20, v9 :: v_dual_fmac_f32 v21, 0x32a5705f, v0
	v_dual_mul_f32 v4, 0x3fb8aa3b, v1 :: v_dual_mul_f32 v27, 0x3fb8aa3b, v6
	s_delay_alu instid0(VALU_DEP_4) | instskip(SKIP_1) | instid1(VALU_DEP_3)
	v_sub_f32_e32 v2, v2, v22
	v_cvt_i32_f32_e32 v22, v22
	v_rndne_f32_e32 v24, v4
	v_fma_f32 v23, 0x3fb8aa3b, v1, -v4
	s_delay_alu instid0(VALU_DEP_2) | instskip(SKIP_3) | instid1(VALU_DEP_2)
	v_sub_f32_e32 v4, v4, v24
	v_add_f32_e32 v2, v2, v21
	v_fma_f32 v21, 0x3fb8aa3b, v3, -v25
	v_cvt_i32_f32_e32 v24, v24
	v_fmac_f32_e32 v21, 0x32a5705f, v3
	s_delay_alu instid0(VALU_DEP_4) | instskip(SKIP_2) | instid1(VALU_DEP_1)
	v_exp_f32_e32 v2, v2
	s_waitcnt_depctr 0xfff
	v_ldexp_f32 v2, v2, v22
	v_dual_fmac_f32 v23, 0x32a5705f, v1 :: v_dual_cndmask_b32 v2, 0, v2
	s_delay_alu instid0(VALU_DEP_1) | instskip(SKIP_3) | instid1(VALU_DEP_3)
	v_add_f32_e32 v4, v4, v23
	v_rndne_f32_e32 v23, v25
	v_mul_f32_e32 v26, 0x3fb8aa3b, v5
	v_cmp_ngt_f32_e32 vcc_lo, 0xc2ce8ed0, v1
	v_sub_f32_e32 v25, v25, v23
	s_delay_alu instid0(VALU_DEP_3) | instskip(SKIP_2) | instid1(VALU_DEP_4)
	v_fma_f32 v28, 0x3fb8aa3b, v5, -v26
	v_rndne_f32_e32 v29, v26
	v_cvt_i32_f32_e32 v23, v23
	v_add_f32_e32 v21, v25, v21
	v_exp_f32_e32 v4, v4
	s_delay_alu instid0(VALU_DEP_1) | instskip(SKIP_2) | instid1(VALU_DEP_1)
	v_exp_f32_e32 v21, v21
	s_waitcnt_depctr 0xfff
	v_ldexp_f32 v4, v4, v24
	v_cndmask_b32_e32 v4, 0, v4, vcc_lo
	v_cmp_nlt_f32_e32 vcc_lo, 0x42b17218, v0
	v_cndmask_b32_e32 v0, 0x7f800000, v2, vcc_lo
	v_cmp_nlt_f32_e32 vcc_lo, 0x42b17218, v1
	v_sub_f32_e32 v22, v26, v29
	v_fma_f32 v2, 0x3fb8aa3b, v6, -v27
	v_cndmask_b32_e32 v1, 0x7f800000, v4, vcc_lo
	v_ldexp_f32 v4, v21, v23
	v_cmp_ngt_f32_e32 vcc_lo, 0xc2ce8ed0, v3
	v_fmac_f32_e32 v28, 0x32a5705f, v5
	v_rndne_f32_e32 v21, v27
	s_delay_alu instid0(VALU_DEP_4) | instskip(SKIP_1) | instid1(VALU_DEP_4)
	v_dual_add_f32 v0, v0, v1 :: v_dual_cndmask_b32 v1, 0, v4
	v_cmp_nlt_f32_e32 vcc_lo, 0x42b17218, v3
	v_add_f32_e32 v22, v22, v28
	v_cvt_i32_f32_e32 v4, v29
	v_sub_f32_e32 v23, v27, v21
	v_cndmask_b32_e32 v1, 0x7f800000, v1, vcc_lo
	s_delay_alu instid0(VALU_DEP_4) | instskip(SKIP_1) | instid1(VALU_DEP_2)
	v_exp_f32_e32 v22, v22
	v_cmp_ngt_f32_e32 vcc_lo, 0xc2ce8ed0, v5
	v_add_f32_e32 v0, v0, v1
	s_waitcnt_depctr 0xfff
	v_ldexp_f32 v3, v22, v4
	s_delay_alu instid0(VALU_DEP_1) | instskip(SKIP_3) | instid1(VALU_DEP_4)
	v_cndmask_b32_e32 v1, 0, v3, vcc_lo
	v_cmp_nlt_f32_e32 vcc_lo, 0x42b17218, v5
	v_cvt_i32_f32_e32 v5, v21
	v_dual_mul_f32 v21, 0x3fb8aa3b, v19 :: v_dual_mul_f32 v4, 0x3fb8aa3b, v20
	v_cndmask_b32_e32 v1, 0x7f800000, v1, vcc_lo
	v_cmp_ngt_f32_e32 vcc_lo, 0xc2ce8ed0, v6
	s_delay_alu instid0(VALU_DEP_3) | instskip(SKIP_1) | instid1(VALU_DEP_2)
	v_fma_f32 v3, 0x3fb8aa3b, v20, -v4
	v_fmac_f32_e32 v2, 0x32a5705f, v6
	v_dual_add_f32 v0, v0, v1 :: v_dual_fmac_f32 v3, 0x32a5705f, v20
	s_delay_alu instid0(VALU_DEP_2) | instskip(NEXT) | instid1(VALU_DEP_1)
	v_add_f32_e32 v2, v23, v2
	v_exp_f32_e32 v2, v2
	s_waitcnt_depctr 0xfff
	v_ldexp_f32 v1, v2, v5
	s_delay_alu instid0(VALU_DEP_1) | instskip(SKIP_2) | instid1(VALU_DEP_2)
	v_cndmask_b32_e32 v1, 0, v1, vcc_lo
	v_rndne_f32_e32 v22, v4
	v_cmp_nlt_f32_e32 vcc_lo, 0x42b17218, v6
	v_dual_sub_f32 v4, v4, v22 :: v_dual_cndmask_b32 v1, 0x7f800000, v1
	v_cvt_i32_f32_e32 v6, v22
	v_cmp_ngt_f32_e32 vcc_lo, 0xc2ce8ed0, v20
	s_delay_alu instid0(VALU_DEP_3) | instskip(SKIP_2) | instid1(VALU_DEP_2)
	v_add_f32_e32 v2, v4, v3
	v_fma_f32 v3, 0x3fb8aa3b, v19, -v21
	v_rndne_f32_e32 v4, v21
	v_fmac_f32_e32 v3, 0x32a5705f, v19
	s_delay_alu instid0(VALU_DEP_2) | instskip(SKIP_1) | instid1(VALU_DEP_2)
	v_sub_f32_e32 v5, v21, v4
	v_cvt_i32_f32_e32 v4, v4
	v_add_f32_e32 v3, v5, v3
	v_mul_f32_e32 v5, 0x3fb8aa3b, v18
	v_exp_f32_e32 v2, v2
	v_add_f32_e32 v0, v0, v1
	s_waitcnt_depctr 0xfff
	v_ldexp_f32 v1, v2, v6
	v_exp_f32_e32 v2, v3
	v_fma_f32 v3, 0x3fb8aa3b, v18, -v5
	v_rndne_f32_e32 v6, v5
	s_delay_alu instid0(VALU_DEP_2)
	v_fmac_f32_e32 v3, 0x32a5705f, v18
	s_waitcnt_depctr 0xfff
	v_ldexp_f32 v2, v2, v4
	v_sub_f32_e32 v4, v17, v9
	v_cndmask_b32_e32 v1, 0, v1, vcc_lo
	v_cmp_nlt_f32_e32 vcc_lo, 0x42b17218, v20
	v_mul_f32_e32 v20, 0x3fb8aa3b, v14
	s_delay_alu instid0(VALU_DEP_3) | instskip(SKIP_3) | instid1(VALU_DEP_4)
	v_cndmask_b32_e32 v1, 0x7f800000, v1, vcc_lo
	v_cmp_ngt_f32_e32 vcc_lo, 0xc2ce8ed0, v19
	v_sub_f32_e32 v5, v5, v6
	v_cvt_i32_f32_e32 v6, v6
	v_dual_add_f32 v0, v0, v1 :: v_dual_cndmask_b32 v1, 0, v2
	v_cmp_nlt_f32_e32 vcc_lo, 0x42b17218, v19
	s_delay_alu instid0(VALU_DEP_2) | instskip(SKIP_3) | instid1(VALU_DEP_4)
	v_cndmask_b32_e32 v1, 0x7f800000, v1, vcc_lo
	v_add_f32_e32 v3, v5, v3
	v_sub_f32_e32 v5, v16, v9
	v_cmp_ngt_f32_e32 vcc_lo, 0xc2ce8ed0, v18
	v_add_f32_e32 v0, v0, v1
	s_delay_alu instid0(VALU_DEP_4) | instskip(NEXT) | instid1(VALU_DEP_3)
	v_exp_f32_e32 v2, v3
	v_mul_f32_e32 v19, 0x3fb8aa3b, v5
	s_waitcnt_depctr 0xfff
	v_ldexp_f32 v1, v2, v6
	v_rndne_f32_e32 v6, v19
	v_mul_f32_e32 v3, 0x3fb8aa3b, v4
	s_delay_alu instid0(VALU_DEP_3) | instskip(SKIP_1) | instid1(VALU_DEP_3)
	v_cndmask_b32_e32 v1, 0, v1, vcc_lo
	v_cmp_nlt_f32_e32 vcc_lo, 0x42b17218, v18
	v_fma_f32 v16, 0x3fb8aa3b, v4, -v3
	v_rndne_f32_e32 v17, v3
	s_delay_alu instid0(VALU_DEP_4) | instskip(NEXT) | instid1(VALU_DEP_3)
	v_cndmask_b32_e32 v1, 0x7f800000, v1, vcc_lo
	v_fmac_f32_e32 v16, 0x32a5705f, v4
	s_delay_alu instid0(VALU_DEP_3) | instskip(SKIP_4) | instid1(VALU_DEP_4)
	v_sub_f32_e32 v2, v3, v17
	v_fma_f32 v3, 0x3fb8aa3b, v5, -v19
	v_cvt_i32_f32_e32 v17, v17
	v_add_f32_e32 v0, v0, v1
	v_cmp_ngt_f32_e32 vcc_lo, 0xc2ce8ed0, v4
	v_dual_add_f32 v2, v2, v16 :: v_dual_fmac_f32 v3, 0x32a5705f, v5
	v_dual_sub_f32 v16, v19, v6 :: v_dual_mul_f32 v19, 0x3fb8aa3b, v15
	s_delay_alu instid0(VALU_DEP_2) | instskip(NEXT) | instid1(VALU_DEP_1)
	v_exp_f32_e32 v2, v2
	v_add_f32_e32 v3, v16, v3
	s_delay_alu instid0(VALU_DEP_2) | instskip(SKIP_1) | instid1(VALU_DEP_3)
	v_fma_f32 v16, 0x3fb8aa3b, v15, -v19
	v_rndne_f32_e32 v18, v19
	v_exp_f32_e32 v3, v3
	s_delay_alu instid0(VALU_DEP_1) | instskip(SKIP_4) | instid1(VALU_DEP_3)
	v_dual_fmac_f32 v16, 0x32a5705f, v15 :: v_dual_sub_f32 v19, v19, v18
	s_waitcnt_depctr 0xfff
	v_ldexp_f32 v1, v2, v17
	v_cvt_i32_f32_e32 v2, v6
	v_rndne_f32_e32 v17, v20
	v_dual_add_f32 v6, v19, v16 :: v_dual_cndmask_b32 v1, 0, v1
	v_cmp_nlt_f32_e32 vcc_lo, 0x42b17218, v4
	s_delay_alu instid0(VALU_DEP_4) | instskip(SKIP_1) | instid1(VALU_DEP_4)
	v_ldexp_f32 v2, v3, v2
	v_fma_f32 v16, 0x3fb8aa3b, v14, -v20
	v_exp_f32_e32 v3, v6
	v_cvt_i32_f32_e32 v4, v18
	v_cndmask_b32_e32 v1, 0x7f800000, v1, vcc_lo
	v_cmp_ngt_f32_e32 vcc_lo, 0xc2ce8ed0, v5
	v_fmac_f32_e32 v16, 0x32a5705f, v14
	s_delay_alu instid0(VALU_DEP_3) | instskip(SKIP_2) | instid1(TRANS32_DEP_1)
	v_add_f32_e32 v0, v0, v1
	v_cndmask_b32_e32 v2, 0, v2, vcc_lo
	v_cmp_nlt_f32_e32 vcc_lo, 0x42b17218, v5
	v_ldexp_f32 v1, v3, v4
	v_dual_sub_f32 v4, v13, v9 :: v_dual_mul_f32 v13, 0x3fb8aa3b, v8
	s_delay_alu instid0(VALU_DEP_4) | instskip(SKIP_1) | instid1(VALU_DEP_2)
	v_cndmask_b32_e32 v2, 0x7f800000, v2, vcc_lo
	v_cmp_ngt_f32_e32 vcc_lo, 0xc2ce8ed0, v15
	v_dual_mul_f32 v5, 0x3fb8aa3b, v4 :: v_dual_add_f32 v0, v0, v2
	v_cndmask_b32_e32 v1, 0, v1, vcc_lo
	v_cmp_nlt_f32_e32 vcc_lo, 0x42b17218, v15
	v_cvt_i32_f32_e32 v2, v17
	v_mul_f32_e32 v15, 0x3fb8aa3b, v7
	s_delay_alu instid0(VALU_DEP_4) | instskip(SKIP_1) | instid1(VALU_DEP_2)
	v_cndmask_b32_e32 v1, 0x7f800000, v1, vcc_lo
	v_cmp_ngt_f32_e32 vcc_lo, 0xc2ce8ed0, v14
	v_add_f32_e32 v0, v0, v1
	v_fma_f32 v1, 0x3fb8aa3b, v4, -v5
	s_delay_alu instid0(VALU_DEP_1) | instskip(NEXT) | instid1(VALU_DEP_1)
	v_dual_sub_f32 v6, v20, v17 :: v_dual_fmac_f32 v1, 0x32a5705f, v4
	v_add_f32_e32 v6, v6, v16
	v_rndne_f32_e32 v16, v15
	s_delay_alu instid0(VALU_DEP_2) | instskip(SKIP_3) | instid1(VALU_DEP_2)
	v_exp_f32_e32 v3, v6
	s_waitcnt_depctr 0xfff
	v_ldexp_f32 v2, v3, v2
	v_rndne_f32_e32 v3, v5
	v_cndmask_b32_e32 v2, 0, v2, vcc_lo
	v_cmp_nlt_f32_e32 vcc_lo, 0x42b17218, v14
	v_rndne_f32_e32 v14, v13
	s_delay_alu instid0(VALU_DEP_4) | instskip(SKIP_3) | instid1(VALU_DEP_4)
	v_dual_sub_f32 v6, v12, v9 :: v_dual_sub_f32 v5, v5, v3
	v_cvt_i32_f32_e32 v3, v3
	v_cndmask_b32_e32 v2, 0x7f800000, v2, vcc_lo
	v_cmp_ngt_f32_e32 vcc_lo, 0xc2ce8ed0, v4
	v_dual_mul_f32 v12, 0x3fb8aa3b, v6 :: v_dual_add_f32 v1, v5, v1
	s_delay_alu instid0(VALU_DEP_3) | instskip(NEXT) | instid1(VALU_DEP_2)
	v_add_f32_e32 v0, v0, v2
	v_fma_f32 v2, 0x3fb8aa3b, v6, -v12
	v_rndne_f32_e32 v5, v12
	s_delay_alu instid0(VALU_DEP_4) | instskip(NEXT) | instid1(VALU_DEP_1)
	v_exp_f32_e32 v1, v1
	v_dual_fmac_f32 v2, 0x32a5705f, v6 :: v_dual_sub_f32 v9, v12, v5
	v_fma_f32 v12, 0x3fb8aa3b, v8, -v13
	v_cvt_i32_f32_e32 v5, v5
	s_delay_alu instid0(VALU_DEP_2) | instskip(NEXT) | instid1(VALU_DEP_4)
	v_fmac_f32_e32 v12, 0x32a5705f, v8
	v_add_f32_e32 v2, v9, v2
	s_waitcnt_depctr 0xfff
	v_ldexp_f32 v1, v1, v3
	v_sub_f32_e32 v9, v13, v14
	v_fma_f32 v13, 0x3fb8aa3b, v7, -v15
	v_exp_f32_e32 v2, v2
	s_delay_alu instid0(VALU_DEP_3) | instskip(SKIP_3) | instid1(VALU_DEP_4)
	v_cndmask_b32_e32 v1, 0, v1, vcc_lo
	v_cmp_nlt_f32_e32 vcc_lo, 0x42b17218, v4
	v_add_f32_e32 v3, v9, v12
	v_cvt_i32_f32_e32 v4, v14
	v_cndmask_b32_e32 v1, 0x7f800000, v1, vcc_lo
	v_sub_f32_e32 v9, v15, v16
	v_cmp_ngt_f32_e32 vcc_lo, 0xc2ce8ed0, v6
	s_delay_alu instid0(TRANS32_DEP_1) | instskip(SKIP_3) | instid1(VALU_DEP_3)
	v_ldexp_f32 v2, v2, v5
	v_fmac_f32_e32 v13, 0x32a5705f, v7
	v_exp_f32_e32 v3, v3
	v_add_f32_e32 v0, v0, v1
	v_cndmask_b32_e32 v2, 0, v2, vcc_lo
	v_cmp_nlt_f32_e32 vcc_lo, 0x42b17218, v6
	s_delay_alu instid0(VALU_DEP_2) | instskip(NEXT) | instid1(VALU_DEP_1)
	v_dual_add_f32 v9, v9, v13 :: v_dual_cndmask_b32 v2, 0x7f800000, v2
	v_exp_f32_e32 v5, v9
	s_waitcnt_depctr 0xfff
	v_ldexp_f32 v1, v3, v4
	v_cvt_i32_f32_e32 v3, v16
	v_cmp_ngt_f32_e32 vcc_lo, 0xc2ce8ed0, v8
	v_add_f32_e32 v0, v0, v2
	s_delay_alu instid0(VALU_DEP_3) | instskip(SKIP_2) | instid1(VALU_DEP_2)
	v_ldexp_f32 v3, v5, v3
	v_cndmask_b32_e32 v1, 0, v1, vcc_lo
	v_cmp_nlt_f32_e32 vcc_lo, 0x42b17218, v8
	v_cndmask_b32_e32 v1, 0x7f800000, v1, vcc_lo
	v_cmp_ngt_f32_e32 vcc_lo, 0xc2ce8ed0, v7
	v_cndmask_b32_e32 v2, 0, v3, vcc_lo
	v_cmp_nlt_f32_e32 vcc_lo, 0x42b17218, v7
	s_delay_alu instid0(VALU_DEP_2) | instskip(NEXT) | instid1(VALU_DEP_1)
	v_dual_add_f32 v0, v0, v1 :: v_dual_cndmask_b32 v1, 0x7f800000, v2
	v_add_f32_e32 v0, v0, v1
	s_delay_alu instid0(VALU_DEP_1)
	v_mov_b32_dpp v1, v0 quad_perm:[1,0,3,2] row_mask:0xf bank_mask:0xf
	s_and_b32 exec_lo, exec_lo, s2
	s_cbranch_execz .LBB159_23
; %bb.19:
	s_delay_alu instid0(VALU_DEP_1) | instskip(NEXT) | instid1(VALU_DEP_1)
	v_add_f32_e32 v0, v0, v1
	v_add_f32_e32 v0, v11, v0
	s_delay_alu instid0(VALU_DEP_1)
	v_cmp_neq_f32_e32 vcc_lo, 0, v0
	s_and_b32 exec_lo, exec_lo, vcc_lo
	s_cbranch_execz .LBB159_23
; %bb.20:
	s_and_not1_b32 vcc_lo, exec_lo, s15
	s_cbranch_vccnz .LBB159_23
; %bb.21:
	v_div_scale_f32 v2, null, v0, v0, 1.0
	v_div_scale_f32 v4, vcc_lo, 1.0, v0, 1.0
	s_delay_alu instid0(VALU_DEP_2) | instskip(SKIP_2) | instid1(VALU_DEP_1)
	v_rcp_f32_e32 v3, v2
	s_waitcnt_depctr 0xfff
	v_fma_f32 v1, -v2, v3, 1.0
	v_fmac_f32_e32 v3, v1, v3
	v_mul_lo_u32 v1, v10, s11
	s_delay_alu instid0(VALU_DEP_2) | instskip(NEXT) | instid1(VALU_DEP_1)
	v_mul_f32_e32 v5, v4, v3
	v_fma_f32 v6, -v2, v5, v4
	s_delay_alu instid0(VALU_DEP_1) | instskip(NEXT) | instid1(VALU_DEP_1)
	v_fmac_f32_e32 v5, v6, v3
	v_fma_f32 v4, -v2, v5, v4
	v_ashrrev_i32_e32 v2, 31, v1
	s_delay_alu instid0(VALU_DEP_2) | instskip(NEXT) | instid1(VALU_DEP_2)
	v_div_fmas_f32 v5, v4, v3, v5
	v_lshlrev_b64 v[3:4], 2, v[1:2]
	s_delay_alu instid0(VALU_DEP_2) | instskip(NEXT) | instid1(VALU_DEP_2)
	v_div_fixup_f32 v2, v5, v0, 1.0
	v_add_co_u32 v0, vcc_lo, s12, v3
	s_delay_alu instid0(VALU_DEP_3)
	v_add_co_ci_u32_e32 v1, vcc_lo, s13, v4, vcc_lo
.LBB159_22:                             ; =>This Inner Loop Header: Depth=1
	global_load_b32 v3, v[0:1], off
	s_add_i32 s8, s8, -1
	s_delay_alu instid0(SALU_CYCLE_1)
	s_cmp_lg_u32 s8, 0
	s_waitcnt vmcnt(0)
	v_mul_f32_e32 v3, v2, v3
	global_store_b32 v[0:1], v3, off
	v_add_co_u32 v0, vcc_lo, v0, 4
	v_add_co_ci_u32_e32 v1, vcc_lo, 0, v1, vcc_lo
	s_cbranch_scc1 .LBB159_22
.LBB159_23:
	s_nop 0
	s_sendmsg sendmsg(MSG_DEALLOC_VGPRS)
	s_endpgm
	.section	.rodata,"a",@progbits
	.p2align	6, 0x0
	.amdhsa_kernel _ZN4vllm3moe17topkGatingSoftmaxIDF16_Li16ELi32ELi8ELi32ELb0ELi1ELNS0_23SharedExpertScoringFuncE1EEEvPKT_PKbPfiPiS9_iiiiii
		.amdhsa_group_segment_fixed_size 0
		.amdhsa_private_segment_fixed_size 0
		.amdhsa_kernarg_size 72
		.amdhsa_user_sgpr_count 15
		.amdhsa_user_sgpr_dispatch_ptr 0
		.amdhsa_user_sgpr_queue_ptr 0
		.amdhsa_user_sgpr_kernarg_segment_ptr 1
		.amdhsa_user_sgpr_dispatch_id 0
		.amdhsa_user_sgpr_private_segment_size 0
		.amdhsa_wavefront_size32 1
		.amdhsa_uses_dynamic_stack 0
		.amdhsa_enable_private_segment 0
		.amdhsa_system_sgpr_workgroup_id_x 1
		.amdhsa_system_sgpr_workgroup_id_y 0
		.amdhsa_system_sgpr_workgroup_id_z 0
		.amdhsa_system_sgpr_workgroup_info 0
		.amdhsa_system_vgpr_workitem_id 1
		.amdhsa_next_free_vgpr 53
		.amdhsa_next_free_sgpr 19
		.amdhsa_reserve_vcc 1
		.amdhsa_float_round_mode_32 0
		.amdhsa_float_round_mode_16_64 0
		.amdhsa_float_denorm_mode_32 3
		.amdhsa_float_denorm_mode_16_64 3
		.amdhsa_dx10_clamp 1
		.amdhsa_ieee_mode 1
		.amdhsa_fp16_overflow 0
		.amdhsa_workgroup_processor_mode 1
		.amdhsa_memory_ordered 1
		.amdhsa_forward_progress 0
		.amdhsa_shared_vgpr_count 0
		.amdhsa_exception_fp_ieee_invalid_op 0
		.amdhsa_exception_fp_denorm_src 0
		.amdhsa_exception_fp_ieee_div_zero 0
		.amdhsa_exception_fp_ieee_overflow 0
		.amdhsa_exception_fp_ieee_underflow 0
		.amdhsa_exception_fp_ieee_inexact 0
		.amdhsa_exception_int_div_zero 0
	.end_amdhsa_kernel
	.section	.text._ZN4vllm3moe17topkGatingSoftmaxIDF16_Li16ELi32ELi8ELi32ELb0ELi1ELNS0_23SharedExpertScoringFuncE1EEEvPKT_PKbPfiPiS9_iiiiii,"axG",@progbits,_ZN4vllm3moe17topkGatingSoftmaxIDF16_Li16ELi32ELi8ELi32ELb0ELi1ELNS0_23SharedExpertScoringFuncE1EEEvPKT_PKbPfiPiS9_iiiiii,comdat
.Lfunc_end159:
	.size	_ZN4vllm3moe17topkGatingSoftmaxIDF16_Li16ELi32ELi8ELi32ELb0ELi1ELNS0_23SharedExpertScoringFuncE1EEEvPKT_PKbPfiPiS9_iiiiii, .Lfunc_end159-_ZN4vllm3moe17topkGatingSoftmaxIDF16_Li16ELi32ELi8ELi32ELb0ELi1ELNS0_23SharedExpertScoringFuncE1EEEvPKT_PKbPfiPiS9_iiiiii
                                        ; -- End function
	.section	.AMDGPU.csdata,"",@progbits
; Kernel info:
; codeLenInByte = 4520
; NumSgprs: 21
; NumVgprs: 53
; ScratchSize: 0
; MemoryBound: 0
; FloatMode: 240
; IeeeMode: 1
; LDSByteSize: 0 bytes/workgroup (compile time only)
; SGPRBlocks: 2
; VGPRBlocks: 6
; NumSGPRsForWavesPerEU: 21
; NumVGPRsForWavesPerEU: 53
; Occupancy: 16
; WaveLimiterHint : 0
; COMPUTE_PGM_RSRC2:SCRATCH_EN: 0
; COMPUTE_PGM_RSRC2:USER_SGPR: 15
; COMPUTE_PGM_RSRC2:TRAP_HANDLER: 0
; COMPUTE_PGM_RSRC2:TGID_X_EN: 1
; COMPUTE_PGM_RSRC2:TGID_Y_EN: 0
; COMPUTE_PGM_RSRC2:TGID_Z_EN: 0
; COMPUTE_PGM_RSRC2:TIDIG_COMP_CNT: 1
	.section	.text._ZN4vllm3moe17topkGatingSoftmaxIDF16_Li16ELi32ELi8ELi32ELb1ELi2ELNS0_23SharedExpertScoringFuncE1EEEvPKT_PKbPfiPiS9_iiiiii,"axG",@progbits,_ZN4vllm3moe17topkGatingSoftmaxIDF16_Li16ELi32ELi8ELi32ELb1ELi2ELNS0_23SharedExpertScoringFuncE1EEEvPKT_PKbPfiPiS9_iiiiii,comdat
	.protected	_ZN4vllm3moe17topkGatingSoftmaxIDF16_Li16ELi32ELi8ELi32ELb1ELi2ELNS0_23SharedExpertScoringFuncE1EEEvPKT_PKbPfiPiS9_iiiiii ; -- Begin function _ZN4vllm3moe17topkGatingSoftmaxIDF16_Li16ELi32ELi8ELi32ELb1ELi2ELNS0_23SharedExpertScoringFuncE1EEEvPKT_PKbPfiPiS9_iiiiii
	.globl	_ZN4vllm3moe17topkGatingSoftmaxIDF16_Li16ELi32ELi8ELi32ELb1ELi2ELNS0_23SharedExpertScoringFuncE1EEEvPKT_PKbPfiPiS9_iiiiii
	.p2align	8
	.type	_ZN4vllm3moe17topkGatingSoftmaxIDF16_Li16ELi32ELi8ELi32ELb1ELi2ELNS0_23SharedExpertScoringFuncE1EEEvPKT_PKbPfiPiS9_iiiiii,@function
_ZN4vllm3moe17topkGatingSoftmaxIDF16_Li16ELi32ELi8ELi32ELb1ELi2ELNS0_23SharedExpertScoringFuncE1EEEvPKT_PKbPfiPiS9_iiiiii: ; @_ZN4vllm3moe17topkGatingSoftmaxIDF16_Li16ELi32ELi8ELi32ELb1ELi2ELNS0_23SharedExpertScoringFuncE1EEEvPKT_PKbPfiPiS9_iiiiii
; %bb.0:
	s_load_b32 s3, s[0:1], 0x18
	v_bfe_u32 v1, v0, 10, 10
	v_and_b32_e32 v0, 0x3ff, v0
	s_lshl_b32 s17, s15, 7
	s_mov_b32 s2, exec_lo
	s_delay_alu instid0(VALU_DEP_2) | instskip(NEXT) | instid1(VALU_DEP_2)
	v_lshlrev_b32_e32 v6, 4, v1
	v_lshrrev_b32_e32 v37, 1, v0
	s_delay_alu instid0(VALU_DEP_1) | instskip(SKIP_1) | instid1(VALU_DEP_1)
	v_add3_u32 v43, s17, v6, v37
	s_waitcnt lgkmcnt(0)
	v_cmpx_gt_i32_e64 s3, v43
	s_cbranch_execz .LBB160_20
; %bb.1:
	s_clause 0x1
	s_load_b128 s[4:7], s[0:1], 0x0
	s_load_b64 s[12:13], s[0:1], 0x10
	s_waitcnt lgkmcnt(0)
	s_cmp_eq_u64 s[6:7], 0
	s_cbranch_scc1 .LBB160_3
; %bb.2:
	v_ashrrev_i32_e32 v2, 31, v43
	v_add_co_u32 v1, vcc_lo, s6, v43
	s_delay_alu instid0(VALU_DEP_2) | instskip(SKIP_3) | instid1(VALU_DEP_1)
	v_add_co_ci_u32_e32 v2, vcc_lo, s7, v2, vcc_lo
	global_load_u8 v1, v[1:2], off
	s_waitcnt vmcnt(0)
	v_and_b32_e32 v1, 1, v1
	v_cmp_eq_u32_e32 vcc_lo, 1, v1
	s_xor_b32 s2, vcc_lo, -1
	s_delay_alu instid0(SALU_CYCLE_1)
	s_or_not1_b32 s16, s2, exec_lo
	s_branch .LBB160_4
.LBB160_3:
	s_mov_b32 s16, -1
.LBB160_4:
	s_load_b64 s[14:15], s[0:1], 0x40
	v_and_b32_e32 v7, 1, v0
	s_mov_b32 s2, 0x3fb8aa3b
	s_waitcnt lgkmcnt(0)
	v_mul_lo_u32 v1, v43, s15
	s_delay_alu instid0(VALU_DEP_1) | instskip(NEXT) | instid1(VALU_DEP_1)
	v_ashrrev_i32_e32 v2, 31, v1
	v_lshlrev_b64 v[0:1], 1, v[1:2]
	v_lshlrev_b32_e32 v2, 5, v7
	s_delay_alu instid0(VALU_DEP_2) | instskip(NEXT) | instid1(VALU_DEP_3)
	v_add_co_u32 v8, vcc_lo, s4, v0
	v_add_co_ci_u32_e32 v9, vcc_lo, s5, v1, vcc_lo
	s_mov_b32 s4, 0x32a5705f
	s_delay_alu instid0(VALU_DEP_2) | instskip(NEXT) | instid1(VALU_DEP_2)
	v_add_co_u32 v4, vcc_lo, v8, v2
	v_add_co_ci_u32_e32 v5, vcc_lo, 0, v9, vcc_lo
	global_load_b128 v[0:3], v[4:5], off
	s_waitcnt vmcnt(0)
	v_cvt_f32_f16_e32 v12, v1
	v_lshrrev_b32_e32 v1, 16, v1
	v_cvt_f32_f16_e32 v16, v2
	v_lshrrev_b32_e32 v2, 16, v2
	;; [unrolled: 2-line block ×3, first 2 shown]
	v_cvt_f32_f16_e32 v14, v1
	v_lshlrev_b32_e32 v10, 1, v7
	v_cvt_f32_f16_e32 v18, v2
	s_delay_alu instid0(VALU_DEP_4) | instskip(NEXT) | instid1(VALU_DEP_3)
	v_cvt_f32_f16_e32 v22, v3
	v_add_co_u32 v8, vcc_lo, v8, v10
	v_add_co_ci_u32_e32 v9, vcc_lo, 0, v9, vcc_lo
	v_cvt_f32_f16_e32 v10, v0
	s_clause 0x1
	global_load_u16 v23, v[8:9], off offset:64
	global_load_b128 v[39:42], v[4:5], off offset:16
	v_lshrrev_b32_e32 v4, 16, v0
	v_lshlrev_b32_e32 v8, 4, v7
	s_delay_alu instid0(VALU_DEP_2) | instskip(SKIP_1) | instid1(VALU_DEP_3)
	v_cvt_f32_f16_e32 v11, v4
	v_cmp_lt_f16_e32 vcc_lo, v0, v4
	v_or_b32_e32 v9, 1, v8
	v_or_b32_e32 v13, 2, v8
	;; [unrolled: 1-line block ×3, first 2 shown]
	v_cndmask_b32_e32 v4, v10, v11, vcc_lo
	s_delay_alu instid0(VALU_DEP_4) | instskip(NEXT) | instid1(VALU_DEP_2)
	v_cndmask_b32_e32 v0, v8, v9, vcc_lo
	v_cmp_lt_f32_e32 vcc_lo, v4, v12
	v_cndmask_b32_e32 v1, v4, v12, vcc_lo
	s_delay_alu instid0(VALU_DEP_3) | instskip(NEXT) | instid1(VALU_DEP_2)
	v_cndmask_b32_e32 v0, v0, v13, vcc_lo
	v_cmp_lt_f32_e32 vcc_lo, v1, v14
	s_delay_alu instid0(VALU_DEP_2) | instskip(NEXT) | instid1(VALU_DEP_1)
	v_dual_cndmask_b32 v1, v1, v14 :: v_dual_cndmask_b32 v0, v0, v15
	v_cmp_lt_f32_e32 vcc_lo, v1, v16
	v_cndmask_b32_e32 v1, v1, v16, vcc_lo
	v_or_b32_e32 v17, 4, v8
	v_or_b32_e32 v19, 5, v8
	;; [unrolled: 1-line block ×10, first 2 shown]
	s_waitcnt vmcnt(1)
	v_cvt_f32_f16_e64 v2, -v23
	s_waitcnt vmcnt(0)
	v_cvt_f32_f16_e32 v28, v40
	v_cvt_f32_f16_e32 v32, v41
	;; [unrolled: 1-line block ×3, first 2 shown]
	v_cndmask_b32_e32 v0, v0, v17, vcc_lo
	v_mul_f32_e32 v4, 0x3fb8aa3b, v2
	v_cmp_lt_f32_e32 vcc_lo, v1, v18
	v_cvt_f32_f16_e32 v36, v42
	s_delay_alu instid0(VALU_DEP_3) | instskip(SKIP_3) | instid1(VALU_DEP_4)
	v_fma_mix_f32 v3, -v23, s2, -v4 op_sel_hi:[1,0,0]
	v_rndne_f32_e32 v5, v4
	v_cndmask_b32_e32 v1, v1, v18, vcc_lo
	v_cmp_ngt_f32_e64 s2, 0xc2ce8ed0, v2
	v_fma_mix_f32 v3, -v23, s4, v3 op_sel_hi:[1,0,0]
	s_delay_alu instid0(VALU_DEP_4) | instskip(SKIP_2) | instid1(VALU_DEP_2)
	v_sub_f32_e32 v4, v4, v5
	v_or_b32_e32 v23, 7, v8
	s_load_b128 s[4:7], s[0:1], 0x30
	v_add_f32_e32 v3, v4, v3
	v_lshrrev_b32_e32 v4, 16, v39
	v_lshrrev_b32_e32 v39, 16, v42
	s_delay_alu instid0(VALU_DEP_3) | instskip(NEXT) | instid1(VALU_DEP_2)
	v_exp_f32_e32 v3, v3
	v_cvt_f32_f16_e32 v26, v4
	v_cndmask_b32_e32 v0, v0, v19, vcc_lo
	v_cmp_lt_f32_e32 vcc_lo, v1, v20
	v_cvt_i32_f32_e32 v4, v5
	v_cvt_f32_f16_e32 v39, v39
	v_cndmask_b32_e32 v1, v1, v20, vcc_lo
	s_delay_alu instid0(TRANS32_DEP_1) | instid1(VALU_DEP_3)
	v_ldexp_f32 v3, v3, v4
	v_lshrrev_b32_e32 v4, 16, v40
	s_waitcnt lgkmcnt(0)
	s_cmp_gt_i32 s4, 0
	s_delay_alu instid0(VALU_DEP_2) | instskip(NEXT) | instid1(VALU_DEP_2)
	v_cndmask_b32_e64 v3, 0, v3, s2
	v_cvt_f32_f16_e32 v30, v4
	v_cndmask_b32_e32 v0, v0, v21, vcc_lo
	v_cmp_lt_f32_e32 vcc_lo, v1, v22
	v_lshrrev_b32_e32 v4, 16, v41
	v_mov_b32_e32 v41, 0
	s_delay_alu instid0(VALU_DEP_4) | instskip(NEXT) | instid1(VALU_DEP_3)
	v_dual_cndmask_b32 v1, v1, v22 :: v_dual_cndmask_b32 v0, v0, v23
	v_cvt_f32_f16_e32 v34, v4
	s_delay_alu instid0(VALU_DEP_2) | instskip(NEXT) | instid1(VALU_DEP_3)
	v_cmp_lt_f32_e32 vcc_lo, v1, v24
	v_dual_cndmask_b32 v1, v1, v24 :: v_dual_cndmask_b32 v0, v0, v25
	s_delay_alu instid0(VALU_DEP_1) | instskip(NEXT) | instid1(VALU_DEP_2)
	v_cmp_lt_f32_e32 vcc_lo, v1, v26
	v_dual_cndmask_b32 v0, v0, v27 :: v_dual_cndmask_b32 v1, v1, v26
	v_cmp_nlt_f32_e32 vcc_lo, 0x42b17218, v2
	v_cndmask_b32_e32 v2, 0x7f800000, v3, vcc_lo
	s_delay_alu instid0(VALU_DEP_3) | instskip(NEXT) | instid1(VALU_DEP_2)
	v_cmp_lt_f32_e32 vcc_lo, v1, v28
	v_dual_add_f32 v46, 1.0, v2 :: v_dual_cndmask_b32 v1, v1, v28
	v_cndmask_b32_e32 v0, v0, v29, vcc_lo
	s_delay_alu instid0(VALU_DEP_2) | instskip(NEXT) | instid1(VALU_DEP_3)
	v_div_scale_f32 v3, null, v46, v46, 1.0
	v_cmp_lt_f32_e32 vcc_lo, v1, v30
	s_delay_alu instid0(VALU_DEP_2) | instskip(NEXT) | instid1(VALU_DEP_3)
	v_rcp_f32_e32 v44, v3
	v_dual_cndmask_b32 v1, v1, v30 :: v_dual_cndmask_b32 v2, v0, v31
	v_mul_lo_u32 v0, v43, s7
	s_cselect_b32 s7, -1, 0
	s_cmp_lt_i32 s4, 1
	s_delay_alu instid0(VALU_DEP_2) | instskip(SKIP_4) | instid1(VALU_DEP_3)
	v_cmp_lt_f32_e32 vcc_lo, v1, v32
	s_waitcnt_depctr 0xfff
	v_fma_f32 v4, -v3, v44, 1.0
	v_dual_cndmask_b32 v1, v1, v32 :: v_dual_cndmask_b32 v2, v2, v33
	v_div_scale_f32 v5, vcc_lo, 1.0, v46, 1.0
	v_fmac_f32_e32 v44, v4, v44
	s_delay_alu instid0(VALU_DEP_3) | instskip(NEXT) | instid1(VALU_DEP_2)
	v_cmp_lt_f32_e64 s2, v1, v34
	v_mul_f32_e32 v45, v5, v44
	s_delay_alu instid0(VALU_DEP_2) | instskip(SKIP_2) | instid1(VALU_DEP_4)
	v_cndmask_b32_e64 v40, v1, v34, s2
	v_cndmask_b32_e64 v4, v2, v35, s2
	v_add3_u32 v1, v0, s4, v7
	v_fma_f32 v42, -v3, v45, v5
	s_delay_alu instid0(VALU_DEP_4) | instskip(NEXT) | instid1(VALU_DEP_3)
	v_cmp_lt_f32_e64 s2, v40, v36
	v_ashrrev_i32_e32 v2, 31, v1
	s_delay_alu instid0(VALU_DEP_3) | instskip(NEXT) | instid1(VALU_DEP_3)
	v_fmac_f32_e32 v45, v42, v44
	v_cndmask_b32_e64 v47, v40, v36, s2
	v_cndmask_b32_e64 v42, v4, v38, s2
	v_or_b32_e32 v40, 15, v8
	s_delay_alu instid0(VALU_DEP_4) | instskip(NEXT) | instid1(VALU_DEP_4)
	v_fma_f32 v3, -v3, v45, v5
	v_cmp_lt_f32_e64 s2, v47, v39
	v_lshlrev_b64 v[4:5], 2, v[1:2]
	s_delay_alu instid0(VALU_DEP_3) | instskip(NEXT) | instid1(VALU_DEP_3)
	v_div_fmas_f32 v2, v3, v44, v45
	v_cndmask_b32_e64 v1, v42, v40, s2
	v_cndmask_b32_e64 v3, v47, v39, s2
	s_delay_alu instid0(VALU_DEP_4)
	v_add_co_u32 v44, vcc_lo, s12, v4
	v_add_co_ci_u32_e32 v45, vcc_lo, s13, v5, vcc_lo
	v_div_fixup_f32 v2, v2, v46, 1.0
	v_mov_b32_dpp v5, v1 quad_perm:[1,0,3,2] row_mask:0xf bank_mask:0xf
	v_mov_b32_dpp v42, v3 quad_perm:[1,0,3,2] row_mask:0xf bank_mask:0xf
	v_cmp_eq_u32_e32 vcc_lo, 0, v7
	global_store_b32 v[44:45], v2, off
	s_cbranch_scc1 .LBB160_16
; %bb.5:
	s_load_b128 s[8:11], s[0:1], 0x20
	v_cmp_eq_f32_e64 s0, v3, v42
	v_cmp_lt_i32_e64 s1, v5, v1
	v_cmp_lt_f32_e64 s2, v3, v42
	v_mul_lo_u32 v2, v43, s14
	v_mul_lo_u32 v4, v43, s4
	v_mov_b32_e32 v41, 0
	s_and_b32 s0, s0, s1
	s_delay_alu instid0(SALU_CYCLE_1) | instskip(NEXT) | instid1(SALU_CYCLE_1)
	s_or_b32 s0, s2, s0
	v_cndmask_b32_e64 v44, v1, v5, s0
	v_cndmask_b32_e64 v42, v3, v42, s0
	s_and_saveexec_b32 s2, vcc_lo
	s_cbranch_execz .LBB160_7
; %bb.6:
	s_delay_alu instid0(VALU_DEP_1)
	v_sub_f32_e32 v41, v42, v42
	v_cmp_le_i32_e64 s0, s5, v44
	v_cmp_gt_i32_e64 s1, s6, v44
	v_subrev_nc_u32_e32 v51, s5, v44
	v_ashrrev_i32_e32 v5, 31, v4
	v_mul_f32_e32 v1, 0x3fb8aa3b, v41
	s_delay_alu instid0(VALU_DEP_4) | instskip(NEXT) | instid1(SALU_CYCLE_1)
	s_and_b32 s0, s0, s1
	s_and_b32 s0, s16, s0
	s_delay_alu instid0(VALU_DEP_1) | instskip(SKIP_2) | instid1(VALU_DEP_3)
	v_rndne_f32_e32 v47, v1
	v_fma_f32 v3, 0x3fb8aa3b, v41, -v1
	v_lshlrev_b64 v[49:50], 2, v[4:5]
	v_sub_f32_e32 v1, v1, v47
	s_delay_alu instid0(VALU_DEP_3) | instskip(NEXT) | instid1(VALU_DEP_1)
	v_fmamk_f32 v3, v41, 0x32a5705f, v3
	v_add_f32_e32 v3, v1, v3
	v_ashrrev_i32_e32 v1, 31, v0
	s_delay_alu instid0(VALU_DEP_2) | instskip(NEXT) | instid1(VALU_DEP_1)
	v_exp_f32_e32 v52, v3
	v_lshlrev_b64 v[45:46], 2, v[0:1]
	v_ashrrev_i32_e32 v3, 31, v2
	v_cvt_i32_f32_e32 v1, v47
	s_delay_alu instid0(VALU_DEP_2) | instskip(SKIP_2) | instid1(VALU_DEP_1)
	v_lshlrev_b64 v[47:48], 2, v[2:3]
	v_cndmask_b32_e64 v3, 32, v51, s0
	v_add_co_u32 v45, s0, s12, v45
	v_add_co_ci_u32_e64 v46, s0, s13, v46, s0
	s_delay_alu instid0(TRANS32_DEP_1) | instskip(SKIP_1) | instid1(VALU_DEP_1)
	v_ldexp_f32 v1, v52, v1
	v_cmp_ngt_f32_e64 s0, 0xc2ce8ed0, v41
	v_cndmask_b32_e64 v1, 0, v1, s0
	s_waitcnt lgkmcnt(0)
	v_add_co_u32 v47, s0, s8, v47
	s_delay_alu instid0(VALU_DEP_1) | instskip(SKIP_1) | instid1(VALU_DEP_1)
	v_add_co_ci_u32_e64 v48, s0, s9, v48, s0
	v_cmp_nlt_f32_e64 s0, 0x42b17218, v41
	v_cndmask_b32_e64 v41, 0x7f800000, v1, s0
	v_add_co_u32 v49, s0, s10, v49
	s_delay_alu instid0(VALU_DEP_1)
	v_add_co_ci_u32_e64 v50, s0, s11, v50, s0
	global_store_b32 v[47:48], v3, off
	global_store_b32 v[45:46], v41, off
	;; [unrolled: 1-line block ×3, first 2 shown]
.LBB160_7:
	s_or_b32 exec_lo, exec_lo, s2
	v_ashrrev_i32_e32 v3, 31, v44
	s_mov_b32 s1, exec_lo
	s_delay_alu instid0(VALU_DEP_1) | instskip(NEXT) | instid1(VALU_DEP_1)
	v_lshrrev_b32_e32 v1, 28, v3
	v_add_nc_u32_e32 v5, v44, v1
	s_delay_alu instid0(VALU_DEP_1) | instskip(SKIP_1) | instid1(VALU_DEP_1)
	v_ashrrev_i32_e32 v1, 4, v5
	v_lshrrev_b32_e32 v5, 31, v5
	v_add_nc_u32_e32 v5, v1, v5
	s_delay_alu instid0(VALU_DEP_1) | instskip(NEXT) | instid1(VALU_DEP_1)
	v_and_b32_e32 v5, -2, v5
	v_sub_nc_u32_e32 v5, v1, v5
	s_delay_alu instid0(VALU_DEP_1)
	v_cmpx_eq_u32_e64 v7, v5
	s_cbranch_execz .LBB160_9
; %bb.8:
	v_lshrrev_b32_e32 v3, 27, v3
	v_lshlrev_b32_e32 v1, 4, v1
	s_delay_alu instid0(VALU_DEP_2) | instskip(NEXT) | instid1(VALU_DEP_2)
	v_add_nc_u32_e32 v3, v44, v3
	v_sub_nc_u32_e32 v1, v44, v1
	s_delay_alu instid0(VALU_DEP_2) | instskip(NEXT) | instid1(VALU_DEP_1)
	v_ashrrev_i32_e32 v3, 5, v3
	v_lshl_add_u32 v1, v3, 4, v1
	s_delay_alu instid0(VALU_DEP_1) | instskip(NEXT) | instid1(VALU_DEP_1)
	v_cmp_ne_u32_e64 s0, 15, v1
	v_cndmask_b32_e64 v39, 0xff800000, v39, s0
	v_cmp_ne_u32_e64 s0, 14, v1
	s_delay_alu instid0(VALU_DEP_1) | instskip(SKIP_1) | instid1(VALU_DEP_1)
	v_cndmask_b32_e64 v36, 0xff800000, v36, s0
	v_cmp_ne_u32_e64 s0, 13, v1
	v_cndmask_b32_e64 v34, 0xff800000, v34, s0
	v_cmp_ne_u32_e64 s0, 12, v1
	s_delay_alu instid0(VALU_DEP_1) | instskip(SKIP_1) | instid1(VALU_DEP_1)
	v_cndmask_b32_e64 v32, 0xff800000, v32, s0
	;; [unrolled: 5-line block ×7, first 2 shown]
	v_cmp_ne_u32_e64 s0, 1, v1
	v_cndmask_b32_e64 v11, 0xff800000, v11, s0
	v_cmp_ne_u32_e64 s0, 0, v1
	s_delay_alu instid0(VALU_DEP_1)
	v_cndmask_b32_e64 v10, 0xff800000, v10, s0
.LBB160_9:
	s_or_b32 exec_lo, exec_lo, s1
	s_cmp_eq_u32 s4, 1
	s_cbranch_scc1 .LBB160_16
; %bb.10:
	s_add_i32 s17, s17, s3
	v_add_nc_u32_e32 v1, 1, v4
	v_add3_u32 v37, s17, v37, v6
	v_add_nc_u32_e32 v3, 1, v2
	v_add_nc_u32_e32 v5, 1, v0
	s_add_i32 s14, s4, -1
	s_branch .LBB160_12
.LBB160_11:                             ;   in Loop: Header=BB160_12 Depth=1
	s_or_b32 exec_lo, exec_lo, s1
	v_add_nc_u32_e32 v37, s3, v37
	v_add_nc_u32_e32 v1, 1, v1
	;; [unrolled: 1-line block ×4, first 2 shown]
	s_add_i32 s14, s14, -1
	s_delay_alu instid0(SALU_CYCLE_1)
	s_cmp_eq_u32 s14, 0
	s_cbranch_scc1 .LBB160_16
.LBB160_12:                             ; =>This Inner Loop Header: Depth=1
	v_cmp_gt_f32_e64 s0, v11, v10
	s_delay_alu instid0(VALU_DEP_1) | instskip(SKIP_1) | instid1(VALU_DEP_2)
	v_cndmask_b32_e64 v4, v10, v11, s0
	v_cndmask_b32_e64 v2, v8, v9, s0
	v_cmp_gt_f32_e64 s0, v12, v4
	s_delay_alu instid0(VALU_DEP_1) | instskip(NEXT) | instid1(VALU_DEP_3)
	v_cndmask_b32_e64 v4, v4, v12, s0
	v_cndmask_b32_e64 v2, v2, v13, s0
	s_delay_alu instid0(VALU_DEP_2) | instskip(NEXT) | instid1(VALU_DEP_1)
	v_cmp_gt_f32_e64 s0, v14, v4
	v_cndmask_b32_e64 v4, v4, v14, s0
	s_delay_alu instid0(VALU_DEP_3) | instskip(NEXT) | instid1(VALU_DEP_2)
	v_cndmask_b32_e64 v2, v2, v15, s0
	v_cmp_gt_f32_e64 s0, v16, v4
	s_delay_alu instid0(VALU_DEP_1) | instskip(NEXT) | instid1(VALU_DEP_3)
	v_cndmask_b32_e64 v4, v4, v16, s0
	v_cndmask_b32_e64 v2, v2, v17, s0
	s_delay_alu instid0(VALU_DEP_2) | instskip(NEXT) | instid1(VALU_DEP_1)
	v_cmp_gt_f32_e64 s0, v18, v4
	v_cndmask_b32_e64 v4, v4, v18, s0
	s_delay_alu instid0(VALU_DEP_3) | instskip(NEXT) | instid1(VALU_DEP_2)
	;; [unrolled: 9-line block ×6, first 2 shown]
	v_cndmask_b32_e64 v2, v2, v35, s0
	v_cmp_gt_f32_e64 s0, v36, v4
	s_delay_alu instid0(VALU_DEP_1) | instskip(NEXT) | instid1(VALU_DEP_3)
	v_cndmask_b32_e64 v4, v4, v36, s0
	v_cndmask_b32_e64 v2, v2, v38, s0
	s_delay_alu instid0(VALU_DEP_2) | instskip(NEXT) | instid1(VALU_DEP_1)
	v_cmp_gt_f32_e64 s0, v39, v4
	v_cndmask_b32_e64 v6, v2, v40, s0
	v_cndmask_b32_e64 v2, v4, v39, s0
	s_delay_alu instid0(VALU_DEP_2) | instskip(NEXT) | instid1(VALU_DEP_2)
	v_mov_b32_dpp v43, v6 quad_perm:[1,0,3,2] row_mask:0xf bank_mask:0xf
	v_mov_b32_dpp v4, v2 quad_perm:[1,0,3,2] row_mask:0xf bank_mask:0xf
	s_delay_alu instid0(VALU_DEP_2) | instskip(NEXT) | instid1(VALU_DEP_2)
	v_cmp_lt_i32_e64 s0, v43, v6
	v_cmp_eq_f32_e64 s1, v2, v4
	v_cmp_lt_f32_e64 s2, v2, v4
	s_delay_alu instid0(VALU_DEP_2)
	s_and_b32 s0, s1, s0
	s_delay_alu instid0(VALU_DEP_1) | instid1(SALU_CYCLE_1)
	s_or_b32 s0, s2, s0
	s_delay_alu instid0(SALU_CYCLE_1)
	v_cndmask_b32_e64 v43, v6, v43, s0
	s_and_saveexec_b32 s2, vcc_lo
	s_cbranch_execz .LBB160_14
; %bb.13:                               ;   in Loop: Header=BB160_12 Depth=1
	v_cndmask_b32_e64 v2, v2, v4, s0
	s_delay_alu instid0(VALU_DEP_2) | instskip(SKIP_4) | instid1(VALU_DEP_4)
	v_cmp_le_i32_e64 s0, s5, v43
	v_cmp_gt_i32_e64 s1, s6, v43
	v_ashrrev_i32_e32 v6, 31, v5
	v_subrev_nc_u32_e32 v51, s5, v43
	v_sub_f32_e32 v50, v2, v42
	s_and_b32 s0, s0, s1
	s_delay_alu instid0(SALU_CYCLE_1) | instskip(NEXT) | instid1(VALU_DEP_1)
	s_and_b32 s0, s16, s0
	v_mul_f32_e32 v2, 0x3fb8aa3b, v50
	s_delay_alu instid0(VALU_DEP_1) | instskip(SKIP_1) | instid1(VALU_DEP_2)
	v_fma_f32 v4, 0x3fb8aa3b, v50, -v2
	v_rndne_f32_e32 v44, v2
	v_fmac_f32_e32 v4, 0x32a5705f, v50
	s_delay_alu instid0(VALU_DEP_2) | instskip(SKIP_2) | instid1(VALU_DEP_3)
	v_sub_f32_e32 v2, v2, v44
	v_cvt_i32_f32_e32 v49, v44
	v_lshlrev_b64 v[44:45], 2, v[5:6]
	v_add_f32_e32 v2, v2, v4
	v_ashrrev_i32_e32 v4, 31, v3
	s_delay_alu instid0(VALU_DEP_2) | instskip(SKIP_1) | instid1(VALU_DEP_2)
	v_exp_f32_e32 v48, v2
	v_ashrrev_i32_e32 v2, 31, v1
	v_lshlrev_b64 v[46:47], 2, v[3:4]
	s_waitcnt_depctr 0xfff
	v_ldexp_f32 v4, v48, v49
	v_lshlrev_b64 v[48:49], 2, v[1:2]
	v_cndmask_b32_e64 v2, 32, v51, s0
	v_cmp_ngt_f32_e64 s0, 0xc2ce8ed0, v50
	s_delay_alu instid0(VALU_DEP_1) | instskip(SKIP_1) | instid1(VALU_DEP_1)
	v_cndmask_b32_e64 v4, 0, v4, s0
	v_add_co_u32 v44, s0, s12, v44
	v_add_co_ci_u32_e64 v45, s0, s13, v45, s0
	v_cmp_nlt_f32_e64 s0, 0x42b17218, v50
	s_delay_alu instid0(VALU_DEP_1) | instskip(SKIP_2) | instid1(VALU_DEP_1)
	v_cndmask_b32_e64 v4, 0x7f800000, v4, s0
	s_waitcnt lgkmcnt(0)
	v_add_co_u32 v46, s0, s8, v46
	v_add_co_ci_u32_e64 v47, s0, s9, v47, s0
	s_delay_alu instid0(VALU_DEP_3) | instskip(SKIP_1) | instid1(VALU_DEP_1)
	v_add_f32_e32 v41, v41, v4
	v_add_co_u32 v48, s0, s10, v48
	v_add_co_ci_u32_e64 v49, s0, s11, v49, s0
	global_store_b32 v[44:45], v4, off
	global_store_b32 v[46:47], v2, off
	;; [unrolled: 1-line block ×3, first 2 shown]
.LBB160_14:                             ;   in Loop: Header=BB160_12 Depth=1
	s_or_b32 exec_lo, exec_lo, s2
	s_delay_alu instid0(VALU_DEP_1) | instskip(SKIP_1) | instid1(VALU_DEP_1)
	v_ashrrev_i32_e32 v4, 31, v43
	s_mov_b32 s1, exec_lo
	v_lshrrev_b32_e32 v2, 28, v4
	s_delay_alu instid0(VALU_DEP_1) | instskip(NEXT) | instid1(VALU_DEP_1)
	v_add_nc_u32_e32 v6, v43, v2
	v_ashrrev_i32_e32 v2, 4, v6
	v_lshrrev_b32_e32 v6, 31, v6
	s_delay_alu instid0(VALU_DEP_1) | instskip(NEXT) | instid1(VALU_DEP_1)
	v_add_nc_u32_e32 v6, v2, v6
	v_and_b32_e32 v6, -2, v6
	s_delay_alu instid0(VALU_DEP_1) | instskip(NEXT) | instid1(VALU_DEP_1)
	v_sub_nc_u32_e32 v6, v2, v6
	v_cmpx_eq_u32_e64 v7, v6
	s_cbranch_execz .LBB160_11
; %bb.15:                               ;   in Loop: Header=BB160_12 Depth=1
	v_lshrrev_b32_e32 v4, 27, v4
	v_lshlrev_b32_e32 v2, 4, v2
	s_delay_alu instid0(VALU_DEP_2) | instskip(NEXT) | instid1(VALU_DEP_2)
	v_add_nc_u32_e32 v4, v43, v4
	v_sub_nc_u32_e32 v2, v43, v2
	s_delay_alu instid0(VALU_DEP_2) | instskip(NEXT) | instid1(VALU_DEP_1)
	v_ashrrev_i32_e32 v4, 5, v4
	v_lshl_add_u32 v2, v4, 4, v2
	s_delay_alu instid0(VALU_DEP_1) | instskip(NEXT) | instid1(VALU_DEP_1)
	v_cmp_ne_u32_e64 s0, 15, v2
	v_cndmask_b32_e64 v39, 0xff800000, v39, s0
	v_cmp_ne_u32_e64 s0, 14, v2
	s_delay_alu instid0(VALU_DEP_1) | instskip(SKIP_1) | instid1(VALU_DEP_1)
	v_cndmask_b32_e64 v36, 0xff800000, v36, s0
	v_cmp_ne_u32_e64 s0, 13, v2
	v_cndmask_b32_e64 v34, 0xff800000, v34, s0
	v_cmp_ne_u32_e64 s0, 12, v2
	s_delay_alu instid0(VALU_DEP_1) | instskip(SKIP_1) | instid1(VALU_DEP_1)
	v_cndmask_b32_e64 v32, 0xff800000, v32, s0
	;; [unrolled: 5-line block ×7, first 2 shown]
	v_cmp_ne_u32_e64 s0, 1, v2
	v_cndmask_b32_e64 v11, 0xff800000, v11, s0
	v_cmp_ne_u32_e64 s0, 0, v2
	s_delay_alu instid0(VALU_DEP_1)
	v_cndmask_b32_e64 v10, 0xff800000, v10, s0
	s_branch .LBB160_11
.LBB160_16:
	v_cmp_eq_u32_e32 vcc_lo, 0, v7
	v_cmp_neq_f32_e64 s0, 0, v41
	s_delay_alu instid0(VALU_DEP_1) | instskip(NEXT) | instid1(SALU_CYCLE_1)
	s_and_b32 s0, vcc_lo, s0
	s_and_b32 exec_lo, exec_lo, s0
	s_cbranch_execz .LBB160_20
; %bb.17:
	s_and_not1_b32 vcc_lo, exec_lo, s7
	s_cbranch_vccnz .LBB160_20
; %bb.18:
	v_div_scale_f32 v1, null, v41, v41, 1.0
	v_div_scale_f32 v4, vcc_lo, 1.0, v41, 1.0
	s_delay_alu instid0(VALU_DEP_2) | instskip(SKIP_2) | instid1(VALU_DEP_1)
	v_rcp_f32_e32 v2, v1
	s_waitcnt_depctr 0xfff
	v_fma_f32 v3, -v1, v2, 1.0
	v_fmac_f32_e32 v2, v3, v2
	s_delay_alu instid0(VALU_DEP_1) | instskip(NEXT) | instid1(VALU_DEP_1)
	v_mul_f32_e32 v3, v4, v2
	v_fma_f32 v5, -v1, v3, v4
	s_delay_alu instid0(VALU_DEP_1) | instskip(NEXT) | instid1(VALU_DEP_1)
	v_fmac_f32_e32 v3, v5, v2
	v_fma_f32 v4, -v1, v3, v4
	v_ashrrev_i32_e32 v1, 31, v0
	s_delay_alu instid0(VALU_DEP_2) | instskip(NEXT) | instid1(VALU_DEP_2)
	v_div_fmas_f32 v2, v4, v2, v3
	v_lshlrev_b64 v[0:1], 2, v[0:1]
	s_delay_alu instid0(VALU_DEP_2) | instskip(NEXT) | instid1(VALU_DEP_2)
	v_div_fixup_f32 v2, v2, v41, 1.0
	v_add_co_u32 v0, vcc_lo, s12, v0
	s_delay_alu instid0(VALU_DEP_3)
	v_add_co_ci_u32_e32 v1, vcc_lo, s13, v1, vcc_lo
.LBB160_19:                             ; =>This Inner Loop Header: Depth=1
	global_load_b32 v3, v[0:1], off
	s_add_i32 s4, s4, -1
	s_delay_alu instid0(SALU_CYCLE_1)
	s_cmp_lg_u32 s4, 0
	s_waitcnt vmcnt(0)
	v_mul_f32_e32 v3, v2, v3
	global_store_b32 v[0:1], v3, off
	v_add_co_u32 v0, vcc_lo, v0, 4
	v_add_co_ci_u32_e32 v1, vcc_lo, 0, v1, vcc_lo
	s_cbranch_scc1 .LBB160_19
.LBB160_20:
	s_nop 0
	s_sendmsg sendmsg(MSG_DEALLOC_VGPRS)
	s_endpgm
	.section	.rodata,"a",@progbits
	.p2align	6, 0x0
	.amdhsa_kernel _ZN4vllm3moe17topkGatingSoftmaxIDF16_Li16ELi32ELi8ELi32ELb1ELi2ELNS0_23SharedExpertScoringFuncE1EEEvPKT_PKbPfiPiS9_iiiiii
		.amdhsa_group_segment_fixed_size 0
		.amdhsa_private_segment_fixed_size 0
		.amdhsa_kernarg_size 72
		.amdhsa_user_sgpr_count 15
		.amdhsa_user_sgpr_dispatch_ptr 0
		.amdhsa_user_sgpr_queue_ptr 0
		.amdhsa_user_sgpr_kernarg_segment_ptr 1
		.amdhsa_user_sgpr_dispatch_id 0
		.amdhsa_user_sgpr_private_segment_size 0
		.amdhsa_wavefront_size32 1
		.amdhsa_uses_dynamic_stack 0
		.amdhsa_enable_private_segment 0
		.amdhsa_system_sgpr_workgroup_id_x 1
		.amdhsa_system_sgpr_workgroup_id_y 0
		.amdhsa_system_sgpr_workgroup_id_z 0
		.amdhsa_system_sgpr_workgroup_info 0
		.amdhsa_system_vgpr_workitem_id 1
		.amdhsa_next_free_vgpr 53
		.amdhsa_next_free_sgpr 18
		.amdhsa_reserve_vcc 1
		.amdhsa_float_round_mode_32 0
		.amdhsa_float_round_mode_16_64 0
		.amdhsa_float_denorm_mode_32 3
		.amdhsa_float_denorm_mode_16_64 3
		.amdhsa_dx10_clamp 1
		.amdhsa_ieee_mode 1
		.amdhsa_fp16_overflow 0
		.amdhsa_workgroup_processor_mode 1
		.amdhsa_memory_ordered 1
		.amdhsa_forward_progress 0
		.amdhsa_shared_vgpr_count 0
		.amdhsa_exception_fp_ieee_invalid_op 0
		.amdhsa_exception_fp_denorm_src 0
		.amdhsa_exception_fp_ieee_div_zero 0
		.amdhsa_exception_fp_ieee_overflow 0
		.amdhsa_exception_fp_ieee_underflow 0
		.amdhsa_exception_fp_ieee_inexact 0
		.amdhsa_exception_int_div_zero 0
	.end_amdhsa_kernel
	.section	.text._ZN4vllm3moe17topkGatingSoftmaxIDF16_Li16ELi32ELi8ELi32ELb1ELi2ELNS0_23SharedExpertScoringFuncE1EEEvPKT_PKbPfiPiS9_iiiiii,"axG",@progbits,_ZN4vllm3moe17topkGatingSoftmaxIDF16_Li16ELi32ELi8ELi32ELb1ELi2ELNS0_23SharedExpertScoringFuncE1EEEvPKT_PKbPfiPiS9_iiiiii,comdat
.Lfunc_end160:
	.size	_ZN4vllm3moe17topkGatingSoftmaxIDF16_Li16ELi32ELi8ELi32ELb1ELi2ELNS0_23SharedExpertScoringFuncE1EEEvPKT_PKbPfiPiS9_iiiiii, .Lfunc_end160-_ZN4vllm3moe17topkGatingSoftmaxIDF16_Li16ELi32ELi8ELi32ELb1ELi2ELNS0_23SharedExpertScoringFuncE1EEEvPKT_PKbPfiPiS9_iiiiii
                                        ; -- End function
	.section	.AMDGPU.csdata,"",@progbits
; Kernel info:
; codeLenInByte = 3492
; NumSgprs: 20
; NumVgprs: 53
; ScratchSize: 0
; MemoryBound: 0
; FloatMode: 240
; IeeeMode: 1
; LDSByteSize: 0 bytes/workgroup (compile time only)
; SGPRBlocks: 2
; VGPRBlocks: 6
; NumSGPRsForWavesPerEU: 20
; NumVGPRsForWavesPerEU: 53
; Occupancy: 16
; WaveLimiterHint : 0
; COMPUTE_PGM_RSRC2:SCRATCH_EN: 0
; COMPUTE_PGM_RSRC2:USER_SGPR: 15
; COMPUTE_PGM_RSRC2:TRAP_HANDLER: 0
; COMPUTE_PGM_RSRC2:TGID_X_EN: 1
; COMPUTE_PGM_RSRC2:TGID_Y_EN: 0
; COMPUTE_PGM_RSRC2:TGID_Z_EN: 0
; COMPUTE_PGM_RSRC2:TIDIG_COMP_CNT: 1
	.section	.text._ZN4vllm3moe17topkGatingSoftmaxIDF16_Li16ELi32ELi8ELi32ELb0ELi2ELNS0_23SharedExpertScoringFuncE1EEEvPKT_PKbPfiPiS9_iiiiii,"axG",@progbits,_ZN4vllm3moe17topkGatingSoftmaxIDF16_Li16ELi32ELi8ELi32ELb0ELi2ELNS0_23SharedExpertScoringFuncE1EEEvPKT_PKbPfiPiS9_iiiiii,comdat
	.protected	_ZN4vllm3moe17topkGatingSoftmaxIDF16_Li16ELi32ELi8ELi32ELb0ELi2ELNS0_23SharedExpertScoringFuncE1EEEvPKT_PKbPfiPiS9_iiiiii ; -- Begin function _ZN4vllm3moe17topkGatingSoftmaxIDF16_Li16ELi32ELi8ELi32ELb0ELi2ELNS0_23SharedExpertScoringFuncE1EEEvPKT_PKbPfiPiS9_iiiiii
	.globl	_ZN4vllm3moe17topkGatingSoftmaxIDF16_Li16ELi32ELi8ELi32ELb0ELi2ELNS0_23SharedExpertScoringFuncE1EEEvPKT_PKbPfiPiS9_iiiiii
	.p2align	8
	.type	_ZN4vllm3moe17topkGatingSoftmaxIDF16_Li16ELi32ELi8ELi32ELb0ELi2ELNS0_23SharedExpertScoringFuncE1EEEvPKT_PKbPfiPiS9_iiiiii,@function
_ZN4vllm3moe17topkGatingSoftmaxIDF16_Li16ELi32ELi8ELi32ELb0ELi2ELNS0_23SharedExpertScoringFuncE1EEEvPKT_PKbPfiPiS9_iiiiii: ; @_ZN4vllm3moe17topkGatingSoftmaxIDF16_Li16ELi32ELi8ELi32ELb0ELi2ELNS0_23SharedExpertScoringFuncE1EEEvPKT_PKbPfiPiS9_iiiiii
; %bb.0:
	s_load_b32 s16, s[0:1], 0x18
	v_bfe_u32 v1, v0, 10, 10
	v_and_b32_e32 v0, 0x3ff, v0
	s_lshl_b32 s18, s15, 7
	s_mov_b32 s2, exec_lo
	s_delay_alu instid0(VALU_DEP_2) | instskip(NEXT) | instid1(VALU_DEP_2)
	v_lshlrev_b32_e32 v6, 4, v1
	v_lshrrev_b32_e32 v39, 1, v0
	s_delay_alu instid0(VALU_DEP_1) | instskip(SKIP_1) | instid1(VALU_DEP_1)
	v_add3_u32 v43, s18, v6, v39
	s_waitcnt lgkmcnt(0)
	v_cmpx_gt_i32_e64 s16, v43
	s_cbranch_execz .LBB161_21
; %bb.1:
	s_clause 0x1
	s_load_b128 s[4:7], s[0:1], 0x0
	s_load_b64 s[12:13], s[0:1], 0x10
	s_waitcnt lgkmcnt(0)
	s_cmp_eq_u64 s[6:7], 0
	s_cbranch_scc1 .LBB161_3
; %bb.2:
	v_ashrrev_i32_e32 v2, 31, v43
	v_add_co_u32 v1, vcc_lo, s6, v43
	s_delay_alu instid0(VALU_DEP_2) | instskip(SKIP_3) | instid1(VALU_DEP_1)
	v_add_co_ci_u32_e32 v2, vcc_lo, s7, v2, vcc_lo
	global_load_u8 v1, v[1:2], off
	s_waitcnt vmcnt(0)
	v_and_b32_e32 v1, 1, v1
	v_cmp_eq_u32_e32 vcc_lo, 1, v1
	s_xor_b32 s2, vcc_lo, -1
	s_delay_alu instid0(SALU_CYCLE_1)
	s_or_not1_b32 s17, s2, exec_lo
	s_branch .LBB161_4
.LBB161_3:
	s_mov_b32 s17, -1
.LBB161_4:
	s_clause 0x1
	s_load_b64 s[14:15], s[0:1], 0x40
	s_load_b128 s[8:11], s[0:1], 0x30
	v_and_b32_e32 v7, 1, v0
	s_mov_b32 s2, 0x3fb8aa3b
	s_mov_b32 s3, 0x32a5705f
	s_waitcnt lgkmcnt(0)
	v_mul_lo_u32 v1, v43, s15
	s_delay_alu instid0(VALU_DEP_1) | instskip(NEXT) | instid1(VALU_DEP_1)
	v_ashrrev_i32_e32 v2, 31, v1
	v_lshlrev_b64 v[0:1], 1, v[1:2]
	v_lshlrev_b32_e32 v2, 5, v7
	s_delay_alu instid0(VALU_DEP_2) | instskip(NEXT) | instid1(VALU_DEP_3)
	v_add_co_u32 v8, vcc_lo, s4, v0
	v_add_co_ci_u32_e32 v9, vcc_lo, s5, v1, vcc_lo
	s_delay_alu instid0(VALU_DEP_2) | instskip(NEXT) | instid1(VALU_DEP_2)
	v_add_co_u32 v4, vcc_lo, v8, v2
	v_add_co_ci_u32_e32 v5, vcc_lo, 0, v9, vcc_lo
	global_load_b128 v[0:3], v[4:5], off
	s_waitcnt vmcnt(0)
	v_cvt_f32_f16_e32 v24, v1
	v_lshrrev_b32_e32 v1, 16, v1
	v_cvt_f32_f16_e32 v26, v0
	v_cvt_f32_f16_e32 v21, v2
	v_lshrrev_b32_e32 v2, 16, v2
	v_cvt_f32_f16_e32 v19, v3
	v_cvt_f32_f16_e32 v22, v1
	v_lshlrev_b32_e32 v10, 1, v7
	s_delay_alu instid0(VALU_DEP_4) | instskip(SKIP_1) | instid1(VALU_DEP_3)
	v_cvt_f32_f16_e32 v20, v2
	v_lshrrev_b32_e32 v2, 16, v3
	v_add_co_u32 v8, vcc_lo, v8, v10
	v_add_co_ci_u32_e32 v9, vcc_lo, 0, v9, vcc_lo
	s_delay_alu instid0(VALU_DEP_3) | instskip(SKIP_4) | instid1(VALU_DEP_1)
	v_cvt_f32_f16_e32 v18, v2
	s_clause 0x1
	global_load_u16 v8, v[8:9], off offset:64
	global_load_b128 v[44:47], v[4:5], off offset:16
	v_lshrrev_b32_e32 v4, 16, v0
	v_cvt_f32_f16_e32 v25, v4
	v_cmp_lt_f16_e32 vcc_lo, v0, v4
	s_delay_alu instid0(VALU_DEP_2) | instskip(NEXT) | instid1(VALU_DEP_1)
	v_dual_cndmask_b32 v4, v26, v25 :: v_dual_lshlrev_b32 v23, 4, v7
	v_or_b32_e32 v27, 1, v23
	v_or_b32_e32 v28, 2, v23
	;; [unrolled: 1-line block ×5, first 2 shown]
	v_cndmask_b32_e32 v0, v23, v27, vcc_lo
	v_cmp_lt_f32_e32 vcc_lo, v4, v24
	v_or_b32_e32 v32, 6, v23
	v_or_b32_e32 v33, 7, v23
	;; [unrolled: 1-line block ×4, first 2 shown]
	v_cndmask_b32_e32 v1, v4, v24, vcc_lo
	v_cndmask_b32_e32 v0, v0, v28, vcc_lo
	v_or_b32_e32 v36, 10, v23
	v_or_b32_e32 v37, 11, v23
	;; [unrolled: 1-line block ×3, first 2 shown]
	v_cmp_lt_f32_e32 vcc_lo, v1, v22
	v_or_b32_e32 v40, 13, v23
	v_or_b32_e32 v41, 14, v23
	;; [unrolled: 1-line block ×3, first 2 shown]
	v_dual_cndmask_b32 v1, v1, v22 :: v_dual_cndmask_b32 v0, v0, v29
	s_delay_alu instid0(VALU_DEP_1) | instskip(NEXT) | instid1(VALU_DEP_2)
	v_cmp_lt_f32_e32 vcc_lo, v1, v21
	v_dual_cndmask_b32 v1, v1, v21 :: v_dual_cndmask_b32 v0, v0, v30
	s_delay_alu instid0(VALU_DEP_1) | instskip(NEXT) | instid1(VALU_DEP_2)
	v_cmp_lt_f32_e32 vcc_lo, v1, v20
	v_dual_cndmask_b32 v1, v1, v20 :: v_dual_cndmask_b32 v0, v0, v31
	s_delay_alu instid0(VALU_DEP_1)
	v_cmp_lt_f32_e32 vcc_lo, v1, v19
	v_cndmask_b32_e32 v1, v1, v19, vcc_lo
	s_waitcnt vmcnt(1)
	v_cvt_f32_f16_e64 v3, -v8
	s_waitcnt vmcnt(0)
	v_cvt_f32_f16_e32 v17, v44
	v_cndmask_b32_e32 v0, v0, v32, vcc_lo
	v_cmp_lt_f32_e32 vcc_lo, v1, v18
	v_lshrrev_b32_e32 v9, 16, v44
	v_cvt_f32_f16_e32 v15, v45
	v_cvt_f32_f16_e32 v12, v46
	v_dual_cndmask_b32 v1, v1, v18 :: v_dual_cndmask_b32 v0, v0, v33
	s_delay_alu instid0(VALU_DEP_4) | instskip(SKIP_1) | instid1(VALU_DEP_3)
	v_cvt_f32_f16_e32 v16, v9
	v_cvt_f32_f16_e32 v9, v47
	v_cmp_lt_f32_e32 vcc_lo, v1, v17
	s_delay_alu instid0(VALU_DEP_4) | instskip(NEXT) | instid1(VALU_DEP_1)
	v_dual_cndmask_b32 v1, v1, v17 :: v_dual_cndmask_b32 v0, v0, v34
	v_cmp_lt_f32_e32 vcc_lo, v1, v16
	v_dual_mul_f32 v2, 0x3fb8aa3b, v3 :: v_dual_cndmask_b32 v1, v1, v16
	s_delay_alu instid0(VALU_DEP_1)
	v_fma_mix_f32 v4, -v8, s2, -v2 op_sel_hi:[1,0,0]
	v_rndne_f32_e32 v5, v2
	v_cndmask_b32_e32 v0, v0, v35, vcc_lo
	v_cmp_ngt_f32_e64 s2, 0xc2ce8ed0, v3
	v_cmp_lt_f32_e32 vcc_lo, v1, v15
	v_fma_mix_f32 v4, -v8, s3, v4 op_sel_hi:[1,0,0]
	v_dual_cndmask_b32 v1, v1, v15 :: v_dual_sub_f32 v2, v2, v5
	v_cndmask_b32_e32 v0, v0, v36, vcc_lo
	v_cmp_nlt_f32_e32 vcc_lo, 0x42b17218, v3
	s_delay_alu instid0(VALU_DEP_3) | instskip(SKIP_2) | instid1(VALU_DEP_3)
	v_add_f32_e32 v2, v2, v4
	v_cvt_i32_f32_e32 v4, v5
	v_lshrrev_b32_e32 v5, 16, v45
	v_exp_f32_e32 v2, v2
	s_delay_alu instid0(VALU_DEP_1) | instskip(SKIP_2) | instid1(VALU_DEP_1)
	v_cvt_f32_f16_e32 v14, v5
	s_waitcnt_depctr 0xfff
	v_ldexp_f32 v2, v2, v4
	v_cndmask_b32_e64 v2, 0, v2, s2
	s_delay_alu instid0(VALU_DEP_1) | instskip(SKIP_1) | instid1(VALU_DEP_2)
	v_cndmask_b32_e32 v2, 0x7f800000, v2, vcc_lo
	v_cmp_lt_f32_e32 vcc_lo, v1, v14
	v_add_f32_e32 v13, 1.0, v2
	v_cndmask_b32_e32 v1, v1, v14, vcc_lo
	v_lshrrev_b32_e32 v2, 16, v46
	s_delay_alu instid0(VALU_DEP_3) | instskip(NEXT) | instid1(VALU_DEP_2)
	v_div_scale_f32 v44, null, v13, v13, 1.0
	v_cvt_f32_f16_e32 v11, v2
	v_lshrrev_b32_e32 v2, 16, v47
	s_delay_alu instid0(VALU_DEP_3) | instskip(NEXT) | instid1(VALU_DEP_1)
	v_rcp_f32_e32 v45, v44
	v_cvt_f32_f16_e32 v8, v2
	s_waitcnt_depctr 0xfff
	v_fma_f32 v3, -v44, v45, 1.0
	s_delay_alu instid0(VALU_DEP_1) | instskip(SKIP_2) | instid1(VALU_DEP_2)
	v_fmac_f32_e32 v45, v3, v45
	v_cndmask_b32_e32 v0, v0, v37, vcc_lo
	v_cmp_lt_f32_e32 vcc_lo, v1, v12
	v_dual_cndmask_b32 v1, v1, v12 :: v_dual_cndmask_b32 v0, v0, v38
	s_delay_alu instid0(VALU_DEP_1) | instskip(NEXT) | instid1(VALU_DEP_2)
	v_cmp_lt_f32_e32 vcc_lo, v1, v11
	v_dual_cndmask_b32 v1, v1, v11 :: v_dual_cndmask_b32 v4, v0, v40
	v_div_scale_f32 v46, vcc_lo, 1.0, v13, 1.0
	v_mul_lo_u32 v0, v43, s11
	s_delay_alu instid0(VALU_DEP_3) | instskip(NEXT) | instid1(VALU_DEP_3)
	v_cmp_lt_f32_e64 s2, v1, v9
	v_mul_f32_e32 v47, v46, v45
	s_delay_alu instid0(VALU_DEP_2) | instskip(SKIP_2) | instid1(VALU_DEP_4)
	v_cndmask_b32_e64 v5, v1, v9, s2
	v_cndmask_b32_e64 v4, v4, v41, s2
	v_add3_u32 v2, v0, s8, v7
	v_fma_f32 v1, -v44, v47, v46
	s_delay_alu instid0(VALU_DEP_4) | instskip(NEXT) | instid1(VALU_DEP_3)
	v_cmp_lt_f32_e64 s2, v5, v8
	v_ashrrev_i32_e32 v3, 31, v2
	s_delay_alu instid0(VALU_DEP_3) | instskip(NEXT) | instid1(VALU_DEP_3)
	v_fmac_f32_e32 v47, v1, v45
	v_cndmask_b32_e64 v1, v4, v42, s2
	v_cndmask_b32_e64 v48, v5, v8, s2
	s_delay_alu instid0(VALU_DEP_4) | instskip(NEXT) | instid1(VALU_DEP_4)
	v_lshlrev_b64 v[4:5], 2, v[2:3]
	v_fma_f32 v2, -v44, v47, v46
	v_cmp_eq_u32_e64 s2, 0, v7
	v_mov_b32_dpp v3, v1 quad_perm:[1,0,3,2] row_mask:0xf bank_mask:0xf
	v_mov_b32_dpp v44, v48 quad_perm:[1,0,3,2] row_mask:0xf bank_mask:0xf
	s_delay_alu instid0(VALU_DEP_4) | instskip(SKIP_1) | instid1(VALU_DEP_4)
	v_div_fmas_f32 v2, v2, v45, v47
	v_add_co_u32 v4, s5, s12, v4
	v_cmp_lt_i32_e32 vcc_lo, v3, v1
	s_delay_alu instid0(VALU_DEP_4) | instskip(SKIP_3) | instid1(VALU_DEP_4)
	v_cmp_eq_f32_e64 s4, v48, v44
	v_cmp_lt_f32_e64 s3, v48, v44
	v_add_co_ci_u32_e64 v5, s5, s13, v5, s5
	v_div_fixup_f32 v2, v2, v13, 1.0
	s_and_b32 s4, s4, vcc_lo
	s_delay_alu instid0(VALU_DEP_3) | instid1(SALU_CYCLE_1)
	s_or_b32 vcc_lo, s3, s4
	v_dual_mov_b32 v10, 0 :: v_dual_cndmask_b32 v13, v48, v44
	s_cmp_gt_i32 s8, 0
	global_store_b32 v[4:5], v2, off
	s_cselect_b32 s3, -1, 0
	s_cmp_lt_i32 s8, 1
	s_cbranch_scc1 .LBB161_16
; %bb.5:
	s_load_b128 s[4:7], s[0:1], 0x20
	v_mul_lo_u32 v2, v43, s14
	v_mul_lo_u32 v4, v43, s8
	v_cndmask_b32_e32 v44, v1, v3, vcc_lo
	v_mov_b32_e32 v10, 0
	s_and_saveexec_b32 s1, s2
	s_cbranch_execz .LBB161_7
; %bb.6:
	s_delay_alu instid0(VALU_DEP_2) | instskip(SKIP_3) | instid1(VALU_DEP_3)
	v_cmp_le_i32_e32 vcc_lo, s9, v44
	v_cmp_gt_i32_e64 s0, s10, v44
	v_subrev_nc_u32_e32 v51, s9, v44
	v_ashrrev_i32_e32 v5, 31, v4
	s_and_b32 s0, vcc_lo, s0
	s_delay_alu instid0(SALU_CYCLE_1) | instskip(SKIP_1) | instid1(VALU_DEP_2)
	s_and_b32 vcc_lo, s17, s0
	v_sub_f32_e32 v10, v13, v13
	v_lshlrev_b64 v[49:50], 2, v[4:5]
	s_delay_alu instid0(VALU_DEP_2) | instskip(NEXT) | instid1(VALU_DEP_1)
	v_mul_f32_e32 v1, 0x3fb8aa3b, v10
	v_rndne_f32_e32 v47, v1
	v_fma_f32 v3, 0x3fb8aa3b, v10, -v1
	s_delay_alu instid0(VALU_DEP_2) | instskip(NEXT) | instid1(VALU_DEP_2)
	v_sub_f32_e32 v1, v1, v47
	v_fmamk_f32 v3, v10, 0x32a5705f, v3
	s_delay_alu instid0(VALU_DEP_1) | instskip(SKIP_1) | instid1(VALU_DEP_2)
	v_add_f32_e32 v3, v1, v3
	v_ashrrev_i32_e32 v1, 31, v0
	v_exp_f32_e32 v52, v3
	s_delay_alu instid0(VALU_DEP_1) | instskip(SKIP_2) | instid1(VALU_DEP_2)
	v_lshlrev_b64 v[45:46], 2, v[0:1]
	v_ashrrev_i32_e32 v3, 31, v2
	v_cvt_i32_f32_e32 v1, v47
	v_lshlrev_b64 v[47:48], 2, v[2:3]
	v_cndmask_b32_e32 v3, 32, v51, vcc_lo
	v_add_co_u32 v45, vcc_lo, s12, v45
	v_add_co_ci_u32_e32 v46, vcc_lo, s13, v46, vcc_lo
	s_delay_alu instid0(TRANS32_DEP_1) | instskip(SKIP_1) | instid1(VALU_DEP_2)
	v_ldexp_f32 v1, v52, v1
	v_cmp_ngt_f32_e32 vcc_lo, 0xc2ce8ed0, v10
	v_cndmask_b32_e32 v1, 0, v1, vcc_lo
	s_waitcnt lgkmcnt(0)
	v_add_co_u32 v47, vcc_lo, s4, v47
	v_add_co_ci_u32_e32 v48, vcc_lo, s5, v48, vcc_lo
	v_cmp_nlt_f32_e32 vcc_lo, 0x42b17218, v10
	v_cndmask_b32_e32 v10, 0x7f800000, v1, vcc_lo
	v_add_co_u32 v49, vcc_lo, s6, v49
	v_add_co_ci_u32_e32 v50, vcc_lo, s7, v50, vcc_lo
	global_store_b32 v[47:48], v3, off
	global_store_b32 v[45:46], v10, off
	;; [unrolled: 1-line block ×3, first 2 shown]
.LBB161_7:
	s_or_b32 exec_lo, exec_lo, s1
	v_ashrrev_i32_e32 v3, 31, v44
	s_mov_b32 s0, exec_lo
	s_delay_alu instid0(VALU_DEP_1) | instskip(NEXT) | instid1(VALU_DEP_1)
	v_lshrrev_b32_e32 v1, 28, v3
	v_add_nc_u32_e32 v5, v44, v1
	s_delay_alu instid0(VALU_DEP_1) | instskip(SKIP_1) | instid1(VALU_DEP_1)
	v_ashrrev_i32_e32 v1, 4, v5
	v_lshrrev_b32_e32 v5, 31, v5
	v_add_nc_u32_e32 v5, v1, v5
	s_delay_alu instid0(VALU_DEP_1) | instskip(NEXT) | instid1(VALU_DEP_1)
	v_and_b32_e32 v5, -2, v5
	v_sub_nc_u32_e32 v5, v1, v5
	s_delay_alu instid0(VALU_DEP_1)
	v_cmpx_eq_u32_e64 v7, v5
	s_cbranch_execz .LBB161_9
; %bb.8:
	v_lshrrev_b32_e32 v3, 27, v3
	v_lshlrev_b32_e32 v1, 4, v1
	s_delay_alu instid0(VALU_DEP_2) | instskip(NEXT) | instid1(VALU_DEP_2)
	v_add_nc_u32_e32 v3, v44, v3
	v_sub_nc_u32_e32 v1, v44, v1
	s_delay_alu instid0(VALU_DEP_2) | instskip(NEXT) | instid1(VALU_DEP_1)
	v_ashrrev_i32_e32 v3, 5, v3
	v_lshl_add_u32 v1, v3, 4, v1
	s_delay_alu instid0(VALU_DEP_1)
	v_cmp_ne_u32_e32 vcc_lo, 15, v1
	v_cndmask_b32_e32 v8, 0xff800000, v8, vcc_lo
	v_cmp_ne_u32_e32 vcc_lo, 14, v1
	v_cndmask_b32_e32 v9, 0xff800000, v9, vcc_lo
	;; [unrolled: 2-line block ×16, first 2 shown]
.LBB161_9:
	s_or_b32 exec_lo, exec_lo, s0
	s_cmp_eq_u32 s8, 1
	s_cbranch_scc1 .LBB161_16
; %bb.10:
	s_add_i32 s18, s18, s16
	v_add_nc_u32_e32 v1, 1, v4
	v_add3_u32 v39, s18, v39, v6
	v_add_nc_u32_e32 v3, 1, v2
	v_add_nc_u32_e32 v5, 1, v0
	s_add_i32 s11, s8, -1
	s_branch .LBB161_12
.LBB161_11:                             ;   in Loop: Header=BB161_12 Depth=1
	s_or_b32 exec_lo, exec_lo, s0
	v_add_nc_u32_e32 v39, s16, v39
	v_add_nc_u32_e32 v1, 1, v1
	;; [unrolled: 1-line block ×4, first 2 shown]
	s_add_i32 s11, s11, -1
	s_delay_alu instid0(SALU_CYCLE_1)
	s_cmp_eq_u32 s11, 0
	s_cbranch_scc1 .LBB161_16
.LBB161_12:                             ; =>This Inner Loop Header: Depth=1
	v_cmp_gt_f32_e32 vcc_lo, v25, v26
	v_cndmask_b32_e32 v4, v26, v25, vcc_lo
	v_cndmask_b32_e32 v2, v23, v27, vcc_lo
	s_delay_alu instid0(VALU_DEP_2) | instskip(SKIP_1) | instid1(VALU_DEP_3)
	v_cmp_gt_f32_e32 vcc_lo, v24, v4
	v_cndmask_b32_e32 v4, v4, v24, vcc_lo
	v_cndmask_b32_e32 v2, v2, v28, vcc_lo
	s_delay_alu instid0(VALU_DEP_2) | instskip(SKIP_1) | instid1(VALU_DEP_3)
	v_cmp_gt_f32_e32 vcc_lo, v22, v4
	v_cndmask_b32_e32 v4, v4, v22, vcc_lo
	v_cndmask_b32_e32 v2, v2, v29, vcc_lo
	s_delay_alu instid0(VALU_DEP_2) | instskip(SKIP_1) | instid1(VALU_DEP_3)
	v_cmp_gt_f32_e32 vcc_lo, v21, v4
	v_cndmask_b32_e32 v4, v4, v21, vcc_lo
	v_cndmask_b32_e32 v2, v2, v30, vcc_lo
	s_delay_alu instid0(VALU_DEP_2) | instskip(SKIP_1) | instid1(VALU_DEP_3)
	v_cmp_gt_f32_e32 vcc_lo, v20, v4
	v_cndmask_b32_e32 v4, v4, v20, vcc_lo
	v_cndmask_b32_e32 v2, v2, v31, vcc_lo
	s_delay_alu instid0(VALU_DEP_2) | instskip(SKIP_1) | instid1(VALU_DEP_3)
	v_cmp_gt_f32_e32 vcc_lo, v19, v4
	v_cndmask_b32_e32 v4, v4, v19, vcc_lo
	v_cndmask_b32_e32 v2, v2, v32, vcc_lo
	s_delay_alu instid0(VALU_DEP_2) | instskip(SKIP_1) | instid1(VALU_DEP_3)
	v_cmp_gt_f32_e32 vcc_lo, v18, v4
	v_cndmask_b32_e32 v4, v4, v18, vcc_lo
	v_cndmask_b32_e32 v2, v2, v33, vcc_lo
	s_delay_alu instid0(VALU_DEP_2) | instskip(SKIP_1) | instid1(VALU_DEP_3)
	v_cmp_gt_f32_e32 vcc_lo, v17, v4
	v_cndmask_b32_e32 v4, v4, v17, vcc_lo
	v_cndmask_b32_e32 v2, v2, v34, vcc_lo
	s_delay_alu instid0(VALU_DEP_2) | instskip(SKIP_1) | instid1(VALU_DEP_3)
	v_cmp_gt_f32_e32 vcc_lo, v16, v4
	v_cndmask_b32_e32 v4, v4, v16, vcc_lo
	v_cndmask_b32_e32 v2, v2, v35, vcc_lo
	s_delay_alu instid0(VALU_DEP_2) | instskip(SKIP_1) | instid1(VALU_DEP_3)
	v_cmp_gt_f32_e32 vcc_lo, v15, v4
	v_cndmask_b32_e32 v4, v4, v15, vcc_lo
	v_cndmask_b32_e32 v2, v2, v36, vcc_lo
	s_delay_alu instid0(VALU_DEP_2) | instskip(SKIP_1) | instid1(VALU_DEP_3)
	v_cmp_gt_f32_e32 vcc_lo, v14, v4
	v_cndmask_b32_e32 v4, v4, v14, vcc_lo
	v_cndmask_b32_e32 v2, v2, v37, vcc_lo
	s_delay_alu instid0(VALU_DEP_2) | instskip(SKIP_1) | instid1(VALU_DEP_3)
	v_cmp_gt_f32_e32 vcc_lo, v12, v4
	v_cndmask_b32_e32 v4, v4, v12, vcc_lo
	v_cndmask_b32_e32 v2, v2, v38, vcc_lo
	s_delay_alu instid0(VALU_DEP_2) | instskip(SKIP_1) | instid1(VALU_DEP_3)
	v_cmp_gt_f32_e32 vcc_lo, v11, v4
	v_cndmask_b32_e32 v4, v4, v11, vcc_lo
	v_cndmask_b32_e32 v2, v2, v40, vcc_lo
	s_delay_alu instid0(VALU_DEP_2) | instskip(SKIP_1) | instid1(VALU_DEP_3)
	v_cmp_gt_f32_e32 vcc_lo, v9, v4
	v_cndmask_b32_e32 v4, v4, v9, vcc_lo
	v_cndmask_b32_e32 v2, v2, v41, vcc_lo
	s_delay_alu instid0(VALU_DEP_2) | instskip(NEXT) | instid1(VALU_DEP_2)
	v_cmp_gt_f32_e32 vcc_lo, v8, v4
	v_cndmask_b32_e32 v6, v2, v42, vcc_lo
	v_cndmask_b32_e32 v2, v4, v8, vcc_lo
	s_delay_alu instid0(VALU_DEP_2) | instskip(NEXT) | instid1(VALU_DEP_2)
	v_mov_b32_dpp v43, v6 quad_perm:[1,0,3,2] row_mask:0xf bank_mask:0xf
	v_mov_b32_dpp v4, v2 quad_perm:[1,0,3,2] row_mask:0xf bank_mask:0xf
	s_delay_alu instid0(VALU_DEP_2) | instskip(NEXT) | instid1(VALU_DEP_2)
	v_cmp_lt_i32_e32 vcc_lo, v43, v6
	v_cmp_eq_f32_e64 s0, v2, v4
	v_cmp_lt_f32_e64 s1, v2, v4
	s_delay_alu instid0(VALU_DEP_2)
	s_and_b32 s0, s0, vcc_lo
	s_delay_alu instid0(VALU_DEP_1) | instid1(SALU_CYCLE_1)
	s_or_b32 vcc_lo, s1, s0
	v_cndmask_b32_e32 v43, v6, v43, vcc_lo
	s_and_saveexec_b32 s1, s2
	s_cbranch_execz .LBB161_14
; %bb.13:                               ;   in Loop: Header=BB161_12 Depth=1
	v_cndmask_b32_e32 v2, v2, v4, vcc_lo
	s_delay_alu instid0(VALU_DEP_2) | instskip(SKIP_4) | instid1(VALU_DEP_4)
	v_cmp_le_i32_e32 vcc_lo, s9, v43
	v_cmp_gt_i32_e64 s0, s10, v43
	v_ashrrev_i32_e32 v6, 31, v5
	v_subrev_nc_u32_e32 v51, s9, v43
	v_sub_f32_e32 v50, v2, v13
	s_and_b32 s0, vcc_lo, s0
	s_delay_alu instid0(SALU_CYCLE_1) | instskip(NEXT) | instid1(VALU_DEP_1)
	s_and_b32 vcc_lo, s17, s0
	v_mul_f32_e32 v2, 0x3fb8aa3b, v50
	s_delay_alu instid0(VALU_DEP_1) | instskip(SKIP_1) | instid1(VALU_DEP_2)
	v_fma_f32 v4, 0x3fb8aa3b, v50, -v2
	v_rndne_f32_e32 v44, v2
	v_fmac_f32_e32 v4, 0x32a5705f, v50
	s_delay_alu instid0(VALU_DEP_2) | instskip(SKIP_2) | instid1(VALU_DEP_3)
	v_sub_f32_e32 v2, v2, v44
	v_cvt_i32_f32_e32 v49, v44
	v_lshlrev_b64 v[44:45], 2, v[5:6]
	v_add_f32_e32 v2, v2, v4
	v_ashrrev_i32_e32 v4, 31, v3
	s_delay_alu instid0(VALU_DEP_2) | instskip(SKIP_1) | instid1(VALU_DEP_2)
	v_exp_f32_e32 v48, v2
	v_ashrrev_i32_e32 v2, 31, v1
	v_lshlrev_b64 v[46:47], 2, v[3:4]
	s_waitcnt_depctr 0xfff
	v_ldexp_f32 v4, v48, v49
	v_lshlrev_b64 v[48:49], 2, v[1:2]
	v_cndmask_b32_e32 v2, 32, v51, vcc_lo
	v_cmp_ngt_f32_e32 vcc_lo, 0xc2ce8ed0, v50
	s_delay_alu instid0(VALU_DEP_4) | instskip(SKIP_3) | instid1(VALU_DEP_4)
	v_cndmask_b32_e32 v4, 0, v4, vcc_lo
	v_add_co_u32 v44, vcc_lo, s12, v44
	v_add_co_ci_u32_e32 v45, vcc_lo, s13, v45, vcc_lo
	v_cmp_nlt_f32_e32 vcc_lo, 0x42b17218, v50
	v_cndmask_b32_e32 v4, 0x7f800000, v4, vcc_lo
	s_waitcnt lgkmcnt(0)
	v_add_co_u32 v46, vcc_lo, s4, v46
	v_add_co_ci_u32_e32 v47, vcc_lo, s5, v47, vcc_lo
	v_add_co_u32 v48, vcc_lo, s6, v48
	v_add_f32_e32 v10, v10, v4
	v_add_co_ci_u32_e32 v49, vcc_lo, s7, v49, vcc_lo
	global_store_b32 v[44:45], v4, off
	global_store_b32 v[46:47], v2, off
	;; [unrolled: 1-line block ×3, first 2 shown]
.LBB161_14:                             ;   in Loop: Header=BB161_12 Depth=1
	s_or_b32 exec_lo, exec_lo, s1
	s_delay_alu instid0(VALU_DEP_1) | instskip(SKIP_1) | instid1(VALU_DEP_1)
	v_ashrrev_i32_e32 v4, 31, v43
	s_mov_b32 s0, exec_lo
	v_lshrrev_b32_e32 v2, 28, v4
	s_delay_alu instid0(VALU_DEP_1) | instskip(NEXT) | instid1(VALU_DEP_1)
	v_add_nc_u32_e32 v6, v43, v2
	v_ashrrev_i32_e32 v2, 4, v6
	v_lshrrev_b32_e32 v6, 31, v6
	s_delay_alu instid0(VALU_DEP_1) | instskip(NEXT) | instid1(VALU_DEP_1)
	v_add_nc_u32_e32 v6, v2, v6
	v_and_b32_e32 v6, -2, v6
	s_delay_alu instid0(VALU_DEP_1) | instskip(NEXT) | instid1(VALU_DEP_1)
	v_sub_nc_u32_e32 v6, v2, v6
	v_cmpx_eq_u32_e64 v7, v6
	s_cbranch_execz .LBB161_11
; %bb.15:                               ;   in Loop: Header=BB161_12 Depth=1
	v_lshrrev_b32_e32 v4, 27, v4
	v_lshlrev_b32_e32 v2, 4, v2
	s_delay_alu instid0(VALU_DEP_2) | instskip(NEXT) | instid1(VALU_DEP_2)
	v_add_nc_u32_e32 v4, v43, v4
	v_sub_nc_u32_e32 v2, v43, v2
	s_delay_alu instid0(VALU_DEP_2) | instskip(NEXT) | instid1(VALU_DEP_1)
	v_ashrrev_i32_e32 v4, 5, v4
	v_lshl_add_u32 v2, v4, 4, v2
	s_delay_alu instid0(VALU_DEP_1)
	v_cmp_ne_u32_e32 vcc_lo, 15, v2
	v_cndmask_b32_e32 v8, 0xff800000, v8, vcc_lo
	v_cmp_ne_u32_e32 vcc_lo, 14, v2
	v_cndmask_b32_e32 v9, 0xff800000, v9, vcc_lo
	;; [unrolled: 2-line block ×16, first 2 shown]
	s_branch .LBB161_11
.LBB161_16:
	v_sub_f32_e32 v4, v24, v13
	v_sub_f32_e32 v1, v26, v13
	;; [unrolled: 1-line block ×5, first 2 shown]
	s_delay_alu instid0(VALU_DEP_4)
	v_dual_mul_f32 v26, 0x3fb8aa3b, v4 :: v_dual_mul_f32 v3, 0x3fb8aa3b, v1
	v_cmp_ngt_f32_e32 vcc_lo, 0xc2ce8ed0, v1
	v_sub_f32_e32 v18, v18, v13
	v_sub_f32_e32 v15, v15, v13
	;; [unrolled: 1-line block ×3, first 2 shown]
	v_rndne_f32_e32 v23, v3
	v_sub_f32_e32 v2, v25, v13
	v_fma_f32 v22, 0x3fb8aa3b, v1, -v3
	v_sub_f32_e32 v9, v9, v13
	s_delay_alu instid0(VALU_DEP_4) | instskip(NEXT) | instid1(VALU_DEP_4)
	v_sub_f32_e32 v3, v3, v23
	v_mul_f32_e32 v5, 0x3fb8aa3b, v2
	v_cvt_i32_f32_e32 v23, v23
	s_delay_alu instid0(VALU_DEP_2) | instskip(SKIP_1) | instid1(VALU_DEP_2)
	v_fma_f32 v24, 0x3fb8aa3b, v2, -v5
	v_rndne_f32_e32 v25, v5
	v_dual_sub_f32 v21, v21, v13 :: v_dual_fmac_f32 v24, 0x32a5705f, v2
	s_delay_alu instid0(VALU_DEP_2) | instskip(SKIP_2) | instid1(VALU_DEP_3)
	v_sub_f32_e32 v5, v5, v25
	v_fmac_f32_e32 v22, 0x32a5705f, v1
	v_cvt_i32_f32_e32 v25, v25
	v_dual_mul_f32 v28, 0x3fb8aa3b, v21 :: v_dual_add_f32 v5, v5, v24
	s_delay_alu instid0(VALU_DEP_3)
	v_add_f32_e32 v3, v3, v22
	v_fma_f32 v22, 0x3fb8aa3b, v4, -v26
	v_rndne_f32_e32 v24, v26
	v_mul_f32_e32 v27, 0x3fb8aa3b, v6
	v_exp_f32_e32 v5, v5
	v_exp_f32_e32 v3, v3
	v_fmac_f32_e32 v22, 0x32a5705f, v4
	v_sub_f32_e32 v26, v26, v24
	v_fma_f32 v29, 0x3fb8aa3b, v6, -v27
	v_rndne_f32_e32 v30, v27
	v_cvt_i32_f32_e32 v24, v24
	s_delay_alu instid0(TRANS32_DEP_2) | instskip(NEXT) | instid1(TRANS32_DEP_1)
	v_ldexp_f32 v5, v5, v25
	v_ldexp_f32 v3, v3, v23
	s_delay_alu instid0(VALU_DEP_1) | instskip(SKIP_1) | instid1(VALU_DEP_2)
	v_dual_add_f32 v22, v26, v22 :: v_dual_cndmask_b32 v3, 0, v3
	v_cmp_ngt_f32_e32 vcc_lo, 0xc2ce8ed0, v2
	v_exp_f32_e32 v22, v22
	v_cndmask_b32_e32 v5, 0, v5, vcc_lo
	v_cmp_nlt_f32_e32 vcc_lo, 0x42b17218, v1
	v_cndmask_b32_e32 v1, 0x7f800000, v3, vcc_lo
	v_cmp_nlt_f32_e32 vcc_lo, 0x42b17218, v2
	v_sub_f32_e32 v23, v27, v30
	v_fma_f32 v3, 0x3fb8aa3b, v21, -v28
	v_cndmask_b32_e32 v2, 0x7f800000, v5, vcc_lo
	s_delay_alu instid0(TRANS32_DEP_1) | instskip(SKIP_3) | instid1(VALU_DEP_4)
	v_ldexp_f32 v5, v22, v24
	v_cmp_ngt_f32_e32 vcc_lo, 0xc2ce8ed0, v4
	v_fmac_f32_e32 v29, 0x32a5705f, v6
	v_rndne_f32_e32 v22, v28
	v_dual_add_f32 v1, v1, v2 :: v_dual_cndmask_b32 v2, 0, v5
	v_cmp_nlt_f32_e32 vcc_lo, 0x42b17218, v4
	s_delay_alu instid0(VALU_DEP_4) | instskip(SKIP_3) | instid1(VALU_DEP_4)
	v_add_f32_e32 v23, v23, v29
	v_cvt_i32_f32_e32 v5, v30
	v_sub_f32_e32 v24, v28, v22
	v_cndmask_b32_e32 v2, 0x7f800000, v2, vcc_lo
	v_exp_f32_e32 v23, v23
	v_cmp_ngt_f32_e32 vcc_lo, 0xc2ce8ed0, v6
	s_delay_alu instid0(VALU_DEP_2) | instskip(SKIP_3) | instid1(VALU_DEP_2)
	v_add_f32_e32 v1, v1, v2
	s_waitcnt_depctr 0xfff
	v_ldexp_f32 v4, v23, v5
	v_mul_f32_e32 v5, 0x3fb8aa3b, v20
	v_cndmask_b32_e32 v2, 0, v4, vcc_lo
	v_cmp_nlt_f32_e32 vcc_lo, 0x42b17218, v6
	v_cvt_i32_f32_e32 v6, v22
	v_mul_f32_e32 v22, 0x3fb8aa3b, v19
	v_fma_f32 v4, 0x3fb8aa3b, v20, -v5
	v_fmac_f32_e32 v3, 0x32a5705f, v21
	v_cndmask_b32_e32 v2, 0x7f800000, v2, vcc_lo
	v_rndne_f32_e32 v23, v5
	v_cmp_ngt_f32_e32 vcc_lo, 0xc2ce8ed0, v21
	s_delay_alu instid0(VALU_DEP_4) | instskip(NEXT) | instid1(VALU_DEP_4)
	v_dual_fmac_f32 v4, 0x32a5705f, v20 :: v_dual_add_f32 v3, v24, v3
	v_add_f32_e32 v1, v1, v2
	s_delay_alu instid0(VALU_DEP_4) | instskip(NEXT) | instid1(VALU_DEP_3)
	v_sub_f32_e32 v5, v5, v23
	v_exp_f32_e32 v3, v3
	s_waitcnt_depctr 0xfff
	v_ldexp_f32 v2, v3, v6
	s_delay_alu instid0(VALU_DEP_1)
	v_cndmask_b32_e32 v2, 0, v2, vcc_lo
	v_cmp_nlt_f32_e32 vcc_lo, 0x42b17218, v21
	v_add_f32_e32 v3, v5, v4
	v_fma_f32 v4, 0x3fb8aa3b, v19, -v22
	v_rndne_f32_e32 v5, v22
	v_cvt_i32_f32_e32 v21, v23
	v_cndmask_b32_e32 v2, 0x7f800000, v2, vcc_lo
	v_exp_f32_e32 v3, v3
	v_fmac_f32_e32 v4, 0x32a5705f, v19
	v_sub_f32_e32 v6, v22, v5
	v_cmp_ngt_f32_e32 vcc_lo, 0xc2ce8ed0, v20
	v_add_f32_e32 v1, v1, v2
	v_cvt_i32_f32_e32 v5, v5
	s_delay_alu instid0(VALU_DEP_4) | instskip(SKIP_1) | instid1(TRANS32_DEP_1)
	v_add_f32_e32 v4, v6, v4
	v_mul_f32_e32 v6, 0x3fb8aa3b, v18
	v_ldexp_f32 v2, v3, v21
	s_delay_alu instid0(VALU_DEP_3)
	v_exp_f32_e32 v3, v4
	s_waitcnt_depctr 0xfff
	v_ldexp_f32 v3, v3, v5
	v_dual_sub_f32 v5, v17, v13 :: v_dual_cndmask_b32 v2, 0, v2
	v_cmp_nlt_f32_e32 vcc_lo, 0x42b17218, v20
	v_fma_f32 v4, 0x3fb8aa3b, v18, -v6
	v_rndne_f32_e32 v21, v6
	s_delay_alu instid0(VALU_DEP_4) | instskip(SKIP_1) | instid1(VALU_DEP_4)
	v_cndmask_b32_e32 v2, 0x7f800000, v2, vcc_lo
	v_cmp_ngt_f32_e32 vcc_lo, 0xc2ce8ed0, v19
	v_fmac_f32_e32 v4, 0x32a5705f, v18
	s_delay_alu instid0(VALU_DEP_3) | instskip(SKIP_2) | instid1(VALU_DEP_2)
	v_dual_sub_f32 v6, v6, v21 :: v_dual_add_f32 v1, v1, v2
	v_cndmask_b32_e32 v2, 0, v3, vcc_lo
	v_cmp_nlt_f32_e32 vcc_lo, 0x42b17218, v19
	v_cndmask_b32_e32 v2, 0x7f800000, v2, vcc_lo
	s_delay_alu instid0(VALU_DEP_4)
	v_add_f32_e32 v4, v6, v4
	v_sub_f32_e32 v6, v16, v13
	v_cvt_i32_f32_e32 v16, v21
	v_cmp_ngt_f32_e32 vcc_lo, 0xc2ce8ed0, v18
	v_add_f32_e32 v1, v1, v2
	v_exp_f32_e32 v3, v4
	v_mul_f32_e32 v20, 0x3fb8aa3b, v6
	s_waitcnt_depctr 0xfff
	v_ldexp_f32 v2, v3, v16
	v_rndne_f32_e32 v16, v20
	v_mul_f32_e32 v4, 0x3fb8aa3b, v5
	s_delay_alu instid0(VALU_DEP_3) | instskip(SKIP_1) | instid1(VALU_DEP_3)
	v_cndmask_b32_e32 v2, 0, v2, vcc_lo
	v_cmp_nlt_f32_e32 vcc_lo, 0x42b17218, v18
	v_fma_f32 v17, 0x3fb8aa3b, v5, -v4
	v_rndne_f32_e32 v19, v4
	s_delay_alu instid0(VALU_DEP_4) | instskip(NEXT) | instid1(VALU_DEP_3)
	v_cndmask_b32_e32 v2, 0x7f800000, v2, vcc_lo
	v_fmac_f32_e32 v17, 0x32a5705f, v5
	s_delay_alu instid0(VALU_DEP_3) | instskip(SKIP_1) | instid1(VALU_DEP_4)
	v_sub_f32_e32 v3, v4, v19
	v_fma_f32 v4, 0x3fb8aa3b, v6, -v20
	v_dual_sub_f32 v14, v14, v13 :: v_dual_add_f32 v1, v1, v2
	v_cvt_i32_f32_e32 v19, v19
	s_delay_alu instid0(VALU_DEP_3) | instskip(SKIP_1) | instid1(VALU_DEP_4)
	v_dual_add_f32 v3, v3, v17 :: v_dual_fmac_f32 v4, 0x32a5705f, v6
	v_dual_sub_f32 v17, v20, v16 :: v_dual_mul_f32 v20, 0x3fb8aa3b, v15
	v_mul_f32_e32 v21, 0x3fb8aa3b, v14
	s_delay_alu instid0(VALU_DEP_3) | instskip(SKIP_1) | instid1(VALU_DEP_3)
	v_exp_f32_e32 v3, v3
	v_cmp_ngt_f32_e32 vcc_lo, 0xc2ce8ed0, v5
	v_add_f32_e32 v4, v17, v4
	v_fma_f32 v17, 0x3fb8aa3b, v15, -v20
	v_rndne_f32_e32 v18, v20
	s_delay_alu instid0(VALU_DEP_1) | instskip(SKIP_4) | instid1(VALU_DEP_3)
	v_dual_fmac_f32 v17, 0x32a5705f, v15 :: v_dual_sub_f32 v20, v20, v18
	s_waitcnt_depctr 0xfff
	v_ldexp_f32 v2, v3, v19
	v_cvt_i32_f32_e32 v3, v16
	v_rndne_f32_e32 v19, v21
	v_cndmask_b32_e32 v2, 0, v2, vcc_lo
	v_cmp_nlt_f32_e32 vcc_lo, 0x42b17218, v5
	v_cvt_i32_f32_e32 v5, v18
	s_delay_alu instid0(VALU_DEP_3) | instskip(SKIP_3) | instid1(VALU_DEP_4)
	v_cndmask_b32_e32 v2, 0x7f800000, v2, vcc_lo
	v_add_f32_e32 v16, v20, v17
	v_fma_f32 v17, 0x3fb8aa3b, v14, -v21
	v_cmp_ngt_f32_e32 vcc_lo, 0xc2ce8ed0, v6
	v_add_f32_e32 v1, v1, v2
	s_delay_alu instid0(VALU_DEP_3)
	v_fmac_f32_e32 v17, 0x32a5705f, v14
	v_exp_f32_e32 v4, v4
	s_waitcnt_depctr 0xfff
	v_ldexp_f32 v3, v4, v3
	v_exp_f32_e32 v4, v16
	v_sub_f32_e32 v16, v21, v19
	s_delay_alu instid0(VALU_DEP_2)
	v_cndmask_b32_e32 v3, 0, v3, vcc_lo
	v_cmp_nlt_f32_e32 vcc_lo, 0x42b17218, v6
	s_waitcnt_depctr 0xfff
	v_ldexp_f32 v2, v4, v5
	v_cndmask_b32_e32 v3, 0x7f800000, v3, vcc_lo
	v_cmp_ngt_f32_e32 vcc_lo, 0xc2ce8ed0, v15
	v_sub_f32_e32 v5, v12, v13
	s_delay_alu instid0(VALU_DEP_3) | instskip(SKIP_2) | instid1(VALU_DEP_4)
	v_dual_add_f32 v1, v1, v3 :: v_dual_cndmask_b32 v2, 0, v2
	v_cmp_nlt_f32_e32 vcc_lo, 0x42b17218, v15
	v_cvt_i32_f32_e32 v3, v19
	v_mul_f32_e32 v6, 0x3fb8aa3b, v5
	s_delay_alu instid0(VALU_DEP_4) | instskip(SKIP_2) | instid1(VALU_DEP_3)
	v_cndmask_b32_e32 v2, 0x7f800000, v2, vcc_lo
	v_add_f32_e32 v16, v16, v17
	v_cmp_ngt_f32_e32 vcc_lo, 0xc2ce8ed0, v14
	v_add_f32_e32 v1, v1, v2
	s_delay_alu instid0(VALU_DEP_3) | instskip(SKIP_1) | instid1(VALU_DEP_1)
	v_exp_f32_e32 v4, v16
	v_fma_f32 v2, 0x3fb8aa3b, v5, -v6
	v_fmac_f32_e32 v2, 0x32a5705f, v5
	s_waitcnt_depctr 0xfff
	v_ldexp_f32 v3, v4, v3
	v_rndne_f32_e32 v4, v6
	s_delay_alu instid0(VALU_DEP_2) | instskip(SKIP_1) | instid1(VALU_DEP_3)
	v_cndmask_b32_e32 v3, 0, v3, vcc_lo
	v_cmp_nlt_f32_e32 vcc_lo, 0x42b17218, v14
	v_sub_f32_e32 v6, v6, v4
	v_cvt_i32_f32_e32 v4, v4
	v_mul_f32_e32 v14, 0x3fb8aa3b, v9
	s_delay_alu instid0(VALU_DEP_3) | instskip(SKIP_1) | instid1(VALU_DEP_3)
	v_dual_cndmask_b32 v3, 0x7f800000, v3 :: v_dual_add_f32 v2, v6, v2
	v_cmp_ngt_f32_e32 vcc_lo, 0xc2ce8ed0, v5
	v_rndne_f32_e32 v15, v14
	s_delay_alu instid0(VALU_DEP_3) | instskip(NEXT) | instid1(VALU_DEP_4)
	v_add_f32_e32 v1, v1, v3
	v_exp_f32_e32 v2, v2
	s_waitcnt_depctr 0xfff
	v_ldexp_f32 v2, v2, v4
	s_delay_alu instid0(VALU_DEP_1) | instskip(SKIP_2) | instid1(VALU_DEP_3)
	v_cndmask_b32_e32 v2, 0, v2, vcc_lo
	v_cmp_nlt_f32_e32 vcc_lo, 0x42b17218, v5
	v_cvt_i32_f32_e32 v5, v15
	v_cndmask_b32_e32 v2, 0x7f800000, v2, vcc_lo
	v_mul_f32_e32 v12, 0x3fb8aa3b, v11
	v_cmp_ngt_f32_e32 vcc_lo, 0xc2ce8ed0, v11
	s_delay_alu instid0(VALU_DEP_3) | instskip(NEXT) | instid1(VALU_DEP_3)
	v_add_f32_e32 v1, v1, v2
	v_fma_f32 v3, 0x3fb8aa3b, v11, -v12
	v_rndne_f32_e32 v6, v12
	s_delay_alu instid0(VALU_DEP_1) | instskip(SKIP_1) | instid1(VALU_DEP_2)
	v_dual_fmac_f32 v3, 0x32a5705f, v11 :: v_dual_sub_f32 v12, v12, v6
	v_cvt_i32_f32_e32 v6, v6
	v_add_f32_e32 v3, v12, v3
	v_sub_f32_e32 v12, v14, v15
	s_delay_alu instid0(VALU_DEP_2) | instskip(SKIP_2) | instid1(VALU_DEP_1)
	v_exp_f32_e32 v3, v3
	s_waitcnt_depctr 0xfff
	v_ldexp_f32 v3, v3, v6
	v_cndmask_b32_e32 v3, 0, v3, vcc_lo
	v_cmp_nlt_f32_e32 vcc_lo, 0x42b17218, v11
	s_delay_alu instid0(VALU_DEP_2) | instskip(SKIP_1) | instid1(VALU_DEP_2)
	v_cndmask_b32_e32 v3, 0x7f800000, v3, vcc_lo
	v_cmp_ngt_f32_e32 vcc_lo, 0xc2ce8ed0, v9
	v_dual_add_f32 v1, v1, v3 :: v_dual_sub_f32 v8, v8, v13
	v_fma_f32 v13, 0x3fb8aa3b, v9, -v14
	s_delay_alu instid0(VALU_DEP_1) | instskip(NEXT) | instid1(VALU_DEP_1)
	v_fmac_f32_e32 v13, 0x32a5705f, v9
	v_add_f32_e32 v4, v12, v13
	s_delay_alu instid0(VALU_DEP_1) | instskip(SKIP_2) | instid1(VALU_DEP_1)
	v_exp_f32_e32 v4, v4
	s_waitcnt_depctr 0xfff
	v_ldexp_f32 v2, v4, v5
	v_cndmask_b32_e32 v2, 0, v2, vcc_lo
	v_cmp_nlt_f32_e32 vcc_lo, 0x42b17218, v9
	s_delay_alu instid0(VALU_DEP_2) | instskip(NEXT) | instid1(VALU_DEP_1)
	v_cndmask_b32_e32 v2, 0x7f800000, v2, vcc_lo
	v_dual_add_f32 v1, v1, v2 :: v_dual_mul_f32 v16, 0x3fb8aa3b, v8
	v_cmp_ngt_f32_e32 vcc_lo, 0xc2ce8ed0, v8
	s_delay_alu instid0(VALU_DEP_2) | instskip(SKIP_1) | instid1(VALU_DEP_2)
	v_fma_f32 v14, 0x3fb8aa3b, v8, -v16
	v_rndne_f32_e32 v17, v16
	v_fmac_f32_e32 v14, 0x32a5705f, v8
	s_delay_alu instid0(VALU_DEP_2) | instskip(SKIP_1) | instid1(VALU_DEP_2)
	v_sub_f32_e32 v12, v16, v17
	v_cvt_i32_f32_e32 v4, v17
	v_add_f32_e32 v12, v12, v14
	s_delay_alu instid0(VALU_DEP_1) | instskip(SKIP_2) | instid1(VALU_DEP_1)
	v_exp_f32_e32 v6, v12
	s_waitcnt_depctr 0xfff
	v_ldexp_f32 v4, v6, v4
	v_cndmask_b32_e32 v3, 0, v4, vcc_lo
	v_cmp_nlt_f32_e32 vcc_lo, 0x42b17218, v8
	s_delay_alu instid0(VALU_DEP_2) | instskip(SKIP_1) | instid1(VALU_DEP_2)
	v_cndmask_b32_e32 v2, 0x7f800000, v3, vcc_lo
	v_cmp_eq_u32_e32 vcc_lo, 0, v7
	v_add_f32_e32 v1, v1, v2
	s_delay_alu instid0(VALU_DEP_1)
	v_mov_b32_dpp v2, v1 quad_perm:[1,0,3,2] row_mask:0xf bank_mask:0xf
	s_and_b32 exec_lo, exec_lo, vcc_lo
	s_cbranch_execz .LBB161_21
; %bb.17:
	s_delay_alu instid0(VALU_DEP_1) | instskip(NEXT) | instid1(VALU_DEP_1)
	v_add_f32_e32 v1, v1, v2
	v_add_f32_e32 v2, v10, v1
	s_delay_alu instid0(VALU_DEP_1)
	v_cmp_neq_f32_e32 vcc_lo, 0, v2
	s_and_b32 exec_lo, exec_lo, vcc_lo
	s_cbranch_execz .LBB161_21
; %bb.18:
	s_and_not1_b32 vcc_lo, exec_lo, s3
	s_cbranch_vccnz .LBB161_21
; %bb.19:
	v_div_scale_f32 v1, null, v2, v2, 1.0
	v_div_scale_f32 v5, vcc_lo, 1.0, v2, 1.0
	s_delay_alu instid0(VALU_DEP_2) | instskip(SKIP_2) | instid1(VALU_DEP_1)
	v_rcp_f32_e32 v3, v1
	s_waitcnt_depctr 0xfff
	v_fma_f32 v4, -v1, v3, 1.0
	v_fmac_f32_e32 v3, v4, v3
	s_delay_alu instid0(VALU_DEP_1) | instskip(NEXT) | instid1(VALU_DEP_1)
	v_mul_f32_e32 v4, v5, v3
	v_fma_f32 v6, -v1, v4, v5
	s_delay_alu instid0(VALU_DEP_1) | instskip(NEXT) | instid1(VALU_DEP_1)
	v_fmac_f32_e32 v4, v6, v3
	v_fma_f32 v5, -v1, v4, v5
	v_ashrrev_i32_e32 v1, 31, v0
	s_delay_alu instid0(VALU_DEP_2) | instskip(NEXT) | instid1(VALU_DEP_2)
	v_div_fmas_f32 v3, v5, v3, v4
	v_lshlrev_b64 v[0:1], 2, v[0:1]
	s_delay_alu instid0(VALU_DEP_2) | instskip(NEXT) | instid1(VALU_DEP_2)
	v_div_fixup_f32 v2, v3, v2, 1.0
	v_add_co_u32 v0, vcc_lo, s12, v0
	s_delay_alu instid0(VALU_DEP_3)
	v_add_co_ci_u32_e32 v1, vcc_lo, s13, v1, vcc_lo
.LBB161_20:                             ; =>This Inner Loop Header: Depth=1
	global_load_b32 v3, v[0:1], off
	s_add_i32 s8, s8, -1
	s_delay_alu instid0(SALU_CYCLE_1)
	s_cmp_lg_u32 s8, 0
	s_waitcnt vmcnt(0)
	v_mul_f32_e32 v3, v2, v3
	global_store_b32 v[0:1], v3, off
	v_add_co_u32 v0, vcc_lo, v0, 4
	v_add_co_ci_u32_e32 v1, vcc_lo, 0, v1, vcc_lo
	s_cbranch_scc1 .LBB161_20
.LBB161_21:
	s_nop 0
	s_sendmsg sendmsg(MSG_DEALLOC_VGPRS)
	s_endpgm
	.section	.rodata,"a",@progbits
	.p2align	6, 0x0
	.amdhsa_kernel _ZN4vllm3moe17topkGatingSoftmaxIDF16_Li16ELi32ELi8ELi32ELb0ELi2ELNS0_23SharedExpertScoringFuncE1EEEvPKT_PKbPfiPiS9_iiiiii
		.amdhsa_group_segment_fixed_size 0
		.amdhsa_private_segment_fixed_size 0
		.amdhsa_kernarg_size 72
		.amdhsa_user_sgpr_count 15
		.amdhsa_user_sgpr_dispatch_ptr 0
		.amdhsa_user_sgpr_queue_ptr 0
		.amdhsa_user_sgpr_kernarg_segment_ptr 1
		.amdhsa_user_sgpr_dispatch_id 0
		.amdhsa_user_sgpr_private_segment_size 0
		.amdhsa_wavefront_size32 1
		.amdhsa_uses_dynamic_stack 0
		.amdhsa_enable_private_segment 0
		.amdhsa_system_sgpr_workgroup_id_x 1
		.amdhsa_system_sgpr_workgroup_id_y 0
		.amdhsa_system_sgpr_workgroup_id_z 0
		.amdhsa_system_sgpr_workgroup_info 0
		.amdhsa_system_vgpr_workitem_id 1
		.amdhsa_next_free_vgpr 53
		.amdhsa_next_free_sgpr 19
		.amdhsa_reserve_vcc 1
		.amdhsa_float_round_mode_32 0
		.amdhsa_float_round_mode_16_64 0
		.amdhsa_float_denorm_mode_32 3
		.amdhsa_float_denorm_mode_16_64 3
		.amdhsa_dx10_clamp 1
		.amdhsa_ieee_mode 1
		.amdhsa_fp16_overflow 0
		.amdhsa_workgroup_processor_mode 1
		.amdhsa_memory_ordered 1
		.amdhsa_forward_progress 0
		.amdhsa_shared_vgpr_count 0
		.amdhsa_exception_fp_ieee_invalid_op 0
		.amdhsa_exception_fp_denorm_src 0
		.amdhsa_exception_fp_ieee_div_zero 0
		.amdhsa_exception_fp_ieee_overflow 0
		.amdhsa_exception_fp_ieee_underflow 0
		.amdhsa_exception_fp_ieee_inexact 0
		.amdhsa_exception_int_div_zero 0
	.end_amdhsa_kernel
	.section	.text._ZN4vllm3moe17topkGatingSoftmaxIDF16_Li16ELi32ELi8ELi32ELb0ELi2ELNS0_23SharedExpertScoringFuncE1EEEvPKT_PKbPfiPiS9_iiiiii,"axG",@progbits,_ZN4vllm3moe17topkGatingSoftmaxIDF16_Li16ELi32ELi8ELi32ELb0ELi2ELNS0_23SharedExpertScoringFuncE1EEEvPKT_PKbPfiPiS9_iiiiii,comdat
.Lfunc_end161:
	.size	_ZN4vllm3moe17topkGatingSoftmaxIDF16_Li16ELi32ELi8ELi32ELb0ELi2ELNS0_23SharedExpertScoringFuncE1EEEvPKT_PKbPfiPiS9_iiiiii, .Lfunc_end161-_ZN4vllm3moe17topkGatingSoftmaxIDF16_Li16ELi32ELi8ELi32ELb0ELi2ELNS0_23SharedExpertScoringFuncE1EEEvPKT_PKbPfiPiS9_iiiiii
                                        ; -- End function
	.section	.AMDGPU.csdata,"",@progbits
; Kernel info:
; codeLenInByte = 4560
; NumSgprs: 21
; NumVgprs: 53
; ScratchSize: 0
; MemoryBound: 0
; FloatMode: 240
; IeeeMode: 1
; LDSByteSize: 0 bytes/workgroup (compile time only)
; SGPRBlocks: 2
; VGPRBlocks: 6
; NumSGPRsForWavesPerEU: 21
; NumVGPRsForWavesPerEU: 53
; Occupancy: 16
; WaveLimiterHint : 0
; COMPUTE_PGM_RSRC2:SCRATCH_EN: 0
; COMPUTE_PGM_RSRC2:USER_SGPR: 15
; COMPUTE_PGM_RSRC2:TRAP_HANDLER: 0
; COMPUTE_PGM_RSRC2:TGID_X_EN: 1
; COMPUTE_PGM_RSRC2:TGID_Y_EN: 0
; COMPUTE_PGM_RSRC2:TGID_Z_EN: 0
; COMPUTE_PGM_RSRC2:TIDIG_COMP_CNT: 1
	.section	.text._ZN4vllm3moe17topkGatingSoftmaxIDF16_Li16ELi32ELi8ELi32ELb1ELi4ELNS0_23SharedExpertScoringFuncE1EEEvPKT_PKbPfiPiS9_iiiiii,"axG",@progbits,_ZN4vllm3moe17topkGatingSoftmaxIDF16_Li16ELi32ELi8ELi32ELb1ELi4ELNS0_23SharedExpertScoringFuncE1EEEvPKT_PKbPfiPiS9_iiiiii,comdat
	.protected	_ZN4vllm3moe17topkGatingSoftmaxIDF16_Li16ELi32ELi8ELi32ELb1ELi4ELNS0_23SharedExpertScoringFuncE1EEEvPKT_PKbPfiPiS9_iiiiii ; -- Begin function _ZN4vllm3moe17topkGatingSoftmaxIDF16_Li16ELi32ELi8ELi32ELb1ELi4ELNS0_23SharedExpertScoringFuncE1EEEvPKT_PKbPfiPiS9_iiiiii
	.globl	_ZN4vllm3moe17topkGatingSoftmaxIDF16_Li16ELi32ELi8ELi32ELb1ELi4ELNS0_23SharedExpertScoringFuncE1EEEvPKT_PKbPfiPiS9_iiiiii
	.p2align	8
	.type	_ZN4vllm3moe17topkGatingSoftmaxIDF16_Li16ELi32ELi8ELi32ELb1ELi4ELNS0_23SharedExpertScoringFuncE1EEEvPKT_PKbPfiPiS9_iiiiii,@function
_ZN4vllm3moe17topkGatingSoftmaxIDF16_Li16ELi32ELi8ELi32ELb1ELi4ELNS0_23SharedExpertScoringFuncE1EEEvPKT_PKbPfiPiS9_iiiiii: ; @_ZN4vllm3moe17topkGatingSoftmaxIDF16_Li16ELi32ELi8ELi32ELb1ELi4ELNS0_23SharedExpertScoringFuncE1EEEvPKT_PKbPfiPiS9_iiiiii
; %bb.0:
	s_load_b32 s3, s[0:1], 0x18
	v_bfe_u32 v1, v0, 10, 10
	v_and_b32_e32 v0, 0x3ff, v0
	s_lshl_b32 s17, s15, 7
	s_mov_b32 s2, exec_lo
	s_delay_alu instid0(VALU_DEP_2) | instskip(NEXT) | instid1(VALU_DEP_2)
	v_lshlrev_b32_e32 v25, 4, v1
	v_lshrrev_b32_e32 v27, 1, v0
	s_delay_alu instid0(VALU_DEP_1) | instskip(SKIP_1) | instid1(VALU_DEP_1)
	v_add3_u32 v45, s17, v25, v27
	s_waitcnt lgkmcnt(0)
	v_cmpx_gt_i32_e64 s3, v45
	s_cbranch_execz .LBB162_23
; %bb.1:
	s_clause 0x1
	s_load_b128 s[8:11], s[0:1], 0x0
	s_load_b64 s[12:13], s[0:1], 0x10
	s_waitcnt lgkmcnt(0)
	s_cmp_eq_u64 s[10:11], 0
	s_cbranch_scc1 .LBB162_3
; %bb.2:
	v_ashrrev_i32_e32 v2, 31, v45
	v_add_co_u32 v1, vcc_lo, s10, v45
	s_delay_alu instid0(VALU_DEP_2) | instskip(SKIP_3) | instid1(VALU_DEP_1)
	v_add_co_ci_u32_e32 v2, vcc_lo, s11, v2, vcc_lo
	global_load_u8 v1, v[1:2], off
	s_waitcnt vmcnt(0)
	v_and_b32_e32 v1, 1, v1
	v_cmp_eq_u32_e32 vcc_lo, 1, v1
	s_xor_b32 s2, vcc_lo, -1
	s_delay_alu instid0(SALU_CYCLE_1)
	s_or_not1_b32 s16, s2, exec_lo
	s_branch .LBB162_4
.LBB162_3:
	s_mov_b32 s16, -1
.LBB162_4:
	s_clause 0x1
	s_load_b64 s[14:15], s[0:1], 0x40
	s_load_b128 s[4:7], s[0:1], 0x30
	v_and_b32_e32 v11, 1, v0
	s_delay_alu instid0(VALU_DEP_1)
	v_lshlrev_b32_e32 v0, 5, v11
	v_lshlrev_b32_e32 v12, 1, v11
	v_mov_b32_e32 v14, v11
	s_waitcnt lgkmcnt(0)
	v_mul_lo_u32 v1, v45, s15
	v_mul_lo_u32 v8, v45, s7
	s_mov_b32 s7, 0
	s_delay_alu instid0(VALU_DEP_2) | instskip(NEXT) | instid1(VALU_DEP_2)
	v_ashrrev_i32_e32 v2, 31, v1
	v_add_nc_u32_e32 v13, s4, v8
	s_delay_alu instid0(VALU_DEP_2) | instskip(NEXT) | instid1(VALU_DEP_1)
	v_lshlrev_b64 v[9:10], 1, v[1:2]
	v_add_co_u32 v1, vcc_lo, s8, v9
	s_delay_alu instid0(VALU_DEP_2) | instskip(NEXT) | instid1(VALU_DEP_2)
	v_add_co_ci_u32_e32 v2, vcc_lo, s9, v10, vcc_lo
	v_add_co_u32 v4, vcc_lo, v1, v0
	s_delay_alu instid0(VALU_DEP_2)
	v_add_co_ci_u32_e32 v5, vcc_lo, 0, v2, vcc_lo
	v_add_co_u32 v9, vcc_lo, v9, v12
	v_add_co_ci_u32_e32 v10, vcc_lo, 0, v10, vcc_lo
	s_clause 0x1
	global_load_b128 v[0:3], v[4:5], off offset:16
	global_load_b128 v[4:7], v[4:5], off
	v_add_co_u32 v9, vcc_lo, v9, s8
	v_add_co_ci_u32_e32 v10, vcc_lo, s9, v10, vcc_lo
	v_lshlrev_b32_e32 v12, 4, v11
	s_delay_alu instid0(VALU_DEP_3) | instskip(NEXT) | instid1(VALU_DEP_3)
	v_add_co_u32 v9, vcc_lo, v9, 64
	v_add_co_ci_u32_e32 v10, vcc_lo, 0, v10, vcc_lo
	s_mov_b32 s8, 0x3fb8aa3b
	s_mov_b32 s9, 0x32a5705f
.LBB162_5:                              ; =>This Inner Loop Header: Depth=1
	global_load_u16 v15, v[9:10], off
	v_add_nc_u32_e32 v22, 2, v14
	v_add_co_u32 v9, s2, v9, 4
	s_delay_alu instid0(VALU_DEP_1) | instskip(SKIP_1) | instid1(VALU_DEP_1)
	v_add_co_ci_u32_e64 v10, s2, 0, v10, s2
	v_cmp_lt_u32_e64 s2, 1, v14
	s_or_b32 s7, s2, s7
	s_waitcnt vmcnt(0)
	v_cvt_f32_f16_e64 v16, -v15
	s_delay_alu instid0(VALU_DEP_1) | instskip(SKIP_1) | instid1(VALU_DEP_2)
	v_mul_f32_e32 v17, 0x3fb8aa3b, v16
	v_cmp_ngt_f32_e32 vcc_lo, 0xc2ce8ed0, v16
	v_rndne_f32_e32 v18, v17
	v_fma_mix_f32 v19, -v15, s8, -v17 op_sel_hi:[1,0,0]
	s_delay_alu instid0(VALU_DEP_2) | instskip(NEXT) | instid1(VALU_DEP_2)
	v_sub_f32_e32 v17, v17, v18
	v_fma_mix_f32 v15, -v15, s9, v19 op_sel_hi:[1,0,0]
	s_delay_alu instid0(VALU_DEP_1) | instskip(SKIP_1) | instid1(VALU_DEP_2)
	v_add_f32_e32 v15, v17, v15
	v_cvt_i32_f32_e32 v17, v18
	v_exp_f32_e32 v15, v15
	s_waitcnt_depctr 0xfff
	v_ldexp_f32 v15, v15, v17
	s_delay_alu instid0(VALU_DEP_1) | instskip(SKIP_1) | instid1(VALU_DEP_2)
	v_cndmask_b32_e32 v15, 0, v15, vcc_lo
	v_cmp_nlt_f32_e32 vcc_lo, 0x42b17218, v16
	v_cndmask_b32_e32 v15, 0x7f800000, v15, vcc_lo
	s_delay_alu instid0(VALU_DEP_1) | instskip(NEXT) | instid1(VALU_DEP_1)
	v_add_f32_e32 v18, 1.0, v15
	v_div_scale_f32 v17, null, v18, v18, 1.0
	v_div_scale_f32 v20, vcc_lo, 1.0, v18, 1.0
	s_delay_alu instid0(VALU_DEP_2) | instskip(SKIP_2) | instid1(VALU_DEP_1)
	v_rcp_f32_e32 v19, v17
	s_waitcnt_depctr 0xfff
	v_fma_f32 v15, -v17, v19, 1.0
	v_fmac_f32_e32 v19, v15, v19
	v_add_nc_u32_e32 v15, v13, v14
	s_delay_alu instid0(VALU_DEP_2) | instskip(NEXT) | instid1(VALU_DEP_1)
	v_mul_f32_e32 v21, v20, v19
	v_fma_f32 v16, -v17, v21, v20
	s_delay_alu instid0(VALU_DEP_1) | instskip(NEXT) | instid1(VALU_DEP_4)
	v_fmac_f32_e32 v21, v16, v19
	v_ashrrev_i32_e32 v16, 31, v15
	s_delay_alu instid0(VALU_DEP_2) | instskip(NEXT) | instid1(VALU_DEP_2)
	v_fma_f32 v17, -v17, v21, v20
	v_lshlrev_b64 v[14:15], 2, v[15:16]
	s_delay_alu instid0(VALU_DEP_2) | instskip(NEXT) | instid1(VALU_DEP_2)
	v_div_fmas_f32 v19, v17, v19, v21
	v_add_co_u32 v16, vcc_lo, s12, v14
	v_mov_b32_e32 v14, v22
	s_delay_alu instid0(VALU_DEP_4) | instskip(NEXT) | instid1(VALU_DEP_4)
	v_add_co_ci_u32_e32 v17, vcc_lo, s13, v15, vcc_lo
	v_div_fixup_f32 v15, v19, v18, 1.0
	global_store_b32 v[16:17], v15, off
	s_and_not1_b32 exec_lo, exec_lo, s7
	s_cbranch_execnz .LBB162_5
; %bb.6:
	s_or_b32 exec_lo, exec_lo, s7
	v_lshrrev_b32_e32 v9, 16, v4
	v_cvt_f32_f16_e32 v10, v4
	v_or_b32_e32 v13, 1, v12
	v_cvt_f32_f16_e32 v15, v5
	v_lshrrev_b32_e32 v5, 16, v5
	v_cvt_f32_f16_e32 v14, v9
	v_cmp_lt_f16_e32 vcc_lo, v4, v9
	v_or_b32_e32 v16, 2, v12
	v_or_b32_e32 v18, 3, v12
	v_cvt_f32_f16_e32 v17, v5
	v_cvt_f32_f16_e32 v19, v6
	v_dual_cndmask_b32 v4, v12, v13 :: v_dual_cndmask_b32 v9, v10, v14
	v_or_b32_e32 v21, 5, v12
	v_cvt_f32_f16_e32 v22, v7
	v_or_b32_e32 v24, 7, v12
	v_cvt_f32_f16_e32 v26, v0
	v_cmp_lt_f32_e32 vcc_lo, v9, v15
	v_lshrrev_b32_e32 v0, 16, v0
	v_or_b32_e32 v28, 8, v12
	v_cvt_f32_f16_e32 v31, v1
	v_lshrrev_b32_e32 v1, 16, v1
	v_dual_cndmask_b32 v4, v4, v16 :: v_dual_cndmask_b32 v5, v9, v15
	v_lshrrev_b32_e32 v9, 16, v6
	v_or_b32_e32 v6, 4, v12
	v_cvt_f32_f16_e32 v29, v0
	v_cvt_f32_f16_e32 v33, v1
	v_cmp_lt_f32_e32 vcc_lo, v5, v17
	v_cvt_f32_f16_e32 v20, v9
	v_lshrrev_b32_e32 v9, 16, v7
	v_or_b32_e32 v7, 6, v12
	v_or_b32_e32 v30, 9, v12
	v_dual_cndmask_b32 v4, v4, v18 :: v_dual_cndmask_b32 v5, v5, v17
	s_delay_alu instid0(VALU_DEP_4)
	v_cvt_f32_f16_e32 v23, v9
	v_cvt_f32_f16_e32 v39, v3
	;; [unrolled: 1-line block ×3, first 2 shown]
	v_or_b32_e32 v32, 10, v12
	v_cmp_lt_f32_e32 vcc_lo, v5, v19
	v_lshrrev_b32_e32 v2, 16, v2
	v_or_b32_e32 v34, 11, v12
	v_or_b32_e32 v36, 12, v12
	;; [unrolled: 1-line block ×3, first 2 shown]
	v_dual_cndmask_b32 v4, v4, v6 :: v_dual_cndmask_b32 v5, v5, v19
	v_cvt_f32_f16_e32 v37, v2
	v_lshrrev_b32_e32 v2, 16, v3
	v_or_b32_e32 v40, 14, v12
	v_or_b32_e32 v42, 15, v12
	v_cmp_lt_f32_e32 vcc_lo, v5, v20
	s_cmp_gt_i32 s4, 0
	v_cvt_f32_f16_e32 v41, v2
	v_cmp_eq_u32_e64 s2, 0, v11
	s_cselect_b32 s7, -1, 0
	v_dual_cndmask_b32 v4, v4, v21 :: v_dual_cndmask_b32 v5, v5, v20
	s_delay_alu instid0(VALU_DEP_1) | instskip(NEXT) | instid1(VALU_DEP_2)
	v_cmp_lt_f32_e32 vcc_lo, v5, v22
	v_dual_cndmask_b32 v4, v4, v7 :: v_dual_cndmask_b32 v5, v5, v22
	s_delay_alu instid0(VALU_DEP_1) | instskip(NEXT) | instid1(VALU_DEP_2)
	v_cmp_lt_f32_e32 vcc_lo, v5, v23
	v_dual_cndmask_b32 v4, v4, v24 :: v_dual_cndmask_b32 v5, v5, v23
	s_delay_alu instid0(VALU_DEP_1) | instskip(NEXT) | instid1(VALU_DEP_2)
	v_cmp_lt_f32_e32 vcc_lo, v5, v26
	v_cndmask_b32_e32 v0, v4, v28, vcc_lo
	v_cndmask_b32_e32 v4, v5, v26, vcc_lo
	s_delay_alu instid0(VALU_DEP_1) | instskip(SKIP_1) | instid1(VALU_DEP_4)
	v_cmp_lt_f32_e32 vcc_lo, v4, v29
	v_cndmask_b32_e32 v4, v4, v29, vcc_lo
	v_cndmask_b32_e32 v0, v0, v30, vcc_lo
	s_delay_alu instid0(VALU_DEP_2) | instskip(SKIP_1) | instid1(VALU_DEP_3)
	v_cmp_lt_f32_e32 vcc_lo, v4, v31
	v_cndmask_b32_e32 v1, v4, v31, vcc_lo
	v_cndmask_b32_e32 v0, v0, v32, vcc_lo
	s_delay_alu instid0(VALU_DEP_2) | instskip(NEXT) | instid1(VALU_DEP_2)
	v_cmp_lt_f32_e32 vcc_lo, v1, v33
	v_dual_cndmask_b32 v1, v1, v33 :: v_dual_cndmask_b32 v0, v0, v34
	s_delay_alu instid0(VALU_DEP_1) | instskip(NEXT) | instid1(VALU_DEP_2)
	v_cmp_lt_f32_e32 vcc_lo, v1, v35
	v_dual_cndmask_b32 v1, v1, v35 :: v_dual_cndmask_b32 v0, v0, v36
	s_delay_alu instid0(VALU_DEP_1) | instskip(NEXT) | instid1(VALU_DEP_2)
	;; [unrolled: 3-line block ×4, first 2 shown]
	v_cmp_lt_f32_e32 vcc_lo, v1, v41
	v_cndmask_b32_e32 v0, v0, v42, vcc_lo
	v_cndmask_b32_e32 v2, v1, v41, vcc_lo
	s_and_b32 vcc_lo, exec_lo, s7
	s_delay_alu instid0(VALU_DEP_2) | instskip(NEXT) | instid1(VALU_DEP_2)
	v_mov_b32_dpp v4, v0 quad_perm:[1,0,3,2] row_mask:0xf bank_mask:0xf
	v_mov_b32_dpp v5, v2 quad_perm:[1,0,3,2] row_mask:0xf bank_mask:0xf
	s_cbranch_vccz .LBB162_18
; %bb.7:
	s_load_b128 s[8:11], s[0:1], 0x20
	s_delay_alu instid0(VALU_DEP_1)
	v_cmp_eq_f32_e32 vcc_lo, v2, v5
	v_cmp_lt_i32_e64 s0, v4, v0
	v_cmp_lt_f32_e64 s1, v2, v5
	v_mul_lo_u32 v1, v45, s14
	v_mul_lo_u32 v3, v45, s4
	v_mov_b32_e32 v44, 0
	s_and_b32 s0, vcc_lo, s0
	s_delay_alu instid0(SALU_CYCLE_1)
	s_or_b32 vcc_lo, s1, s0
	v_dual_cndmask_b32 v0, v0, v4 :: v_dual_cndmask_b32 v43, v2, v5
	s_and_saveexec_b32 s1, s2
	s_cbranch_execz .LBB162_9
; %bb.8:
	s_delay_alu instid0(VALU_DEP_1)
	v_sub_f32_e32 v44, v43, v43
	v_ashrrev_i32_e32 v9, 31, v8
	v_cmp_le_i32_e32 vcc_lo, s5, v0
	v_cmp_gt_i32_e64 s0, s6, v0
	v_subrev_nc_u32_e32 v50, s5, v0
	v_mul_f32_e32 v2, 0x3fb8aa3b, v44
	v_lshlrev_b64 v[46:47], 2, v[8:9]
	s_delay_alu instid0(VALU_DEP_4) | instskip(NEXT) | instid1(SALU_CYCLE_1)
	s_and_b32 s0, vcc_lo, s0
	s_and_b32 vcc_lo, s16, s0
	s_delay_alu instid0(VALU_DEP_2) | instskip(SKIP_1) | instid1(VALU_DEP_2)
	v_rndne_f32_e32 v5, v2
	v_fma_f32 v4, 0x3fb8aa3b, v44, -v2
	v_sub_f32_e32 v2, v2, v5
	s_delay_alu instid0(VALU_DEP_2) | instskip(SKIP_1) | instid1(VALU_DEP_2)
	v_fmamk_f32 v4, v44, 0x32a5705f, v4
	v_cvt_i32_f32_e32 v9, v5
	v_add_f32_e32 v2, v2, v4
	v_ashrrev_i32_e32 v4, 31, v3
	s_delay_alu instid0(VALU_DEP_2) | instskip(SKIP_1) | instid1(VALU_DEP_2)
	v_exp_f32_e32 v51, v2
	v_ashrrev_i32_e32 v2, 31, v1
	v_lshlrev_b64 v[4:5], 2, v[3:4]
	s_delay_alu instid0(VALU_DEP_2) | instskip(SKIP_3) | instid1(TRANS32_DEP_1)
	v_lshlrev_b64 v[48:49], 2, v[1:2]
	v_cndmask_b32_e32 v2, 32, v50, vcc_lo
	v_add_co_u32 v46, vcc_lo, s12, v46
	v_add_co_ci_u32_e32 v47, vcc_lo, s13, v47, vcc_lo
	v_ldexp_f32 v9, v51, v9
	v_cmp_ngt_f32_e32 vcc_lo, 0xc2ce8ed0, v44
	s_delay_alu instid0(VALU_DEP_2)
	v_cndmask_b32_e32 v9, 0, v9, vcc_lo
	s_waitcnt lgkmcnt(0)
	v_add_co_u32 v48, vcc_lo, s8, v48
	v_add_co_ci_u32_e32 v49, vcc_lo, s9, v49, vcc_lo
	v_cmp_nlt_f32_e32 vcc_lo, 0x42b17218, v44
	v_cndmask_b32_e32 v44, 0x7f800000, v9, vcc_lo
	v_add_co_u32 v4, vcc_lo, s10, v4
	v_add_co_ci_u32_e32 v5, vcc_lo, s11, v5, vcc_lo
	global_store_b32 v[48:49], v2, off
	global_store_b32 v[46:47], v44, off
	;; [unrolled: 1-line block ×3, first 2 shown]
.LBB162_9:
	s_or_b32 exec_lo, exec_lo, s1
	s_delay_alu instid0(VALU_DEP_1) | instskip(SKIP_1) | instid1(VALU_DEP_1)
	v_ashrrev_i32_e32 v4, 31, v0
	s_mov_b32 s0, exec_lo
	v_lshrrev_b32_e32 v2, 28, v4
	s_delay_alu instid0(VALU_DEP_1) | instskip(NEXT) | instid1(VALU_DEP_1)
	v_add_nc_u32_e32 v5, v0, v2
	v_ashrrev_i32_e32 v2, 4, v5
	v_lshrrev_b32_e32 v5, 31, v5
	s_delay_alu instid0(VALU_DEP_1) | instskip(NEXT) | instid1(VALU_DEP_1)
	v_add_nc_u32_e32 v5, v2, v5
	v_and_b32_e32 v5, -2, v5
	s_delay_alu instid0(VALU_DEP_1) | instskip(NEXT) | instid1(VALU_DEP_1)
	v_sub_nc_u32_e32 v5, v2, v5
	v_cmpx_eq_u32_e64 v11, v5
	s_cbranch_execz .LBB162_11
; %bb.10:
	v_lshrrev_b32_e32 v4, 27, v4
	v_lshlrev_b32_e32 v2, 4, v2
	s_delay_alu instid0(VALU_DEP_2) | instskip(NEXT) | instid1(VALU_DEP_2)
	v_add_nc_u32_e32 v4, v0, v4
	v_sub_nc_u32_e32 v0, v0, v2
	s_delay_alu instid0(VALU_DEP_2) | instskip(NEXT) | instid1(VALU_DEP_1)
	v_ashrrev_i32_e32 v2, 5, v4
	v_lshl_add_u32 v0, v2, 4, v0
	s_delay_alu instid0(VALU_DEP_1)
	v_cmp_ne_u32_e32 vcc_lo, 15, v0
	v_cndmask_b32_e32 v41, 0xff800000, v41, vcc_lo
	v_cmp_ne_u32_e32 vcc_lo, 14, v0
	v_cndmask_b32_e32 v39, 0xff800000, v39, vcc_lo
	;; [unrolled: 2-line block ×16, first 2 shown]
.LBB162_11:
	s_or_b32 exec_lo, exec_lo, s0
	s_cmp_eq_u32 s4, 1
	s_cbranch_scc1 .LBB162_19
; %bb.12:
	s_add_i32 s17, s17, s3
	v_add_nc_u32_e32 v0, 1, v3
	v_add3_u32 v9, s17, v27, v25
	v_add_nc_u32_e32 v2, 1, v1
	v_add_nc_u32_e32 v4, 1, v8
	s_add_i32 s14, s4, -1
	s_branch .LBB162_14
.LBB162_13:                             ;   in Loop: Header=BB162_14 Depth=1
	s_or_b32 exec_lo, exec_lo, s0
	v_add_nc_u32_e32 v9, s3, v9
	v_add_nc_u32_e32 v0, 1, v0
	;; [unrolled: 1-line block ×4, first 2 shown]
	s_add_i32 s14, s14, -1
	s_delay_alu instid0(SALU_CYCLE_1)
	s_cmp_eq_u32 s14, 0
	s_cbranch_scc1 .LBB162_19
.LBB162_14:                             ; =>This Inner Loop Header: Depth=1
	v_cmp_gt_f32_e32 vcc_lo, v14, v10
	v_cndmask_b32_e32 v3, v10, v14, vcc_lo
	v_cndmask_b32_e32 v1, v12, v13, vcc_lo
	s_delay_alu instid0(VALU_DEP_2) | instskip(SKIP_1) | instid1(VALU_DEP_3)
	v_cmp_gt_f32_e32 vcc_lo, v15, v3
	v_cndmask_b32_e32 v3, v3, v15, vcc_lo
	v_cndmask_b32_e32 v1, v1, v16, vcc_lo
	s_delay_alu instid0(VALU_DEP_2) | instskip(SKIP_1) | instid1(VALU_DEP_3)
	;; [unrolled: 4-line block ×13, first 2 shown]
	v_cmp_gt_f32_e32 vcc_lo, v39, v3
	v_cndmask_b32_e32 v3, v3, v39, vcc_lo
	v_cndmask_b32_e32 v1, v1, v40, vcc_lo
	s_delay_alu instid0(VALU_DEP_2) | instskip(NEXT) | instid1(VALU_DEP_2)
	v_cmp_gt_f32_e32 vcc_lo, v41, v3
	v_cndmask_b32_e32 v5, v1, v42, vcc_lo
	v_cndmask_b32_e32 v1, v3, v41, vcc_lo
	s_delay_alu instid0(VALU_DEP_2) | instskip(NEXT) | instid1(VALU_DEP_2)
	v_mov_b32_dpp v25, v5 quad_perm:[1,0,3,2] row_mask:0xf bank_mask:0xf
	v_mov_b32_dpp v3, v1 quad_perm:[1,0,3,2] row_mask:0xf bank_mask:0xf
	s_delay_alu instid0(VALU_DEP_2) | instskip(NEXT) | instid1(VALU_DEP_2)
	v_cmp_lt_i32_e32 vcc_lo, v25, v5
	v_cmp_eq_f32_e64 s0, v1, v3
	v_cmp_lt_f32_e64 s1, v1, v3
	s_delay_alu instid0(VALU_DEP_2)
	s_and_b32 s0, s0, vcc_lo
	s_delay_alu instid0(VALU_DEP_1) | instid1(SALU_CYCLE_1)
	s_or_b32 vcc_lo, s1, s0
	v_cndmask_b32_e32 v25, v5, v25, vcc_lo
	s_and_saveexec_b32 s1, s2
	s_cbranch_execz .LBB162_16
; %bb.15:                               ;   in Loop: Header=BB162_14 Depth=1
	v_cndmask_b32_e32 v1, v1, v3, vcc_lo
	s_delay_alu instid0(VALU_DEP_2) | instskip(SKIP_4) | instid1(VALU_DEP_4)
	v_cmp_le_i32_e32 vcc_lo, s5, v25
	v_cmp_gt_i32_e64 s0, s6, v25
	v_ashrrev_i32_e32 v5, 31, v4
	v_subrev_nc_u32_e32 v51, s5, v25
	v_sub_f32_e32 v27, v1, v43
	s_and_b32 s0, vcc_lo, s0
	s_delay_alu instid0(SALU_CYCLE_1) | instskip(NEXT) | instid1(VALU_DEP_1)
	s_and_b32 vcc_lo, s16, s0
	v_mul_f32_e32 v1, 0x3fb8aa3b, v27
	s_delay_alu instid0(VALU_DEP_1) | instskip(SKIP_1) | instid1(VALU_DEP_2)
	v_fma_f32 v3, 0x3fb8aa3b, v27, -v1
	v_rndne_f32_e32 v45, v1
	v_fmac_f32_e32 v3, 0x32a5705f, v27
	s_delay_alu instid0(VALU_DEP_2) | instskip(SKIP_2) | instid1(VALU_DEP_3)
	v_sub_f32_e32 v1, v1, v45
	v_cvt_i32_f32_e32 v50, v45
	v_lshlrev_b64 v[45:46], 2, v[4:5]
	v_add_f32_e32 v1, v1, v3
	v_ashrrev_i32_e32 v3, 31, v2
	s_delay_alu instid0(VALU_DEP_2) | instskip(SKIP_1) | instid1(VALU_DEP_2)
	v_exp_f32_e32 v49, v1
	v_ashrrev_i32_e32 v1, 31, v0
	v_lshlrev_b64 v[47:48], 2, v[2:3]
	s_waitcnt_depctr 0xfff
	v_ldexp_f32 v3, v49, v50
	v_lshlrev_b64 v[49:50], 2, v[0:1]
	v_cndmask_b32_e32 v1, 32, v51, vcc_lo
	v_cmp_ngt_f32_e32 vcc_lo, 0xc2ce8ed0, v27
	s_delay_alu instid0(VALU_DEP_4) | instskip(SKIP_3) | instid1(VALU_DEP_4)
	v_cndmask_b32_e32 v3, 0, v3, vcc_lo
	v_add_co_u32 v45, vcc_lo, s12, v45
	v_add_co_ci_u32_e32 v46, vcc_lo, s13, v46, vcc_lo
	v_cmp_nlt_f32_e32 vcc_lo, 0x42b17218, v27
	v_cndmask_b32_e32 v3, 0x7f800000, v3, vcc_lo
	s_waitcnt lgkmcnt(0)
	v_add_co_u32 v47, vcc_lo, s8, v47
	v_add_co_ci_u32_e32 v48, vcc_lo, s9, v48, vcc_lo
	s_delay_alu instid0(VALU_DEP_3)
	v_add_f32_e32 v44, v44, v3
	v_add_co_u32 v49, vcc_lo, s10, v49
	v_add_co_ci_u32_e32 v50, vcc_lo, s11, v50, vcc_lo
	global_store_b32 v[45:46], v3, off
	global_store_b32 v[47:48], v1, off
	global_store_b32 v[49:50], v9, off
.LBB162_16:                             ;   in Loop: Header=BB162_14 Depth=1
	s_or_b32 exec_lo, exec_lo, s1
	s_delay_alu instid0(VALU_DEP_1) | instskip(SKIP_1) | instid1(VALU_DEP_1)
	v_ashrrev_i32_e32 v3, 31, v25
	s_mov_b32 s0, exec_lo
	v_lshrrev_b32_e32 v1, 28, v3
	s_delay_alu instid0(VALU_DEP_1) | instskip(NEXT) | instid1(VALU_DEP_1)
	v_add_nc_u32_e32 v5, v25, v1
	v_ashrrev_i32_e32 v1, 4, v5
	v_lshrrev_b32_e32 v5, 31, v5
	s_delay_alu instid0(VALU_DEP_1) | instskip(NEXT) | instid1(VALU_DEP_1)
	v_add_nc_u32_e32 v5, v1, v5
	v_and_b32_e32 v5, -2, v5
	s_delay_alu instid0(VALU_DEP_1) | instskip(NEXT) | instid1(VALU_DEP_1)
	v_sub_nc_u32_e32 v5, v1, v5
	v_cmpx_eq_u32_e64 v11, v5
	s_cbranch_execz .LBB162_13
; %bb.17:                               ;   in Loop: Header=BB162_14 Depth=1
	v_lshrrev_b32_e32 v3, 27, v3
	v_lshlrev_b32_e32 v1, 4, v1
	s_delay_alu instid0(VALU_DEP_2) | instskip(NEXT) | instid1(VALU_DEP_2)
	v_add_nc_u32_e32 v3, v25, v3
	v_sub_nc_u32_e32 v1, v25, v1
	s_delay_alu instid0(VALU_DEP_2) | instskip(NEXT) | instid1(VALU_DEP_1)
	v_ashrrev_i32_e32 v3, 5, v3
	v_lshl_add_u32 v1, v3, 4, v1
	s_delay_alu instid0(VALU_DEP_1)
	v_cmp_ne_u32_e32 vcc_lo, 15, v1
	v_cndmask_b32_e32 v41, 0xff800000, v41, vcc_lo
	v_cmp_ne_u32_e32 vcc_lo, 14, v1
	v_cndmask_b32_e32 v39, 0xff800000, v39, vcc_lo
	;; [unrolled: 2-line block ×16, first 2 shown]
	s_branch .LBB162_13
.LBB162_18:
	v_mov_b32_e32 v44, 0
.LBB162_19:
	v_cmp_eq_u32_e32 vcc_lo, 0, v11
	s_delay_alu instid0(VALU_DEP_2) | instskip(NEXT) | instid1(VALU_DEP_1)
	v_cmp_neq_f32_e64 s0, 0, v44
	s_and_b32 s0, vcc_lo, s0
	s_delay_alu instid0(SALU_CYCLE_1)
	s_and_b32 exec_lo, exec_lo, s0
	s_cbranch_execz .LBB162_23
; %bb.20:
	s_and_not1_b32 vcc_lo, exec_lo, s7
	s_cbranch_vccnz .LBB162_23
; %bb.21:
	v_div_scale_f32 v0, null, v44, v44, 1.0
	v_div_scale_f32 v3, vcc_lo, 1.0, v44, 1.0
	v_ashrrev_i32_e32 v9, 31, v8
	s_delay_alu instid0(VALU_DEP_3) | instskip(SKIP_2) | instid1(VALU_DEP_1)
	v_rcp_f32_e32 v1, v0
	s_waitcnt_depctr 0xfff
	v_fma_f32 v2, -v0, v1, 1.0
	v_fmac_f32_e32 v1, v2, v1
	s_delay_alu instid0(VALU_DEP_1) | instskip(NEXT) | instid1(VALU_DEP_1)
	v_mul_f32_e32 v2, v3, v1
	v_fma_f32 v4, -v0, v2, v3
	s_delay_alu instid0(VALU_DEP_1) | instskip(NEXT) | instid1(VALU_DEP_1)
	v_fmac_f32_e32 v2, v4, v1
	v_fma_f32 v0, -v0, v2, v3
	s_delay_alu instid0(VALU_DEP_1) | instskip(SKIP_1) | instid1(VALU_DEP_2)
	v_div_fmas_f32 v2, v0, v1, v2
	v_lshlrev_b64 v[0:1], 2, v[8:9]
	v_div_fixup_f32 v2, v2, v44, 1.0
	s_delay_alu instid0(VALU_DEP_2) | instskip(NEXT) | instid1(VALU_DEP_3)
	v_add_co_u32 v0, vcc_lo, s12, v0
	v_add_co_ci_u32_e32 v1, vcc_lo, s13, v1, vcc_lo
.LBB162_22:                             ; =>This Inner Loop Header: Depth=1
	global_load_b32 v3, v[0:1], off
	s_add_i32 s4, s4, -1
	s_delay_alu instid0(SALU_CYCLE_1)
	s_cmp_lg_u32 s4, 0
	s_waitcnt vmcnt(0)
	v_mul_f32_e32 v3, v2, v3
	global_store_b32 v[0:1], v3, off
	v_add_co_u32 v0, vcc_lo, v0, 4
	v_add_co_ci_u32_e32 v1, vcc_lo, 0, v1, vcc_lo
	s_cbranch_scc1 .LBB162_22
.LBB162_23:
	s_nop 0
	s_sendmsg sendmsg(MSG_DEALLOC_VGPRS)
	s_endpgm
	.section	.rodata,"a",@progbits
	.p2align	6, 0x0
	.amdhsa_kernel _ZN4vllm3moe17topkGatingSoftmaxIDF16_Li16ELi32ELi8ELi32ELb1ELi4ELNS0_23SharedExpertScoringFuncE1EEEvPKT_PKbPfiPiS9_iiiiii
		.amdhsa_group_segment_fixed_size 0
		.amdhsa_private_segment_fixed_size 0
		.amdhsa_kernarg_size 72
		.amdhsa_user_sgpr_count 15
		.amdhsa_user_sgpr_dispatch_ptr 0
		.amdhsa_user_sgpr_queue_ptr 0
		.amdhsa_user_sgpr_kernarg_segment_ptr 1
		.amdhsa_user_sgpr_dispatch_id 0
		.amdhsa_user_sgpr_private_segment_size 0
		.amdhsa_wavefront_size32 1
		.amdhsa_uses_dynamic_stack 0
		.amdhsa_enable_private_segment 0
		.amdhsa_system_sgpr_workgroup_id_x 1
		.amdhsa_system_sgpr_workgroup_id_y 0
		.amdhsa_system_sgpr_workgroup_id_z 0
		.amdhsa_system_sgpr_workgroup_info 0
		.amdhsa_system_vgpr_workitem_id 1
		.amdhsa_next_free_vgpr 52
		.amdhsa_next_free_sgpr 18
		.amdhsa_reserve_vcc 1
		.amdhsa_float_round_mode_32 0
		.amdhsa_float_round_mode_16_64 0
		.amdhsa_float_denorm_mode_32 3
		.amdhsa_float_denorm_mode_16_64 3
		.amdhsa_dx10_clamp 1
		.amdhsa_ieee_mode 1
		.amdhsa_fp16_overflow 0
		.amdhsa_workgroup_processor_mode 1
		.amdhsa_memory_ordered 1
		.amdhsa_forward_progress 0
		.amdhsa_shared_vgpr_count 0
		.amdhsa_exception_fp_ieee_invalid_op 0
		.amdhsa_exception_fp_denorm_src 0
		.amdhsa_exception_fp_ieee_div_zero 0
		.amdhsa_exception_fp_ieee_overflow 0
		.amdhsa_exception_fp_ieee_underflow 0
		.amdhsa_exception_fp_ieee_inexact 0
		.amdhsa_exception_int_div_zero 0
	.end_amdhsa_kernel
	.section	.text._ZN4vllm3moe17topkGatingSoftmaxIDF16_Li16ELi32ELi8ELi32ELb1ELi4ELNS0_23SharedExpertScoringFuncE1EEEvPKT_PKbPfiPiS9_iiiiii,"axG",@progbits,_ZN4vllm3moe17topkGatingSoftmaxIDF16_Li16ELi32ELi8ELi32ELb1ELi4ELNS0_23SharedExpertScoringFuncE1EEEvPKT_PKbPfiPiS9_iiiiii,comdat
.Lfunc_end162:
	.size	_ZN4vllm3moe17topkGatingSoftmaxIDF16_Li16ELi32ELi8ELi32ELb1ELi4ELNS0_23SharedExpertScoringFuncE1EEEvPKT_PKbPfiPiS9_iiiiii, .Lfunc_end162-_ZN4vllm3moe17topkGatingSoftmaxIDF16_Li16ELi32ELi8ELi32ELb1ELi4ELNS0_23SharedExpertScoringFuncE1EEEvPKT_PKbPfiPiS9_iiiiii
                                        ; -- End function
	.section	.AMDGPU.csdata,"",@progbits
; Kernel info:
; codeLenInByte = 2904
; NumSgprs: 20
; NumVgprs: 52
; ScratchSize: 0
; MemoryBound: 0
; FloatMode: 240
; IeeeMode: 1
; LDSByteSize: 0 bytes/workgroup (compile time only)
; SGPRBlocks: 2
; VGPRBlocks: 6
; NumSGPRsForWavesPerEU: 20
; NumVGPRsForWavesPerEU: 52
; Occupancy: 16
; WaveLimiterHint : 0
; COMPUTE_PGM_RSRC2:SCRATCH_EN: 0
; COMPUTE_PGM_RSRC2:USER_SGPR: 15
; COMPUTE_PGM_RSRC2:TRAP_HANDLER: 0
; COMPUTE_PGM_RSRC2:TGID_X_EN: 1
; COMPUTE_PGM_RSRC2:TGID_Y_EN: 0
; COMPUTE_PGM_RSRC2:TGID_Z_EN: 0
; COMPUTE_PGM_RSRC2:TIDIG_COMP_CNT: 1
	.section	.text._ZN4vllm3moe17topkGatingSoftmaxIDF16_Li16ELi32ELi8ELi32ELb0ELi4ELNS0_23SharedExpertScoringFuncE1EEEvPKT_PKbPfiPiS9_iiiiii,"axG",@progbits,_ZN4vllm3moe17topkGatingSoftmaxIDF16_Li16ELi32ELi8ELi32ELb0ELi4ELNS0_23SharedExpertScoringFuncE1EEEvPKT_PKbPfiPiS9_iiiiii,comdat
	.protected	_ZN4vllm3moe17topkGatingSoftmaxIDF16_Li16ELi32ELi8ELi32ELb0ELi4ELNS0_23SharedExpertScoringFuncE1EEEvPKT_PKbPfiPiS9_iiiiii ; -- Begin function _ZN4vllm3moe17topkGatingSoftmaxIDF16_Li16ELi32ELi8ELi32ELb0ELi4ELNS0_23SharedExpertScoringFuncE1EEEvPKT_PKbPfiPiS9_iiiiii
	.globl	_ZN4vllm3moe17topkGatingSoftmaxIDF16_Li16ELi32ELi8ELi32ELb0ELi4ELNS0_23SharedExpertScoringFuncE1EEEvPKT_PKbPfiPiS9_iiiiii
	.p2align	8
	.type	_ZN4vllm3moe17topkGatingSoftmaxIDF16_Li16ELi32ELi8ELi32ELb0ELi4ELNS0_23SharedExpertScoringFuncE1EEEvPKT_PKbPfiPiS9_iiiiii,@function
_ZN4vllm3moe17topkGatingSoftmaxIDF16_Li16ELi32ELi8ELi32ELb0ELi4ELNS0_23SharedExpertScoringFuncE1EEEvPKT_PKbPfiPiS9_iiiiii: ; @_ZN4vllm3moe17topkGatingSoftmaxIDF16_Li16ELi32ELi8ELi32ELb0ELi4ELNS0_23SharedExpertScoringFuncE1EEEvPKT_PKbPfiPiS9_iiiiii
; %bb.0:
	s_load_b32 s16, s[0:1], 0x18
	v_bfe_u32 v1, v0, 10, 10
	v_and_b32_e32 v0, 0x3ff, v0
	s_lshl_b32 s18, s15, 7
	s_mov_b32 s2, exec_lo
	s_delay_alu instid0(VALU_DEP_2) | instskip(NEXT) | instid1(VALU_DEP_2)
	v_lshlrev_b32_e32 v31, 4, v1
	v_lshrrev_b32_e32 v32, 1, v0
	s_delay_alu instid0(VALU_DEP_1) | instskip(SKIP_1) | instid1(VALU_DEP_1)
	v_add3_u32 v44, s18, v31, v32
	s_waitcnt lgkmcnt(0)
	v_cmpx_gt_i32_e64 s16, v44
	s_cbranch_execz .LBB163_24
; %bb.1:
	s_clause 0x1
	s_load_b128 s[8:11], s[0:1], 0x0
	s_load_b64 s[12:13], s[0:1], 0x10
	s_waitcnt lgkmcnt(0)
	s_cmp_eq_u64 s[10:11], 0
	s_cbranch_scc1 .LBB163_3
; %bb.2:
	v_ashrrev_i32_e32 v2, 31, v44
	v_add_co_u32 v1, vcc_lo, s10, v44
	s_delay_alu instid0(VALU_DEP_2) | instskip(SKIP_3) | instid1(VALU_DEP_1)
	v_add_co_ci_u32_e32 v2, vcc_lo, s11, v2, vcc_lo
	global_load_u8 v1, v[1:2], off
	s_waitcnt vmcnt(0)
	v_and_b32_e32 v1, 1, v1
	v_cmp_eq_u32_e32 vcc_lo, 1, v1
	s_xor_b32 s2, vcc_lo, -1
	s_delay_alu instid0(SALU_CYCLE_1)
	s_or_not1_b32 s17, s2, exec_lo
	s_branch .LBB163_4
.LBB163_3:
	s_mov_b32 s17, -1
.LBB163_4:
	s_clause 0x1
	s_load_b64 s[14:15], s[0:1], 0x40
	s_load_b128 s[4:7], s[0:1], 0x30
	v_and_b32_e32 v11, 1, v0
	s_mov_b32 s3, 0
	s_delay_alu instid0(VALU_DEP_1)
	v_dual_mov_b32 v13, v11 :: v_dual_lshlrev_b32 v0, 5, v11
	v_lshlrev_b32_e32 v12, 1, v11
	v_lshlrev_b32_e32 v20, 4, v11
	s_waitcnt lgkmcnt(0)
	v_mul_lo_u32 v1, v44, s15
	v_mul_lo_u32 v8, v44, s7
	s_mov_b32 s7, 0x3fb8aa3b
	s_delay_alu instid0(VALU_DEP_2) | instskip(NEXT) | instid1(VALU_DEP_1)
	v_ashrrev_i32_e32 v2, 31, v1
	v_lshlrev_b64 v[9:10], 1, v[1:2]
	s_delay_alu instid0(VALU_DEP_1) | instskip(NEXT) | instid1(VALU_DEP_2)
	v_add_co_u32 v1, vcc_lo, s8, v9
	v_add_co_ci_u32_e32 v2, vcc_lo, s9, v10, vcc_lo
	s_delay_alu instid0(VALU_DEP_2) | instskip(NEXT) | instid1(VALU_DEP_2)
	v_add_co_u32 v4, vcc_lo, v1, v0
	v_add_co_ci_u32_e32 v5, vcc_lo, 0, v2, vcc_lo
	v_add_co_u32 v9, vcc_lo, v9, v12
	v_add_co_ci_u32_e32 v10, vcc_lo, 0, v10, vcc_lo
	s_clause 0x1
	global_load_b128 v[0:3], v[4:5], off offset:16
	global_load_b128 v[4:7], v[4:5], off
	v_add_co_u32 v9, vcc_lo, v9, s8
	v_add_co_ci_u32_e32 v10, vcc_lo, s9, v10, vcc_lo
	v_add_nc_u32_e32 v12, s4, v8
	s_delay_alu instid0(VALU_DEP_3) | instskip(NEXT) | instid1(VALU_DEP_3)
	v_add_co_u32 v9, vcc_lo, v9, 64
	v_add_co_ci_u32_e32 v10, vcc_lo, 0, v10, vcc_lo
	s_mov_b32 s8, 0x32a5705f
.LBB163_5:                              ; =>This Inner Loop Header: Depth=1
	global_load_u16 v14, v[9:10], off
	v_add_nc_u32_e32 v22, 2, v13
	v_add_co_u32 v9, s2, v9, 4
	s_delay_alu instid0(VALU_DEP_1) | instskip(SKIP_1) | instid1(VALU_DEP_1)
	v_add_co_ci_u32_e64 v10, s2, 0, v10, s2
	v_cmp_lt_u32_e64 s2, 1, v13
	s_or_b32 s3, s2, s3
	s_waitcnt vmcnt(0)
	v_cvt_f32_f16_e64 v15, -v14
	s_delay_alu instid0(VALU_DEP_1) | instskip(SKIP_1) | instid1(VALU_DEP_2)
	v_mul_f32_e32 v16, 0x3fb8aa3b, v15
	v_cmp_ngt_f32_e32 vcc_lo, 0xc2ce8ed0, v15
	v_rndne_f32_e32 v17, v16
	v_fma_mix_f32 v18, -v14, s7, -v16 op_sel_hi:[1,0,0]
	s_delay_alu instid0(VALU_DEP_2) | instskip(NEXT) | instid1(VALU_DEP_2)
	v_sub_f32_e32 v16, v16, v17
	v_fma_mix_f32 v14, -v14, s8, v18 op_sel_hi:[1,0,0]
	s_delay_alu instid0(VALU_DEP_1) | instskip(SKIP_1) | instid1(VALU_DEP_2)
	v_add_f32_e32 v14, v16, v14
	v_cvt_i32_f32_e32 v16, v17
	v_exp_f32_e32 v14, v14
	s_waitcnt_depctr 0xfff
	v_ldexp_f32 v14, v14, v16
	s_delay_alu instid0(VALU_DEP_1) | instskip(SKIP_1) | instid1(VALU_DEP_2)
	v_cndmask_b32_e32 v14, 0, v14, vcc_lo
	v_cmp_nlt_f32_e32 vcc_lo, 0x42b17218, v15
	v_cndmask_b32_e32 v14, 0x7f800000, v14, vcc_lo
	s_delay_alu instid0(VALU_DEP_1) | instskip(NEXT) | instid1(VALU_DEP_1)
	v_add_f32_e32 v17, 1.0, v14
	v_div_scale_f32 v16, null, v17, v17, 1.0
	v_div_scale_f32 v19, vcc_lo, 1.0, v17, 1.0
	s_delay_alu instid0(VALU_DEP_2) | instskip(SKIP_2) | instid1(VALU_DEP_1)
	v_rcp_f32_e32 v18, v16
	s_waitcnt_depctr 0xfff
	v_fma_f32 v14, -v16, v18, 1.0
	v_fmac_f32_e32 v18, v14, v18
	s_delay_alu instid0(VALU_DEP_1) | instskip(NEXT) | instid1(VALU_DEP_1)
	v_mul_f32_e32 v21, v19, v18
	v_fma_f32 v15, -v16, v21, v19
	s_delay_alu instid0(VALU_DEP_1) | instskip(NEXT) | instid1(VALU_DEP_1)
	v_dual_fmac_f32 v21, v15, v18 :: v_dual_add_nc_u32 v14, v12, v13
	v_ashrrev_i32_e32 v15, 31, v14
	s_delay_alu instid0(VALU_DEP_2) | instskip(NEXT) | instid1(VALU_DEP_2)
	v_fma_f32 v16, -v16, v21, v19
	v_lshlrev_b64 v[13:14], 2, v[14:15]
	s_delay_alu instid0(VALU_DEP_2) | instskip(NEXT) | instid1(VALU_DEP_2)
	v_div_fmas_f32 v18, v16, v18, v21
	v_add_co_u32 v15, vcc_lo, s12, v13
	s_delay_alu instid0(VALU_DEP_3) | instskip(NEXT) | instid1(VALU_DEP_3)
	v_add_co_ci_u32_e32 v16, vcc_lo, s13, v14, vcc_lo
	v_div_fixup_f32 v14, v18, v17, 1.0
	v_mov_b32_e32 v13, v22
	global_store_b32 v[15:16], v14, off
	s_and_not1_b32 exec_lo, exec_lo, s3
	s_cbranch_execnz .LBB163_5
; %bb.6:
	s_or_b32 exec_lo, exec_lo, s3
	v_lshrrev_b32_e32 v9, 16, v4
	v_cvt_f32_f16_e32 v23, v4
	v_or_b32_e32 v27, 1, v20
	v_cvt_f32_f16_e32 v25, v5
	v_lshrrev_b32_e32 v5, 16, v5
	v_cvt_f32_f16_e32 v26, v9
	v_cmp_lt_f16_e32 vcc_lo, v4, v9
	v_or_b32_e32 v28, 2, v20
	v_or_b32_e32 v29, 3, v20
	v_cvt_f32_f16_e32 v24, v5
	v_cvt_f32_f16_e32 v22, v6
	v_dual_cndmask_b32 v4, v20, v27 :: v_dual_cndmask_b32 v9, v23, v26
	v_lshrrev_b32_e32 v6, 16, v6
	v_or_b32_e32 v30, 4, v20
	v_or_b32_e32 v33, 5, v20
	v_cvt_f32_f16_e32 v19, v7
	v_cmp_lt_f32_e32 vcc_lo, v9, v25
	v_cvt_f32_f16_e32 v21, v6
	v_lshrrev_b32_e32 v6, 16, v7
	v_or_b32_e32 v34, 6, v20
	v_or_b32_e32 v35, 7, v20
	v_dual_cndmask_b32 v4, v4, v28 :: v_dual_cndmask_b32 v5, v9, v25
	s_delay_alu instid0(VALU_DEP_4)
	v_cvt_f32_f16_e32 v18, v6
	v_cvt_f32_f16_e32 v17, v0
	v_lshrrev_b32_e32 v0, 16, v0
	v_or_b32_e32 v36, 8, v20
	v_cmp_lt_f32_e32 vcc_lo, v5, v24
	v_cvt_f32_f16_e32 v15, v1
	v_lshrrev_b32_e32 v1, 16, v1
	v_cvt_f32_f16_e32 v16, v0
	v_or_b32_e32 v37, 9, v20
	v_dual_cndmask_b32 v4, v4, v29 :: v_dual_cndmask_b32 v5, v5, v24
	s_delay_alu instid0(VALU_DEP_4)
	v_cvt_f32_f16_e32 v14, v1
	v_cvt_f32_f16_e32 v13, v2
	v_lshrrev_b32_e32 v2, 16, v2
	v_or_b32_e32 v38, 10, v20
	v_cmp_lt_f32_e32 vcc_lo, v5, v22
	v_cvt_f32_f16_e32 v7, v3
	v_or_b32_e32 v39, 11, v20
	v_cvt_f32_f16_e32 v12, v2
	v_lshrrev_b32_e32 v2, 16, v3
	v_cndmask_b32_e32 v5, v5, v22, vcc_lo
	v_cndmask_b32_e32 v4, v4, v30, vcc_lo
	v_or_b32_e32 v40, 12, v20
	v_or_b32_e32 v41, 13, v20
	v_cvt_f32_f16_e32 v6, v2
	v_cmp_lt_f32_e32 vcc_lo, v5, v21
	v_or_b32_e32 v42, 14, v20
	v_or_b32_e32 v43, 15, v20
	v_cndmask_b32_e32 v5, v5, v21, vcc_lo
	v_cndmask_b32_e32 v4, v4, v33, vcc_lo
	s_delay_alu instid0(VALU_DEP_2) | instskip(NEXT) | instid1(VALU_DEP_2)
	v_cmp_lt_f32_e32 vcc_lo, v5, v19
	v_dual_cndmask_b32 v4, v4, v34 :: v_dual_cndmask_b32 v5, v5, v19
	s_delay_alu instid0(VALU_DEP_1) | instskip(NEXT) | instid1(VALU_DEP_2)
	v_cmp_lt_f32_e32 vcc_lo, v5, v18
	v_dual_cndmask_b32 v4, v4, v35 :: v_dual_cndmask_b32 v5, v5, v18
	s_delay_alu instid0(VALU_DEP_1) | instskip(NEXT) | instid1(VALU_DEP_2)
	v_cmp_lt_f32_e32 vcc_lo, v5, v17
	v_cndmask_b32_e32 v0, v4, v36, vcc_lo
	v_cndmask_b32_e32 v4, v5, v17, vcc_lo
	s_delay_alu instid0(VALU_DEP_1) | instskip(SKIP_1) | instid1(VALU_DEP_4)
	v_cmp_lt_f32_e32 vcc_lo, v4, v16
	v_cndmask_b32_e32 v4, v4, v16, vcc_lo
	v_cndmask_b32_e32 v0, v0, v37, vcc_lo
	s_delay_alu instid0(VALU_DEP_2) | instskip(SKIP_1) | instid1(VALU_DEP_3)
	v_cmp_lt_f32_e32 vcc_lo, v4, v15
	v_cndmask_b32_e32 v1, v4, v15, vcc_lo
	v_cndmask_b32_e32 v0, v0, v38, vcc_lo
	s_delay_alu instid0(VALU_DEP_2) | instskip(NEXT) | instid1(VALU_DEP_2)
	v_cmp_lt_f32_e32 vcc_lo, v1, v14
	v_dual_cndmask_b32 v1, v1, v14 :: v_dual_cndmask_b32 v0, v0, v39
	s_delay_alu instid0(VALU_DEP_1) | instskip(NEXT) | instid1(VALU_DEP_2)
	v_cmp_lt_f32_e32 vcc_lo, v1, v13
	v_dual_cndmask_b32 v1, v1, v13 :: v_dual_cndmask_b32 v0, v0, v40
	s_delay_alu instid0(VALU_DEP_1) | instskip(NEXT) | instid1(VALU_DEP_2)
	;; [unrolled: 3-line block ×5, first 2 shown]
	v_mov_b32_dpp v3, v1 quad_perm:[1,0,3,2] row_mask:0xf bank_mask:0xf
	v_mov_b32_dpp v2, v0 quad_perm:[1,0,3,2] row_mask:0xf bank_mask:0xf
	s_delay_alu instid0(VALU_DEP_2) | instskip(NEXT) | instid1(VALU_DEP_2)
	v_cmp_eq_f32_e64 s2, v1, v3
	v_cmp_lt_i32_e32 vcc_lo, v2, v0
	v_cmp_lt_f32_e64 s3, v1, v3
	s_delay_alu instid0(VALU_DEP_3)
	s_and_b32 s2, s2, vcc_lo
	s_delay_alu instid0(VALU_DEP_1) | instid1(SALU_CYCLE_1)
	s_or_b32 s3, s3, s2
	s_cmp_gt_i32 s4, 0
	v_cndmask_b32_e64 v10, v1, v3, s3
	v_cmp_eq_u32_e64 s2, 0, v11
	s_cselect_b32 s7, -1, 0
	s_delay_alu instid0(SALU_CYCLE_1)
	s_and_b32 vcc_lo, exec_lo, s7
	s_cbranch_vccz .LBB163_18
; %bb.7:
	s_load_b128 s[8:11], s[0:1], 0x20
	v_mul_lo_u32 v1, v44, s14
	v_mul_lo_u32 v3, v44, s4
	v_cndmask_b32_e64 v0, v0, v2, s3
	v_mov_b32_e32 v9, 0
	s_and_saveexec_b32 s1, s2
	s_cbranch_execz .LBB163_9
; %bb.8:
	v_sub_f32_e32 v49, v10, v10
	v_ashrrev_i32_e32 v9, 31, v8
	v_cmp_le_i32_e32 vcc_lo, s5, v0
	v_cmp_gt_i32_e64 s0, s6, v0
	v_subrev_nc_u32_e32 v50, s5, v0
	v_mul_f32_e32 v2, 0x3fb8aa3b, v49
	v_lshlrev_b64 v[45:46], 2, v[8:9]
	s_delay_alu instid0(VALU_DEP_4) | instskip(NEXT) | instid1(SALU_CYCLE_1)
	s_and_b32 s0, vcc_lo, s0
	s_and_b32 vcc_lo, s17, s0
	s_delay_alu instid0(VALU_DEP_2) | instskip(SKIP_1) | instid1(VALU_DEP_2)
	v_rndne_f32_e32 v5, v2
	v_fma_f32 v4, 0x3fb8aa3b, v49, -v2
	v_sub_f32_e32 v2, v2, v5
	s_delay_alu instid0(VALU_DEP_2) | instskip(SKIP_1) | instid1(VALU_DEP_2)
	v_fmamk_f32 v4, v49, 0x32a5705f, v4
	v_cvt_i32_f32_e32 v9, v5
	v_add_f32_e32 v2, v2, v4
	v_ashrrev_i32_e32 v4, 31, v3
	s_delay_alu instid0(VALU_DEP_2) | instskip(SKIP_1) | instid1(VALU_DEP_2)
	v_exp_f32_e32 v51, v2
	v_ashrrev_i32_e32 v2, 31, v1
	v_lshlrev_b64 v[4:5], 2, v[3:4]
	s_delay_alu instid0(VALU_DEP_2) | instskip(SKIP_3) | instid1(TRANS32_DEP_1)
	v_lshlrev_b64 v[47:48], 2, v[1:2]
	v_cndmask_b32_e32 v2, 32, v50, vcc_lo
	v_add_co_u32 v45, vcc_lo, s12, v45
	v_add_co_ci_u32_e32 v46, vcc_lo, s13, v46, vcc_lo
	v_ldexp_f32 v9, v51, v9
	v_cmp_ngt_f32_e32 vcc_lo, 0xc2ce8ed0, v49
	s_delay_alu instid0(VALU_DEP_2)
	v_cndmask_b32_e32 v9, 0, v9, vcc_lo
	s_waitcnt lgkmcnt(0)
	v_add_co_u32 v47, vcc_lo, s8, v47
	v_add_co_ci_u32_e32 v48, vcc_lo, s9, v48, vcc_lo
	v_cmp_nlt_f32_e32 vcc_lo, 0x42b17218, v49
	v_cndmask_b32_e32 v9, 0x7f800000, v9, vcc_lo
	v_add_co_u32 v4, vcc_lo, s10, v4
	v_add_co_ci_u32_e32 v5, vcc_lo, s11, v5, vcc_lo
	global_store_b32 v[47:48], v2, off
	global_store_b32 v[45:46], v9, off
	;; [unrolled: 1-line block ×3, first 2 shown]
.LBB163_9:
	s_or_b32 exec_lo, exec_lo, s1
	v_ashrrev_i32_e32 v4, 31, v0
	s_mov_b32 s0, exec_lo
	s_delay_alu instid0(VALU_DEP_1) | instskip(NEXT) | instid1(VALU_DEP_1)
	v_lshrrev_b32_e32 v2, 28, v4
	v_add_nc_u32_e32 v5, v0, v2
	s_delay_alu instid0(VALU_DEP_1) | instskip(SKIP_1) | instid1(VALU_DEP_1)
	v_ashrrev_i32_e32 v2, 4, v5
	v_lshrrev_b32_e32 v5, 31, v5
	v_add_nc_u32_e32 v5, v2, v5
	s_delay_alu instid0(VALU_DEP_1) | instskip(NEXT) | instid1(VALU_DEP_1)
	v_and_b32_e32 v5, -2, v5
	v_sub_nc_u32_e32 v5, v2, v5
	s_delay_alu instid0(VALU_DEP_1)
	v_cmpx_eq_u32_e64 v11, v5
	s_cbranch_execz .LBB163_11
; %bb.10:
	v_lshrrev_b32_e32 v4, 27, v4
	v_lshlrev_b32_e32 v2, 4, v2
	s_delay_alu instid0(VALU_DEP_2) | instskip(NEXT) | instid1(VALU_DEP_2)
	v_add_nc_u32_e32 v4, v0, v4
	v_sub_nc_u32_e32 v0, v0, v2
	s_delay_alu instid0(VALU_DEP_2) | instskip(NEXT) | instid1(VALU_DEP_1)
	v_ashrrev_i32_e32 v2, 5, v4
	v_lshl_add_u32 v0, v2, 4, v0
	s_delay_alu instid0(VALU_DEP_1)
	v_cmp_ne_u32_e32 vcc_lo, 15, v0
	v_cndmask_b32_e32 v6, 0xff800000, v6, vcc_lo
	v_cmp_ne_u32_e32 vcc_lo, 14, v0
	v_cndmask_b32_e32 v7, 0xff800000, v7, vcc_lo
	;; [unrolled: 2-line block ×16, first 2 shown]
.LBB163_11:
	s_or_b32 exec_lo, exec_lo, s0
	s_cmp_eq_u32 s4, 1
	s_cbranch_scc1 .LBB163_19
; %bb.12:
	s_add_i32 s18, s18, s16
	v_add_nc_u32_e32 v0, 1, v3
	v_add3_u32 v31, s18, v32, v31
	v_add_nc_u32_e32 v2, 1, v1
	v_add_nc_u32_e32 v4, 1, v8
	s_add_i32 s3, s4, -1
	s_branch .LBB163_14
.LBB163_13:                             ;   in Loop: Header=BB163_14 Depth=1
	s_or_b32 exec_lo, exec_lo, s0
	v_add_nc_u32_e32 v31, s16, v31
	v_add_nc_u32_e32 v0, 1, v0
	;; [unrolled: 1-line block ×4, first 2 shown]
	s_add_i32 s3, s3, -1
	s_delay_alu instid0(SALU_CYCLE_1)
	s_cmp_eq_u32 s3, 0
	s_cbranch_scc1 .LBB163_19
.LBB163_14:                             ; =>This Inner Loop Header: Depth=1
	v_cmp_gt_f32_e32 vcc_lo, v26, v23
	v_cndmask_b32_e32 v3, v23, v26, vcc_lo
	v_cndmask_b32_e32 v1, v20, v27, vcc_lo
	s_delay_alu instid0(VALU_DEP_2) | instskip(SKIP_1) | instid1(VALU_DEP_3)
	v_cmp_gt_f32_e32 vcc_lo, v25, v3
	v_cndmask_b32_e32 v3, v3, v25, vcc_lo
	v_cndmask_b32_e32 v1, v1, v28, vcc_lo
	s_delay_alu instid0(VALU_DEP_2) | instskip(SKIP_1) | instid1(VALU_DEP_3)
	;; [unrolled: 4-line block ×13, first 2 shown]
	v_cmp_gt_f32_e32 vcc_lo, v7, v3
	v_cndmask_b32_e32 v3, v3, v7, vcc_lo
	v_cndmask_b32_e32 v1, v1, v42, vcc_lo
	s_delay_alu instid0(VALU_DEP_2) | instskip(NEXT) | instid1(VALU_DEP_2)
	v_cmp_gt_f32_e32 vcc_lo, v6, v3
	v_cndmask_b32_e32 v5, v1, v43, vcc_lo
	v_cndmask_b32_e32 v1, v3, v6, vcc_lo
	s_delay_alu instid0(VALU_DEP_2) | instskip(NEXT) | instid1(VALU_DEP_2)
	v_mov_b32_dpp v32, v5 quad_perm:[1,0,3,2] row_mask:0xf bank_mask:0xf
	v_mov_b32_dpp v3, v1 quad_perm:[1,0,3,2] row_mask:0xf bank_mask:0xf
	s_delay_alu instid0(VALU_DEP_2) | instskip(NEXT) | instid1(VALU_DEP_2)
	v_cmp_lt_i32_e32 vcc_lo, v32, v5
	v_cmp_eq_f32_e64 s0, v1, v3
	v_cmp_lt_f32_e64 s1, v1, v3
	s_delay_alu instid0(VALU_DEP_2)
	s_and_b32 s0, s0, vcc_lo
	s_delay_alu instid0(VALU_DEP_1) | instid1(SALU_CYCLE_1)
	s_or_b32 vcc_lo, s1, s0
	v_cndmask_b32_e32 v32, v5, v32, vcc_lo
	s_and_saveexec_b32 s1, s2
	s_cbranch_execz .LBB163_16
; %bb.15:                               ;   in Loop: Header=BB163_14 Depth=1
	v_cndmask_b32_e32 v1, v1, v3, vcc_lo
	s_delay_alu instid0(VALU_DEP_2) | instskip(SKIP_3) | instid1(VALU_DEP_3)
	v_cmp_le_i32_e32 vcc_lo, s5, v32
	v_cmp_gt_i32_e64 s0, s6, v32
	v_subrev_nc_u32_e32 v51, s5, v32
	v_ashrrev_i32_e32 v5, 31, v4
	s_and_b32 s0, vcc_lo, s0
	s_delay_alu instid0(SALU_CYCLE_1) | instskip(SKIP_1) | instid1(VALU_DEP_1)
	s_and_b32 vcc_lo, s17, s0
	v_sub_f32_e32 v50, v1, v10
	v_mul_f32_e32 v1, 0x3fb8aa3b, v50
	s_delay_alu instid0(VALU_DEP_1) | instskip(SKIP_1) | instid1(VALU_DEP_2)
	v_fma_f32 v3, 0x3fb8aa3b, v50, -v1
	v_rndne_f32_e32 v44, v1
	v_fmac_f32_e32 v3, 0x32a5705f, v50
	s_delay_alu instid0(VALU_DEP_2) | instskip(SKIP_2) | instid1(VALU_DEP_3)
	v_sub_f32_e32 v1, v1, v44
	v_cvt_i32_f32_e32 v49, v44
	v_lshlrev_b64 v[44:45], 2, v[4:5]
	v_add_f32_e32 v1, v1, v3
	v_ashrrev_i32_e32 v3, 31, v2
	s_delay_alu instid0(VALU_DEP_2) | instskip(SKIP_1) | instid1(VALU_DEP_2)
	v_exp_f32_e32 v48, v1
	v_ashrrev_i32_e32 v1, 31, v0
	v_lshlrev_b64 v[46:47], 2, v[2:3]
	s_waitcnt_depctr 0xfff
	v_ldexp_f32 v3, v48, v49
	v_lshlrev_b64 v[48:49], 2, v[0:1]
	v_cndmask_b32_e32 v1, 32, v51, vcc_lo
	v_cmp_ngt_f32_e32 vcc_lo, 0xc2ce8ed0, v50
	s_delay_alu instid0(VALU_DEP_4) | instskip(SKIP_3) | instid1(VALU_DEP_4)
	v_cndmask_b32_e32 v3, 0, v3, vcc_lo
	v_add_co_u32 v44, vcc_lo, s12, v44
	v_add_co_ci_u32_e32 v45, vcc_lo, s13, v45, vcc_lo
	v_cmp_nlt_f32_e32 vcc_lo, 0x42b17218, v50
	v_cndmask_b32_e32 v3, 0x7f800000, v3, vcc_lo
	s_waitcnt lgkmcnt(0)
	v_add_co_u32 v46, vcc_lo, s8, v46
	v_add_co_ci_u32_e32 v47, vcc_lo, s9, v47, vcc_lo
	v_add_co_u32 v48, vcc_lo, s10, v48
	v_add_f32_e32 v9, v9, v3
	v_add_co_ci_u32_e32 v49, vcc_lo, s11, v49, vcc_lo
	global_store_b32 v[44:45], v3, off
	global_store_b32 v[46:47], v1, off
	;; [unrolled: 1-line block ×3, first 2 shown]
.LBB163_16:                             ;   in Loop: Header=BB163_14 Depth=1
	s_or_b32 exec_lo, exec_lo, s1
	s_delay_alu instid0(VALU_DEP_1) | instskip(SKIP_1) | instid1(VALU_DEP_1)
	v_ashrrev_i32_e32 v3, 31, v32
	s_mov_b32 s0, exec_lo
	v_lshrrev_b32_e32 v1, 28, v3
	s_delay_alu instid0(VALU_DEP_1) | instskip(NEXT) | instid1(VALU_DEP_1)
	v_add_nc_u32_e32 v5, v32, v1
	v_ashrrev_i32_e32 v1, 4, v5
	v_lshrrev_b32_e32 v5, 31, v5
	s_delay_alu instid0(VALU_DEP_1) | instskip(NEXT) | instid1(VALU_DEP_1)
	v_add_nc_u32_e32 v5, v1, v5
	v_and_b32_e32 v5, -2, v5
	s_delay_alu instid0(VALU_DEP_1) | instskip(NEXT) | instid1(VALU_DEP_1)
	v_sub_nc_u32_e32 v5, v1, v5
	v_cmpx_eq_u32_e64 v11, v5
	s_cbranch_execz .LBB163_13
; %bb.17:                               ;   in Loop: Header=BB163_14 Depth=1
	v_lshrrev_b32_e32 v3, 27, v3
	v_lshlrev_b32_e32 v1, 4, v1
	s_delay_alu instid0(VALU_DEP_2) | instskip(NEXT) | instid1(VALU_DEP_2)
	v_add_nc_u32_e32 v3, v32, v3
	v_sub_nc_u32_e32 v1, v32, v1
	s_delay_alu instid0(VALU_DEP_2) | instskip(NEXT) | instid1(VALU_DEP_1)
	v_ashrrev_i32_e32 v3, 5, v3
	v_lshl_add_u32 v1, v3, 4, v1
	s_delay_alu instid0(VALU_DEP_1)
	v_cmp_ne_u32_e32 vcc_lo, 15, v1
	v_cndmask_b32_e32 v6, 0xff800000, v6, vcc_lo
	v_cmp_ne_u32_e32 vcc_lo, 14, v1
	v_cndmask_b32_e32 v7, 0xff800000, v7, vcc_lo
	;; [unrolled: 2-line block ×16, first 2 shown]
	s_branch .LBB163_13
.LBB163_18:
	v_mov_b32_e32 v9, 0
.LBB163_19:
	v_sub_f32_e32 v5, v24, v10
	v_sub_f32_e32 v0, v23, v10
	;; [unrolled: 1-line block ×5, first 2 shown]
	v_mul_f32_e32 v27, 0x3fb8aa3b, v5
	v_dual_sub_f32 v1, v26, v10 :: v_dual_mul_f32 v2, 0x3fb8aa3b, v0
	v_sub_f32_e32 v3, v25, v10
	v_cmp_ngt_f32_e32 vcc_lo, 0xc2ce8ed0, v0
	s_delay_alu instid0(VALU_DEP_4) | instskip(NEXT) | instid1(VALU_DEP_4)
	v_rndne_f32_e32 v30, v27
	v_mul_f32_e32 v4, 0x3fb8aa3b, v1
	v_rndne_f32_e32 v23, v2
	v_mul_f32_e32 v26, 0x3fb8aa3b, v3
	v_fma_f32 v29, 0x3fb8aa3b, v5, -v27
	v_sub_f32_e32 v20, v22, v10
	v_fma_f32 v22, 0x3fb8aa3b, v0, -v2
	v_fma_f32 v24, 0x3fb8aa3b, v1, -v4
	v_rndne_f32_e32 v25, v4
	v_dual_fmac_f32 v29, 0x32a5705f, v5 :: v_dual_sub_f32 v2, v2, v23
	s_delay_alu instid0(VALU_DEP_4) | instskip(NEXT) | instid1(VALU_DEP_4)
	v_fmac_f32_e32 v22, 0x32a5705f, v0
	v_fmac_f32_e32 v24, 0x32a5705f, v1
	s_delay_alu instid0(VALU_DEP_4) | instskip(SKIP_1) | instid1(VALU_DEP_4)
	v_dual_sub_f32 v4, v4, v25 :: v_dual_sub_f32 v21, v21, v10
	v_cvt_i32_f32_e32 v23, v23
	v_add_f32_e32 v2, v2, v22
	v_fma_f32 v22, 0x3fb8aa3b, v3, -v26
	s_delay_alu instid0(VALU_DEP_4)
	v_add_f32_e32 v4, v4, v24
	v_rndne_f32_e32 v24, v26
	v_cvt_i32_f32_e32 v25, v25
	v_exp_f32_e32 v2, v2
	v_dual_fmac_f32 v22, 0x32a5705f, v3 :: v_dual_sub_f32 v19, v19, v10
	v_exp_f32_e32 v4, v4
	v_sub_f32_e32 v26, v26, v24
	v_cvt_i32_f32_e32 v24, v24
	v_sub_f32_e32 v15, v15, v10
	v_sub_f32_e32 v14, v14, v10
	s_delay_alu instid0(VALU_DEP_4) | instskip(NEXT) | instid1(TRANS32_DEP_2)
	v_add_f32_e32 v22, v26, v22
	v_ldexp_f32 v2, v2, v23
	v_sub_f32_e32 v23, v27, v30
	s_delay_alu instid0(TRANS32_DEP_1) | instskip(NEXT) | instid1(VALU_DEP_4)
	v_ldexp_f32 v4, v4, v25
	v_exp_f32_e32 v22, v22
	s_delay_alu instid0(VALU_DEP_3) | instskip(SKIP_1) | instid1(VALU_DEP_3)
	v_cndmask_b32_e32 v2, 0, v2, vcc_lo
	v_cmp_ngt_f32_e32 vcc_lo, 0xc2ce8ed0, v1
	v_dual_add_f32 v23, v23, v29 :: v_dual_cndmask_b32 v4, 0, v4
	v_cmp_nlt_f32_e32 vcc_lo, 0x42b17218, v0
	s_delay_alu instid0(VALU_DEP_2) | instskip(SKIP_3) | instid1(TRANS32_DEP_2)
	v_exp_f32_e32 v23, v23
	v_cndmask_b32_e32 v0, 0x7f800000, v2, vcc_lo
	v_cmp_nlt_f32_e32 vcc_lo, 0x42b17218, v1
	v_cndmask_b32_e32 v1, 0x7f800000, v4, vcc_lo
	v_ldexp_f32 v4, v22, v24
	v_cmp_ngt_f32_e32 vcc_lo, 0xc2ce8ed0, v3
	s_delay_alu instid0(VALU_DEP_2)
	v_dual_add_f32 v0, v0, v1 :: v_dual_cndmask_b32 v1, 0, v4
	v_cvt_i32_f32_e32 v4, v30
	v_cmp_nlt_f32_e32 vcc_lo, 0x42b17218, v3
	s_delay_alu instid0(TRANS32_DEP_1) | instid1(VALU_DEP_2)
	v_ldexp_f32 v3, v23, v4
	s_delay_alu instid0(VALU_DEP_4) | instskip(SKIP_3) | instid1(VALU_DEP_4)
	v_cndmask_b32_e32 v1, 0x7f800000, v1, vcc_lo
	v_cmp_ngt_f32_e32 vcc_lo, 0xc2ce8ed0, v5
	v_mul_f32_e32 v28, 0x3fb8aa3b, v20
	v_mul_f32_e32 v4, 0x3fb8aa3b, v21
	v_dual_add_f32 v0, v0, v1 :: v_dual_cndmask_b32 v1, 0, v3
	s_delay_alu instid0(VALU_DEP_3) | instskip(SKIP_1) | instid1(VALU_DEP_4)
	v_fma_f32 v2, 0x3fb8aa3b, v20, -v28
	v_rndne_f32_e32 v22, v28
	v_fma_f32 v3, 0x3fb8aa3b, v21, -v4
	v_rndne_f32_e32 v23, v4
	v_cmp_nlt_f32_e32 vcc_lo, 0x42b17218, v5
	v_fmac_f32_e32 v2, 0x32a5705f, v20
	v_sub_f32_e32 v24, v28, v22
	v_cvt_i32_f32_e32 v5, v22
	v_fmac_f32_e32 v3, 0x32a5705f, v21
	v_dual_cndmask_b32 v1, 0x7f800000, v1 :: v_dual_sub_f32 v4, v4, v23
	s_delay_alu instid0(VALU_DEP_4) | instskip(SKIP_1) | instid1(VALU_DEP_3)
	v_add_f32_e32 v2, v24, v2
	v_cmp_ngt_f32_e32 vcc_lo, 0xc2ce8ed0, v20
	v_add_f32_e32 v0, v0, v1
	s_delay_alu instid0(VALU_DEP_3) | instskip(SKIP_2) | instid1(VALU_DEP_1)
	v_exp_f32_e32 v2, v2
	s_waitcnt_depctr 0xfff
	v_ldexp_f32 v1, v2, v5
	v_dual_add_f32 v2, v4, v3 :: v_dual_cndmask_b32 v1, 0, v1
	s_delay_alu instid0(VALU_DEP_1) | instskip(SKIP_2) | instid1(VALU_DEP_3)
	v_exp_f32_e32 v2, v2
	v_cmp_nlt_f32_e32 vcc_lo, 0x42b17218, v20
	v_cvt_i32_f32_e32 v20, v23
	v_cndmask_b32_e32 v1, 0x7f800000, v1, vcc_lo
	v_cmp_ngt_f32_e32 vcc_lo, 0xc2ce8ed0, v21
	s_delay_alu instid0(VALU_DEP_2) | instskip(SKIP_2) | instid1(VALU_DEP_1)
	v_add_f32_e32 v0, v0, v1
	s_waitcnt_depctr 0xfff
	v_ldexp_f32 v1, v2, v20
	v_cndmask_b32_e32 v1, 0, v1, vcc_lo
	v_cmp_nlt_f32_e32 vcc_lo, 0x42b17218, v21
	v_mul_f32_e32 v21, 0x3fb8aa3b, v14
	s_delay_alu instid0(VALU_DEP_3) | instskip(SKIP_2) | instid1(VALU_DEP_3)
	v_cndmask_b32_e32 v1, 0x7f800000, v1, vcc_lo
	v_cmp_ngt_f32_e32 vcc_lo, 0xc2ce8ed0, v19
	v_mul_f32_e32 v22, 0x3fb8aa3b, v19
	v_add_f32_e32 v0, v0, v1
	s_delay_alu instid0(VALU_DEP_2) | instskip(SKIP_1) | instid1(VALU_DEP_2)
	v_fma_f32 v3, 0x3fb8aa3b, v19, -v22
	v_rndne_f32_e32 v4, v22
	v_fmac_f32_e32 v3, 0x32a5705f, v19
	s_delay_alu instid0(VALU_DEP_2) | instskip(SKIP_1) | instid1(VALU_DEP_2)
	v_sub_f32_e32 v5, v22, v4
	v_cvt_i32_f32_e32 v4, v4
	v_add_f32_e32 v3, v5, v3
	s_delay_alu instid0(VALU_DEP_1) | instskip(SKIP_2) | instid1(VALU_DEP_1)
	v_exp_f32_e32 v2, v3
	s_waitcnt_depctr 0xfff
	v_ldexp_f32 v2, v2, v4
	v_cndmask_b32_e32 v1, 0, v2, vcc_lo
	v_cmp_nlt_f32_e32 vcc_lo, 0x42b17218, v19
	s_delay_alu instid0(VALU_DEP_2) | instskip(SKIP_2) | instid1(VALU_DEP_3)
	v_cndmask_b32_e32 v1, 0x7f800000, v1, vcc_lo
	v_mul_f32_e32 v5, 0x3fb8aa3b, v18
	v_cmp_ngt_f32_e32 vcc_lo, 0xc2ce8ed0, v18
	v_add_f32_e32 v0, v0, v1
	s_delay_alu instid0(VALU_DEP_3) | instskip(SKIP_1) | instid1(VALU_DEP_2)
	v_fma_f32 v3, 0x3fb8aa3b, v18, -v5
	v_rndne_f32_e32 v20, v5
	v_fmac_f32_e32 v3, 0x32a5705f, v18
	s_delay_alu instid0(VALU_DEP_2) | instskip(NEXT) | instid1(VALU_DEP_1)
	v_sub_f32_e32 v5, v5, v20
	v_add_f32_e32 v3, v5, v3
	v_sub_f32_e32 v5, v16, v10
	v_cvt_i32_f32_e32 v16, v20
	s_delay_alu instid0(VALU_DEP_3) | instskip(SKIP_2) | instid1(VALU_DEP_1)
	v_exp_f32_e32 v2, v3
	s_waitcnt_depctr 0xfff
	v_ldexp_f32 v1, v2, v16
	v_dual_sub_f32 v4, v17, v10 :: v_dual_cndmask_b32 v1, 0, v1
	s_delay_alu instid0(VALU_DEP_1) | instskip(SKIP_1) | instid1(VALU_DEP_2)
	v_mul_f32_e32 v3, 0x3fb8aa3b, v4
	v_cmp_nlt_f32_e32 vcc_lo, 0x42b17218, v18
	v_rndne_f32_e32 v19, v3
	v_fma_f32 v17, 0x3fb8aa3b, v4, -v3
	s_delay_alu instid0(VALU_DEP_2) | instskip(SKIP_1) | instid1(VALU_DEP_3)
	v_sub_f32_e32 v2, v3, v19
	v_mul_f32_e32 v20, 0x3fb8aa3b, v5
	v_fmac_f32_e32 v17, 0x32a5705f, v4
	v_cvt_i32_f32_e32 v19, v19
	s_delay_alu instid0(VALU_DEP_3) | instskip(SKIP_1) | instid1(VALU_DEP_4)
	v_fma_f32 v3, 0x3fb8aa3b, v5, -v20
	v_rndne_f32_e32 v16, v20
	v_add_f32_e32 v2, v2, v17
	s_delay_alu instid0(VALU_DEP_3) | instskip(NEXT) | instid1(VALU_DEP_3)
	v_fmac_f32_e32 v3, 0x32a5705f, v5
	v_dual_sub_f32 v17, v20, v16 :: v_dual_mul_f32 v20, 0x3fb8aa3b, v15
	s_delay_alu instid0(VALU_DEP_3) | instskip(NEXT) | instid1(VALU_DEP_1)
	v_exp_f32_e32 v2, v2
	v_add_f32_e32 v3, v17, v3
	s_delay_alu instid0(VALU_DEP_2) | instskip(SKIP_4) | instid1(VALU_DEP_3)
	v_fma_f32 v17, 0x3fb8aa3b, v15, -v20
	v_rndne_f32_e32 v18, v20
	v_cndmask_b32_e32 v1, 0x7f800000, v1, vcc_lo
	v_cmp_ngt_f32_e32 vcc_lo, 0xc2ce8ed0, v4
	v_exp_f32_e32 v3, v3
	v_dual_fmac_f32 v17, 0x32a5705f, v15 :: v_dual_sub_f32 v20, v20, v18
	s_delay_alu instid0(VALU_DEP_3) | instskip(NEXT) | instid1(TRANS32_DEP_2)
	v_add_f32_e32 v0, v0, v1
	v_ldexp_f32 v1, v2, v19
	v_cvt_i32_f32_e32 v2, v16
	v_rndne_f32_e32 v19, v21
	v_add_f32_e32 v16, v20, v17
	v_fma_f32 v17, 0x3fb8aa3b, v14, -v21
	v_cndmask_b32_e32 v1, 0, v1, vcc_lo
	s_delay_alu instid0(TRANS32_DEP_1)
	v_ldexp_f32 v2, v3, v2
	v_cmp_nlt_f32_e32 vcc_lo, 0x42b17218, v4
	v_exp_f32_e32 v3, v16
	v_sub_f32_e32 v16, v21, v19
	v_cvt_i32_f32_e32 v4, v18
	v_fmac_f32_e32 v17, 0x32a5705f, v14
	v_cndmask_b32_e32 v1, 0x7f800000, v1, vcc_lo
	v_cmp_ngt_f32_e32 vcc_lo, 0xc2ce8ed0, v5
	s_delay_alu instid0(VALU_DEP_2) | instskip(NEXT) | instid1(TRANS32_DEP_1)
	v_add_f32_e32 v0, v0, v1
	v_ldexp_f32 v1, v3, v4
	v_cndmask_b32_e32 v2, 0, v2, vcc_lo
	v_cmp_nlt_f32_e32 vcc_lo, 0x42b17218, v5
	v_dual_sub_f32 v4, v13, v10 :: v_dual_mul_f32 v13, 0x3fb8aa3b, v12
	s_delay_alu instid0(VALU_DEP_3) | instskip(SKIP_1) | instid1(VALU_DEP_3)
	v_cndmask_b32_e32 v2, 0x7f800000, v2, vcc_lo
	v_cmp_ngt_f32_e32 vcc_lo, 0xc2ce8ed0, v15
	v_mul_f32_e32 v5, 0x3fb8aa3b, v4
	v_cndmask_b32_e32 v1, 0, v1, vcc_lo
	v_cmp_nlt_f32_e32 vcc_lo, 0x42b17218, v15
	v_add_f32_e32 v0, v0, v2
	v_cvt_i32_f32_e32 v2, v19
	s_delay_alu instid0(VALU_DEP_4) | instskip(SKIP_1) | instid1(VALU_DEP_2)
	v_cndmask_b32_e32 v1, 0x7f800000, v1, vcc_lo
	v_cmp_ngt_f32_e32 vcc_lo, 0xc2ce8ed0, v14
	v_add_f32_e32 v0, v0, v1
	v_fma_f32 v1, 0x3fb8aa3b, v4, -v5
	s_delay_alu instid0(VALU_DEP_1) | instskip(NEXT) | instid1(VALU_DEP_1)
	v_dual_add_f32 v16, v16, v17 :: v_dual_fmac_f32 v1, 0x32a5705f, v4
	v_exp_f32_e32 v3, v16
	s_waitcnt_depctr 0xfff
	v_ldexp_f32 v2, v3, v2
	v_rndne_f32_e32 v3, v5
	s_delay_alu instid0(VALU_DEP_1) | instskip(SKIP_2) | instid1(VALU_DEP_3)
	v_dual_cndmask_b32 v2, 0, v2 :: v_dual_sub_f32 v5, v5, v3
	v_cmp_nlt_f32_e32 vcc_lo, 0x42b17218, v14
	v_cvt_i32_f32_e32 v3, v3
	v_dual_add_f32 v1, v5, v1 :: v_dual_cndmask_b32 v2, 0x7f800000, v2
	v_rndne_f32_e32 v5, v13
	v_cmp_ngt_f32_e32 vcc_lo, 0xc2ce8ed0, v4
	s_delay_alu instid0(VALU_DEP_3) | instskip(SKIP_4) | instid1(VALU_DEP_3)
	v_exp_f32_e32 v1, v1
	s_waitcnt_depctr 0xfff
	v_ldexp_f32 v1, v1, v3
	v_add_f32_e32 v0, v0, v2
	v_fma_f32 v2, 0x3fb8aa3b, v12, -v13
	v_cndmask_b32_e32 v1, 0, v1, vcc_lo
	v_cmp_nlt_f32_e32 vcc_lo, 0x42b17218, v4
	v_sub_f32_e32 v6, v6, v10
	s_delay_alu instid0(VALU_DEP_4)
	v_fmac_f32_e32 v2, 0x32a5705f, v12
	v_mul_f32_e32 v14, 0x3fb8aa3b, v7
	v_sub_f32_e32 v10, v13, v5
	v_cndmask_b32_e32 v1, 0x7f800000, v1, vcc_lo
	v_mul_f32_e32 v16, 0x3fb8aa3b, v6
	v_cvt_i32_f32_e32 v5, v5
	v_fma_f32 v13, 0x3fb8aa3b, v7, -v14
	v_rndne_f32_e32 v15, v14
	v_add_f32_e32 v2, v10, v2
	v_rndne_f32_e32 v17, v16
	s_delay_alu instid0(VALU_DEP_4) | instskip(NEXT) | instid1(VALU_DEP_4)
	v_dual_add_f32 v0, v0, v1 :: v_dual_fmac_f32 v13, 0x32a5705f, v7
	v_sub_f32_e32 v10, v14, v15
	s_delay_alu instid0(VALU_DEP_4) | instskip(SKIP_2) | instid1(VALU_DEP_3)
	v_exp_f32_e32 v2, v2
	v_fma_f32 v14, 0x3fb8aa3b, v6, -v16
	v_cvt_i32_f32_e32 v4, v15
	v_add_f32_e32 v3, v10, v13
	v_sub_f32_e32 v10, v16, v17
	s_delay_alu instid0(VALU_DEP_4) | instskip(SKIP_1) | instid1(VALU_DEP_4)
	v_fmac_f32_e32 v14, 0x32a5705f, v6
	v_cmp_ngt_f32_e32 vcc_lo, 0xc2ce8ed0, v12
	v_exp_f32_e32 v3, v3
	s_delay_alu instid0(TRANS32_DEP_2) | instskip(NEXT) | instid1(VALU_DEP_3)
	v_ldexp_f32 v2, v2, v5
	v_add_f32_e32 v10, v10, v14
	s_delay_alu instid0(VALU_DEP_2) | instskip(SKIP_1) | instid1(VALU_DEP_3)
	v_cndmask_b32_e32 v2, 0, v2, vcc_lo
	v_cmp_nlt_f32_e32 vcc_lo, 0x42b17218, v12
	v_exp_f32_e32 v5, v10
	s_waitcnt_depctr 0xfff
	v_ldexp_f32 v1, v3, v4
	v_cvt_i32_f32_e32 v3, v17
	v_cndmask_b32_e32 v2, 0x7f800000, v2, vcc_lo
	v_cmp_ngt_f32_e32 vcc_lo, 0xc2ce8ed0, v7
	s_delay_alu instid0(VALU_DEP_2) | instskip(SKIP_2) | instid1(VALU_DEP_3)
	v_dual_add_f32 v0, v0, v2 :: v_dual_cndmask_b32 v1, 0, v1
	v_cmp_nlt_f32_e32 vcc_lo, 0x42b17218, v7
	v_ldexp_f32 v3, v5, v3
	v_cndmask_b32_e32 v1, 0x7f800000, v1, vcc_lo
	v_cmp_ngt_f32_e32 vcc_lo, 0xc2ce8ed0, v6
	s_delay_alu instid0(VALU_DEP_2) | instskip(NEXT) | instid1(VALU_DEP_4)
	v_add_f32_e32 v0, v0, v1
	v_cndmask_b32_e32 v2, 0, v3, vcc_lo
	v_cmp_nlt_f32_e32 vcc_lo, 0x42b17218, v6
	s_delay_alu instid0(VALU_DEP_2) | instskip(SKIP_1) | instid1(VALU_DEP_2)
	v_cndmask_b32_e32 v1, 0x7f800000, v2, vcc_lo
	v_cmp_eq_u32_e32 vcc_lo, 0, v11
	v_add_f32_e32 v0, v0, v1
	s_delay_alu instid0(VALU_DEP_1)
	v_mov_b32_dpp v1, v0 quad_perm:[1,0,3,2] row_mask:0xf bank_mask:0xf
	s_and_b32 exec_lo, exec_lo, vcc_lo
	s_cbranch_execz .LBB163_24
; %bb.20:
	s_delay_alu instid0(VALU_DEP_1) | instskip(NEXT) | instid1(VALU_DEP_1)
	v_add_f32_e32 v0, v0, v1
	v_add_f32_e32 v0, v9, v0
	s_delay_alu instid0(VALU_DEP_1)
	v_cmp_neq_f32_e32 vcc_lo, 0, v0
	s_and_b32 exec_lo, exec_lo, vcc_lo
	s_cbranch_execz .LBB163_24
; %bb.21:
	s_and_not1_b32 vcc_lo, exec_lo, s7
	s_cbranch_vccnz .LBB163_24
; %bb.22:
	v_div_scale_f32 v1, null, v0, v0, 1.0
	v_div_scale_f32 v4, vcc_lo, 1.0, v0, 1.0
	v_ashrrev_i32_e32 v9, 31, v8
	s_delay_alu instid0(VALU_DEP_3) | instskip(SKIP_2) | instid1(VALU_DEP_1)
	v_rcp_f32_e32 v2, v1
	s_waitcnt_depctr 0xfff
	v_fma_f32 v3, -v1, v2, 1.0
	v_fmac_f32_e32 v2, v3, v2
	s_delay_alu instid0(VALU_DEP_1) | instskip(NEXT) | instid1(VALU_DEP_1)
	v_mul_f32_e32 v3, v4, v2
	v_fma_f32 v5, -v1, v3, v4
	s_delay_alu instid0(VALU_DEP_1) | instskip(NEXT) | instid1(VALU_DEP_1)
	v_fmac_f32_e32 v3, v5, v2
	v_fma_f32 v1, -v1, v3, v4
	s_delay_alu instid0(VALU_DEP_1) | instskip(SKIP_1) | instid1(VALU_DEP_2)
	v_div_fmas_f32 v1, v1, v2, v3
	v_lshlrev_b64 v[3:4], 2, v[8:9]
	v_div_fixup_f32 v2, v1, v0, 1.0
	s_delay_alu instid0(VALU_DEP_2) | instskip(NEXT) | instid1(VALU_DEP_3)
	v_add_co_u32 v0, vcc_lo, s12, v3
	v_add_co_ci_u32_e32 v1, vcc_lo, s13, v4, vcc_lo
.LBB163_23:                             ; =>This Inner Loop Header: Depth=1
	global_load_b32 v3, v[0:1], off
	s_add_i32 s4, s4, -1
	s_delay_alu instid0(SALU_CYCLE_1)
	s_cmp_lg_u32 s4, 0
	s_waitcnt vmcnt(0)
	v_mul_f32_e32 v3, v2, v3
	global_store_b32 v[0:1], v3, off
	v_add_co_u32 v0, vcc_lo, v0, 4
	v_add_co_ci_u32_e32 v1, vcc_lo, 0, v1, vcc_lo
	s_cbranch_scc1 .LBB163_23
.LBB163_24:
	s_nop 0
	s_sendmsg sendmsg(MSG_DEALLOC_VGPRS)
	s_endpgm
	.section	.rodata,"a",@progbits
	.p2align	6, 0x0
	.amdhsa_kernel _ZN4vllm3moe17topkGatingSoftmaxIDF16_Li16ELi32ELi8ELi32ELb0ELi4ELNS0_23SharedExpertScoringFuncE1EEEvPKT_PKbPfiPiS9_iiiiii
		.amdhsa_group_segment_fixed_size 0
		.amdhsa_private_segment_fixed_size 0
		.amdhsa_kernarg_size 72
		.amdhsa_user_sgpr_count 15
		.amdhsa_user_sgpr_dispatch_ptr 0
		.amdhsa_user_sgpr_queue_ptr 0
		.amdhsa_user_sgpr_kernarg_segment_ptr 1
		.amdhsa_user_sgpr_dispatch_id 0
		.amdhsa_user_sgpr_private_segment_size 0
		.amdhsa_wavefront_size32 1
		.amdhsa_uses_dynamic_stack 0
		.amdhsa_enable_private_segment 0
		.amdhsa_system_sgpr_workgroup_id_x 1
		.amdhsa_system_sgpr_workgroup_id_y 0
		.amdhsa_system_sgpr_workgroup_id_z 0
		.amdhsa_system_sgpr_workgroup_info 0
		.amdhsa_system_vgpr_workitem_id 1
		.amdhsa_next_free_vgpr 52
		.amdhsa_next_free_sgpr 19
		.amdhsa_reserve_vcc 1
		.amdhsa_float_round_mode_32 0
		.amdhsa_float_round_mode_16_64 0
		.amdhsa_float_denorm_mode_32 3
		.amdhsa_float_denorm_mode_16_64 3
		.amdhsa_dx10_clamp 1
		.amdhsa_ieee_mode 1
		.amdhsa_fp16_overflow 0
		.amdhsa_workgroup_processor_mode 1
		.amdhsa_memory_ordered 1
		.amdhsa_forward_progress 0
		.amdhsa_shared_vgpr_count 0
		.amdhsa_exception_fp_ieee_invalid_op 0
		.amdhsa_exception_fp_denorm_src 0
		.amdhsa_exception_fp_ieee_div_zero 0
		.amdhsa_exception_fp_ieee_overflow 0
		.amdhsa_exception_fp_ieee_underflow 0
		.amdhsa_exception_fp_ieee_inexact 0
		.amdhsa_exception_int_div_zero 0
	.end_amdhsa_kernel
	.section	.text._ZN4vllm3moe17topkGatingSoftmaxIDF16_Li16ELi32ELi8ELi32ELb0ELi4ELNS0_23SharedExpertScoringFuncE1EEEvPKT_PKbPfiPiS9_iiiiii,"axG",@progbits,_ZN4vllm3moe17topkGatingSoftmaxIDF16_Li16ELi32ELi8ELi32ELb0ELi4ELNS0_23SharedExpertScoringFuncE1EEEvPKT_PKbPfiPiS9_iiiiii,comdat
.Lfunc_end163:
	.size	_ZN4vllm3moe17topkGatingSoftmaxIDF16_Li16ELi32ELi8ELi32ELb0ELi4ELNS0_23SharedExpertScoringFuncE1EEEvPKT_PKbPfiPiS9_iiiiii, .Lfunc_end163-_ZN4vllm3moe17topkGatingSoftmaxIDF16_Li16ELi32ELi8ELi32ELb0ELi4ELNS0_23SharedExpertScoringFuncE1EEEvPKT_PKbPfiPiS9_iiiiii
                                        ; -- End function
	.section	.AMDGPU.csdata,"",@progbits
; Kernel info:
; codeLenInByte = 4616
; NumSgprs: 21
; NumVgprs: 52
; ScratchSize: 0
; MemoryBound: 0
; FloatMode: 240
; IeeeMode: 1
; LDSByteSize: 0 bytes/workgroup (compile time only)
; SGPRBlocks: 2
; VGPRBlocks: 6
; NumSGPRsForWavesPerEU: 21
; NumVGPRsForWavesPerEU: 52
; Occupancy: 16
; WaveLimiterHint : 0
; COMPUTE_PGM_RSRC2:SCRATCH_EN: 0
; COMPUTE_PGM_RSRC2:USER_SGPR: 15
; COMPUTE_PGM_RSRC2:TRAP_HANDLER: 0
; COMPUTE_PGM_RSRC2:TGID_X_EN: 1
; COMPUTE_PGM_RSRC2:TGID_Y_EN: 0
; COMPUTE_PGM_RSRC2:TGID_Z_EN: 0
; COMPUTE_PGM_RSRC2:TIDIG_COMP_CNT: 1
	.section	.text._ZN4vllm3moe17topkGatingSoftmaxIDF16_Li16ELi32ELi8ELi32ELb1ELi8ELNS0_23SharedExpertScoringFuncE1EEEvPKT_PKbPfiPiS9_iiiiii,"axG",@progbits,_ZN4vllm3moe17topkGatingSoftmaxIDF16_Li16ELi32ELi8ELi32ELb1ELi8ELNS0_23SharedExpertScoringFuncE1EEEvPKT_PKbPfiPiS9_iiiiii,comdat
	.protected	_ZN4vllm3moe17topkGatingSoftmaxIDF16_Li16ELi32ELi8ELi32ELb1ELi8ELNS0_23SharedExpertScoringFuncE1EEEvPKT_PKbPfiPiS9_iiiiii ; -- Begin function _ZN4vllm3moe17topkGatingSoftmaxIDF16_Li16ELi32ELi8ELi32ELb1ELi8ELNS0_23SharedExpertScoringFuncE1EEEvPKT_PKbPfiPiS9_iiiiii
	.globl	_ZN4vllm3moe17topkGatingSoftmaxIDF16_Li16ELi32ELi8ELi32ELb1ELi8ELNS0_23SharedExpertScoringFuncE1EEEvPKT_PKbPfiPiS9_iiiiii
	.p2align	8
	.type	_ZN4vllm3moe17topkGatingSoftmaxIDF16_Li16ELi32ELi8ELi32ELb1ELi8ELNS0_23SharedExpertScoringFuncE1EEEvPKT_PKbPfiPiS9_iiiiii,@function
_ZN4vllm3moe17topkGatingSoftmaxIDF16_Li16ELi32ELi8ELi32ELb1ELi8ELNS0_23SharedExpertScoringFuncE1EEEvPKT_PKbPfiPiS9_iiiiii: ; @_ZN4vllm3moe17topkGatingSoftmaxIDF16_Li16ELi32ELi8ELi32ELb1ELi8ELNS0_23SharedExpertScoringFuncE1EEEvPKT_PKbPfiPiS9_iiiiii
; %bb.0:
	s_load_b32 s3, s[0:1], 0x18
	v_bfe_u32 v1, v0, 10, 10
	v_and_b32_e32 v0, 0x3ff, v0
	s_lshl_b32 s17, s15, 7
	s_mov_b32 s2, exec_lo
	s_delay_alu instid0(VALU_DEP_2) | instskip(NEXT) | instid1(VALU_DEP_2)
	v_lshlrev_b32_e32 v25, 4, v1
	v_lshrrev_b32_e32 v27, 1, v0
	s_delay_alu instid0(VALU_DEP_1) | instskip(SKIP_1) | instid1(VALU_DEP_1)
	v_add3_u32 v45, s17, v25, v27
	s_waitcnt lgkmcnt(0)
	v_cmpx_gt_i32_e64 s3, v45
	s_cbranch_execz .LBB164_23
; %bb.1:
	s_clause 0x1
	s_load_b128 s[8:11], s[0:1], 0x0
	s_load_b64 s[12:13], s[0:1], 0x10
	s_waitcnt lgkmcnt(0)
	s_cmp_eq_u64 s[10:11], 0
	s_cbranch_scc1 .LBB164_3
; %bb.2:
	v_ashrrev_i32_e32 v2, 31, v45
	v_add_co_u32 v1, vcc_lo, s10, v45
	s_delay_alu instid0(VALU_DEP_2) | instskip(SKIP_3) | instid1(VALU_DEP_1)
	v_add_co_ci_u32_e32 v2, vcc_lo, s11, v2, vcc_lo
	global_load_u8 v1, v[1:2], off
	s_waitcnt vmcnt(0)
	v_and_b32_e32 v1, 1, v1
	v_cmp_eq_u32_e32 vcc_lo, 1, v1
	s_xor_b32 s2, vcc_lo, -1
	s_delay_alu instid0(SALU_CYCLE_1)
	s_or_not1_b32 s16, s2, exec_lo
	s_branch .LBB164_4
.LBB164_3:
	s_mov_b32 s16, -1
.LBB164_4:
	s_clause 0x1
	s_load_b64 s[14:15], s[0:1], 0x40
	s_load_b128 s[4:7], s[0:1], 0x30
	v_and_b32_e32 v11, 1, v0
	s_delay_alu instid0(VALU_DEP_1)
	v_lshlrev_b32_e32 v0, 5, v11
	v_lshlrev_b32_e32 v12, 1, v11
	v_mov_b32_e32 v14, v11
	s_waitcnt lgkmcnt(0)
	v_mul_lo_u32 v1, v45, s15
	v_mul_lo_u32 v8, v45, s7
	s_mov_b32 s7, 0
	s_delay_alu instid0(VALU_DEP_2) | instskip(NEXT) | instid1(VALU_DEP_2)
	v_ashrrev_i32_e32 v2, 31, v1
	v_add_nc_u32_e32 v13, s4, v8
	s_delay_alu instid0(VALU_DEP_2) | instskip(NEXT) | instid1(VALU_DEP_1)
	v_lshlrev_b64 v[9:10], 1, v[1:2]
	v_add_co_u32 v1, vcc_lo, s8, v9
	s_delay_alu instid0(VALU_DEP_2) | instskip(NEXT) | instid1(VALU_DEP_2)
	v_add_co_ci_u32_e32 v2, vcc_lo, s9, v10, vcc_lo
	v_add_co_u32 v4, vcc_lo, v1, v0
	s_delay_alu instid0(VALU_DEP_2)
	v_add_co_ci_u32_e32 v5, vcc_lo, 0, v2, vcc_lo
	v_add_co_u32 v9, vcc_lo, v9, v12
	v_add_co_ci_u32_e32 v10, vcc_lo, 0, v10, vcc_lo
	s_clause 0x1
	global_load_b128 v[0:3], v[4:5], off offset:16
	global_load_b128 v[4:7], v[4:5], off
	v_add_co_u32 v9, vcc_lo, v9, s8
	v_add_co_ci_u32_e32 v10, vcc_lo, s9, v10, vcc_lo
	v_lshlrev_b32_e32 v12, 4, v11
	s_delay_alu instid0(VALU_DEP_3) | instskip(NEXT) | instid1(VALU_DEP_3)
	v_add_co_u32 v9, vcc_lo, v9, 64
	v_add_co_ci_u32_e32 v10, vcc_lo, 0, v10, vcc_lo
	s_mov_b32 s8, 0x3fb8aa3b
	s_mov_b32 s9, 0x32a5705f
.LBB164_5:                              ; =>This Inner Loop Header: Depth=1
	global_load_u16 v15, v[9:10], off
	v_add_nc_u32_e32 v22, 2, v14
	v_add_co_u32 v9, s2, v9, 4
	s_delay_alu instid0(VALU_DEP_1) | instskip(SKIP_1) | instid1(VALU_DEP_1)
	v_add_co_ci_u32_e64 v10, s2, 0, v10, s2
	v_cmp_lt_u32_e64 s2, 5, v14
	s_or_b32 s7, s2, s7
	s_waitcnt vmcnt(0)
	v_cvt_f32_f16_e64 v16, -v15
	s_delay_alu instid0(VALU_DEP_1) | instskip(SKIP_1) | instid1(VALU_DEP_2)
	v_mul_f32_e32 v17, 0x3fb8aa3b, v16
	v_cmp_ngt_f32_e32 vcc_lo, 0xc2ce8ed0, v16
	v_rndne_f32_e32 v18, v17
	v_fma_mix_f32 v19, -v15, s8, -v17 op_sel_hi:[1,0,0]
	s_delay_alu instid0(VALU_DEP_2) | instskip(NEXT) | instid1(VALU_DEP_2)
	v_sub_f32_e32 v17, v17, v18
	v_fma_mix_f32 v15, -v15, s9, v19 op_sel_hi:[1,0,0]
	s_delay_alu instid0(VALU_DEP_1) | instskip(SKIP_1) | instid1(VALU_DEP_2)
	v_add_f32_e32 v15, v17, v15
	v_cvt_i32_f32_e32 v17, v18
	v_exp_f32_e32 v15, v15
	s_waitcnt_depctr 0xfff
	v_ldexp_f32 v15, v15, v17
	s_delay_alu instid0(VALU_DEP_1) | instskip(SKIP_1) | instid1(VALU_DEP_2)
	v_cndmask_b32_e32 v15, 0, v15, vcc_lo
	v_cmp_nlt_f32_e32 vcc_lo, 0x42b17218, v16
	v_cndmask_b32_e32 v15, 0x7f800000, v15, vcc_lo
	s_delay_alu instid0(VALU_DEP_1) | instskip(NEXT) | instid1(VALU_DEP_1)
	v_add_f32_e32 v18, 1.0, v15
	v_div_scale_f32 v17, null, v18, v18, 1.0
	v_div_scale_f32 v20, vcc_lo, 1.0, v18, 1.0
	s_delay_alu instid0(VALU_DEP_2) | instskip(SKIP_2) | instid1(VALU_DEP_1)
	v_rcp_f32_e32 v19, v17
	s_waitcnt_depctr 0xfff
	v_fma_f32 v15, -v17, v19, 1.0
	v_fmac_f32_e32 v19, v15, v19
	v_add_nc_u32_e32 v15, v13, v14
	s_delay_alu instid0(VALU_DEP_2) | instskip(NEXT) | instid1(VALU_DEP_1)
	v_mul_f32_e32 v21, v20, v19
	v_fma_f32 v16, -v17, v21, v20
	s_delay_alu instid0(VALU_DEP_1) | instskip(NEXT) | instid1(VALU_DEP_4)
	v_fmac_f32_e32 v21, v16, v19
	v_ashrrev_i32_e32 v16, 31, v15
	s_delay_alu instid0(VALU_DEP_2) | instskip(NEXT) | instid1(VALU_DEP_2)
	v_fma_f32 v17, -v17, v21, v20
	v_lshlrev_b64 v[14:15], 2, v[15:16]
	s_delay_alu instid0(VALU_DEP_2) | instskip(NEXT) | instid1(VALU_DEP_2)
	v_div_fmas_f32 v19, v17, v19, v21
	v_add_co_u32 v16, vcc_lo, s12, v14
	v_mov_b32_e32 v14, v22
	s_delay_alu instid0(VALU_DEP_4) | instskip(NEXT) | instid1(VALU_DEP_4)
	v_add_co_ci_u32_e32 v17, vcc_lo, s13, v15, vcc_lo
	v_div_fixup_f32 v15, v19, v18, 1.0
	global_store_b32 v[16:17], v15, off
	s_and_not1_b32 exec_lo, exec_lo, s7
	s_cbranch_execnz .LBB164_5
; %bb.6:
	s_or_b32 exec_lo, exec_lo, s7
	v_lshrrev_b32_e32 v9, 16, v4
	v_cvt_f32_f16_e32 v10, v4
	v_or_b32_e32 v13, 1, v12
	v_cvt_f32_f16_e32 v15, v5
	v_lshrrev_b32_e32 v5, 16, v5
	v_cvt_f32_f16_e32 v14, v9
	v_cmp_lt_f16_e32 vcc_lo, v4, v9
	v_or_b32_e32 v16, 2, v12
	v_or_b32_e32 v18, 3, v12
	v_cvt_f32_f16_e32 v17, v5
	v_cvt_f32_f16_e32 v19, v6
	v_dual_cndmask_b32 v4, v12, v13 :: v_dual_cndmask_b32 v9, v10, v14
	v_or_b32_e32 v21, 5, v12
	v_cvt_f32_f16_e32 v22, v7
	v_or_b32_e32 v24, 7, v12
	v_cvt_f32_f16_e32 v26, v0
	v_cmp_lt_f32_e32 vcc_lo, v9, v15
	v_lshrrev_b32_e32 v0, 16, v0
	v_or_b32_e32 v28, 8, v12
	v_cvt_f32_f16_e32 v31, v1
	v_lshrrev_b32_e32 v1, 16, v1
	v_dual_cndmask_b32 v4, v4, v16 :: v_dual_cndmask_b32 v5, v9, v15
	v_lshrrev_b32_e32 v9, 16, v6
	v_or_b32_e32 v6, 4, v12
	v_cvt_f32_f16_e32 v29, v0
	v_cvt_f32_f16_e32 v33, v1
	v_cmp_lt_f32_e32 vcc_lo, v5, v17
	v_cvt_f32_f16_e32 v20, v9
	v_lshrrev_b32_e32 v9, 16, v7
	v_or_b32_e32 v7, 6, v12
	v_or_b32_e32 v30, 9, v12
	v_dual_cndmask_b32 v4, v4, v18 :: v_dual_cndmask_b32 v5, v5, v17
	s_delay_alu instid0(VALU_DEP_4)
	v_cvt_f32_f16_e32 v23, v9
	v_cvt_f32_f16_e32 v39, v3
	;; [unrolled: 1-line block ×3, first 2 shown]
	v_or_b32_e32 v32, 10, v12
	v_cmp_lt_f32_e32 vcc_lo, v5, v19
	v_lshrrev_b32_e32 v2, 16, v2
	v_or_b32_e32 v34, 11, v12
	v_or_b32_e32 v36, 12, v12
	;; [unrolled: 1-line block ×3, first 2 shown]
	v_dual_cndmask_b32 v4, v4, v6 :: v_dual_cndmask_b32 v5, v5, v19
	v_cvt_f32_f16_e32 v37, v2
	v_lshrrev_b32_e32 v2, 16, v3
	v_or_b32_e32 v40, 14, v12
	v_or_b32_e32 v42, 15, v12
	v_cmp_lt_f32_e32 vcc_lo, v5, v20
	s_cmp_gt_i32 s4, 0
	v_cvt_f32_f16_e32 v41, v2
	v_cmp_eq_u32_e64 s2, 0, v11
	s_cselect_b32 s7, -1, 0
	v_dual_cndmask_b32 v4, v4, v21 :: v_dual_cndmask_b32 v5, v5, v20
	s_delay_alu instid0(VALU_DEP_1) | instskip(NEXT) | instid1(VALU_DEP_2)
	v_cmp_lt_f32_e32 vcc_lo, v5, v22
	v_dual_cndmask_b32 v4, v4, v7 :: v_dual_cndmask_b32 v5, v5, v22
	s_delay_alu instid0(VALU_DEP_1) | instskip(NEXT) | instid1(VALU_DEP_2)
	v_cmp_lt_f32_e32 vcc_lo, v5, v23
	;; [unrolled: 3-line block ×3, first 2 shown]
	v_cndmask_b32_e32 v0, v4, v28, vcc_lo
	v_cndmask_b32_e32 v4, v5, v26, vcc_lo
	s_delay_alu instid0(VALU_DEP_1) | instskip(SKIP_1) | instid1(VALU_DEP_4)
	v_cmp_lt_f32_e32 vcc_lo, v4, v29
	v_cndmask_b32_e32 v4, v4, v29, vcc_lo
	v_cndmask_b32_e32 v0, v0, v30, vcc_lo
	s_delay_alu instid0(VALU_DEP_2) | instskip(SKIP_1) | instid1(VALU_DEP_3)
	v_cmp_lt_f32_e32 vcc_lo, v4, v31
	v_cndmask_b32_e32 v1, v4, v31, vcc_lo
	v_cndmask_b32_e32 v0, v0, v32, vcc_lo
	s_delay_alu instid0(VALU_DEP_2) | instskip(NEXT) | instid1(VALU_DEP_2)
	v_cmp_lt_f32_e32 vcc_lo, v1, v33
	v_dual_cndmask_b32 v1, v1, v33 :: v_dual_cndmask_b32 v0, v0, v34
	s_delay_alu instid0(VALU_DEP_1) | instskip(NEXT) | instid1(VALU_DEP_2)
	v_cmp_lt_f32_e32 vcc_lo, v1, v35
	v_dual_cndmask_b32 v1, v1, v35 :: v_dual_cndmask_b32 v0, v0, v36
	s_delay_alu instid0(VALU_DEP_1) | instskip(NEXT) | instid1(VALU_DEP_2)
	;; [unrolled: 3-line block ×4, first 2 shown]
	v_cmp_lt_f32_e32 vcc_lo, v1, v41
	v_cndmask_b32_e32 v0, v0, v42, vcc_lo
	v_cndmask_b32_e32 v2, v1, v41, vcc_lo
	s_and_b32 vcc_lo, exec_lo, s7
	s_delay_alu instid0(VALU_DEP_2) | instskip(NEXT) | instid1(VALU_DEP_2)
	v_mov_b32_dpp v4, v0 quad_perm:[1,0,3,2] row_mask:0xf bank_mask:0xf
	v_mov_b32_dpp v5, v2 quad_perm:[1,0,3,2] row_mask:0xf bank_mask:0xf
	s_cbranch_vccz .LBB164_18
; %bb.7:
	s_load_b128 s[8:11], s[0:1], 0x20
	s_delay_alu instid0(VALU_DEP_1)
	v_cmp_eq_f32_e32 vcc_lo, v2, v5
	v_cmp_lt_i32_e64 s0, v4, v0
	v_cmp_lt_f32_e64 s1, v2, v5
	v_mul_lo_u32 v1, v45, s14
	v_mul_lo_u32 v3, v45, s4
	v_mov_b32_e32 v44, 0
	s_and_b32 s0, vcc_lo, s0
	s_delay_alu instid0(SALU_CYCLE_1)
	s_or_b32 vcc_lo, s1, s0
	v_dual_cndmask_b32 v0, v0, v4 :: v_dual_cndmask_b32 v43, v2, v5
	s_and_saveexec_b32 s1, s2
	s_cbranch_execz .LBB164_9
; %bb.8:
	s_delay_alu instid0(VALU_DEP_1)
	v_sub_f32_e32 v44, v43, v43
	v_ashrrev_i32_e32 v9, 31, v8
	v_cmp_le_i32_e32 vcc_lo, s5, v0
	v_cmp_gt_i32_e64 s0, s6, v0
	v_subrev_nc_u32_e32 v50, s5, v0
	v_mul_f32_e32 v2, 0x3fb8aa3b, v44
	v_lshlrev_b64 v[46:47], 2, v[8:9]
	s_delay_alu instid0(VALU_DEP_4) | instskip(NEXT) | instid1(SALU_CYCLE_1)
	s_and_b32 s0, vcc_lo, s0
	s_and_b32 vcc_lo, s16, s0
	s_delay_alu instid0(VALU_DEP_2) | instskip(SKIP_1) | instid1(VALU_DEP_2)
	v_rndne_f32_e32 v5, v2
	v_fma_f32 v4, 0x3fb8aa3b, v44, -v2
	v_sub_f32_e32 v2, v2, v5
	s_delay_alu instid0(VALU_DEP_2) | instskip(SKIP_1) | instid1(VALU_DEP_2)
	v_fmamk_f32 v4, v44, 0x32a5705f, v4
	v_cvt_i32_f32_e32 v9, v5
	v_add_f32_e32 v2, v2, v4
	v_ashrrev_i32_e32 v4, 31, v3
	s_delay_alu instid0(VALU_DEP_2) | instskip(SKIP_1) | instid1(VALU_DEP_2)
	v_exp_f32_e32 v51, v2
	v_ashrrev_i32_e32 v2, 31, v1
	v_lshlrev_b64 v[4:5], 2, v[3:4]
	s_delay_alu instid0(VALU_DEP_2) | instskip(SKIP_3) | instid1(TRANS32_DEP_1)
	v_lshlrev_b64 v[48:49], 2, v[1:2]
	v_cndmask_b32_e32 v2, 32, v50, vcc_lo
	v_add_co_u32 v46, vcc_lo, s12, v46
	v_add_co_ci_u32_e32 v47, vcc_lo, s13, v47, vcc_lo
	v_ldexp_f32 v9, v51, v9
	v_cmp_ngt_f32_e32 vcc_lo, 0xc2ce8ed0, v44
	s_delay_alu instid0(VALU_DEP_2)
	v_cndmask_b32_e32 v9, 0, v9, vcc_lo
	s_waitcnt lgkmcnt(0)
	v_add_co_u32 v48, vcc_lo, s8, v48
	v_add_co_ci_u32_e32 v49, vcc_lo, s9, v49, vcc_lo
	v_cmp_nlt_f32_e32 vcc_lo, 0x42b17218, v44
	v_cndmask_b32_e32 v44, 0x7f800000, v9, vcc_lo
	v_add_co_u32 v4, vcc_lo, s10, v4
	v_add_co_ci_u32_e32 v5, vcc_lo, s11, v5, vcc_lo
	global_store_b32 v[48:49], v2, off
	global_store_b32 v[46:47], v44, off
	;; [unrolled: 1-line block ×3, first 2 shown]
.LBB164_9:
	s_or_b32 exec_lo, exec_lo, s1
	s_delay_alu instid0(VALU_DEP_1) | instskip(SKIP_1) | instid1(VALU_DEP_1)
	v_ashrrev_i32_e32 v4, 31, v0
	s_mov_b32 s0, exec_lo
	v_lshrrev_b32_e32 v2, 28, v4
	s_delay_alu instid0(VALU_DEP_1) | instskip(NEXT) | instid1(VALU_DEP_1)
	v_add_nc_u32_e32 v5, v0, v2
	v_ashrrev_i32_e32 v2, 4, v5
	v_lshrrev_b32_e32 v5, 31, v5
	s_delay_alu instid0(VALU_DEP_1) | instskip(NEXT) | instid1(VALU_DEP_1)
	v_add_nc_u32_e32 v5, v2, v5
	v_and_b32_e32 v5, -2, v5
	s_delay_alu instid0(VALU_DEP_1) | instskip(NEXT) | instid1(VALU_DEP_1)
	v_sub_nc_u32_e32 v5, v2, v5
	v_cmpx_eq_u32_e64 v11, v5
	s_cbranch_execz .LBB164_11
; %bb.10:
	v_lshrrev_b32_e32 v4, 27, v4
	v_lshlrev_b32_e32 v2, 4, v2
	s_delay_alu instid0(VALU_DEP_2) | instskip(NEXT) | instid1(VALU_DEP_2)
	v_add_nc_u32_e32 v4, v0, v4
	v_sub_nc_u32_e32 v0, v0, v2
	s_delay_alu instid0(VALU_DEP_2) | instskip(NEXT) | instid1(VALU_DEP_1)
	v_ashrrev_i32_e32 v2, 5, v4
	v_lshl_add_u32 v0, v2, 4, v0
	s_delay_alu instid0(VALU_DEP_1)
	v_cmp_ne_u32_e32 vcc_lo, 15, v0
	v_cndmask_b32_e32 v41, 0xff800000, v41, vcc_lo
	v_cmp_ne_u32_e32 vcc_lo, 14, v0
	v_cndmask_b32_e32 v39, 0xff800000, v39, vcc_lo
	;; [unrolled: 2-line block ×16, first 2 shown]
.LBB164_11:
	s_or_b32 exec_lo, exec_lo, s0
	s_cmp_eq_u32 s4, 1
	s_cbranch_scc1 .LBB164_19
; %bb.12:
	s_add_i32 s17, s17, s3
	v_add_nc_u32_e32 v0, 1, v3
	v_add3_u32 v9, s17, v27, v25
	v_add_nc_u32_e32 v2, 1, v1
	v_add_nc_u32_e32 v4, 1, v8
	s_add_i32 s14, s4, -1
	s_branch .LBB164_14
.LBB164_13:                             ;   in Loop: Header=BB164_14 Depth=1
	s_or_b32 exec_lo, exec_lo, s0
	v_add_nc_u32_e32 v9, s3, v9
	v_add_nc_u32_e32 v0, 1, v0
	;; [unrolled: 1-line block ×4, first 2 shown]
	s_add_i32 s14, s14, -1
	s_delay_alu instid0(SALU_CYCLE_1)
	s_cmp_eq_u32 s14, 0
	s_cbranch_scc1 .LBB164_19
.LBB164_14:                             ; =>This Inner Loop Header: Depth=1
	v_cmp_gt_f32_e32 vcc_lo, v14, v10
	v_cndmask_b32_e32 v3, v10, v14, vcc_lo
	v_cndmask_b32_e32 v1, v12, v13, vcc_lo
	s_delay_alu instid0(VALU_DEP_2) | instskip(SKIP_1) | instid1(VALU_DEP_3)
	v_cmp_gt_f32_e32 vcc_lo, v15, v3
	v_cndmask_b32_e32 v3, v3, v15, vcc_lo
	v_cndmask_b32_e32 v1, v1, v16, vcc_lo
	s_delay_alu instid0(VALU_DEP_2) | instskip(SKIP_1) | instid1(VALU_DEP_3)
	v_cmp_gt_f32_e32 vcc_lo, v17, v3
	v_cndmask_b32_e32 v3, v3, v17, vcc_lo
	v_cndmask_b32_e32 v1, v1, v18, vcc_lo
	s_delay_alu instid0(VALU_DEP_2) | instskip(SKIP_1) | instid1(VALU_DEP_3)
	v_cmp_gt_f32_e32 vcc_lo, v19, v3
	v_cndmask_b32_e32 v3, v3, v19, vcc_lo
	v_cndmask_b32_e32 v1, v1, v6, vcc_lo
	s_delay_alu instid0(VALU_DEP_2) | instskip(SKIP_1) | instid1(VALU_DEP_3)
	v_cmp_gt_f32_e32 vcc_lo, v20, v3
	v_cndmask_b32_e32 v3, v3, v20, vcc_lo
	v_cndmask_b32_e32 v1, v1, v21, vcc_lo
	s_delay_alu instid0(VALU_DEP_2) | instskip(SKIP_1) | instid1(VALU_DEP_3)
	v_cmp_gt_f32_e32 vcc_lo, v22, v3
	v_cndmask_b32_e32 v3, v3, v22, vcc_lo
	v_cndmask_b32_e32 v1, v1, v7, vcc_lo
	s_delay_alu instid0(VALU_DEP_2) | instskip(SKIP_1) | instid1(VALU_DEP_3)
	v_cmp_gt_f32_e32 vcc_lo, v23, v3
	v_cndmask_b32_e32 v3, v3, v23, vcc_lo
	v_cndmask_b32_e32 v1, v1, v24, vcc_lo
	s_delay_alu instid0(VALU_DEP_2) | instskip(SKIP_1) | instid1(VALU_DEP_3)
	v_cmp_gt_f32_e32 vcc_lo, v26, v3
	v_cndmask_b32_e32 v3, v3, v26, vcc_lo
	v_cndmask_b32_e32 v1, v1, v28, vcc_lo
	s_delay_alu instid0(VALU_DEP_2) | instskip(SKIP_1) | instid1(VALU_DEP_3)
	v_cmp_gt_f32_e32 vcc_lo, v29, v3
	v_cndmask_b32_e32 v3, v3, v29, vcc_lo
	v_cndmask_b32_e32 v1, v1, v30, vcc_lo
	s_delay_alu instid0(VALU_DEP_2) | instskip(SKIP_1) | instid1(VALU_DEP_3)
	v_cmp_gt_f32_e32 vcc_lo, v31, v3
	v_cndmask_b32_e32 v3, v3, v31, vcc_lo
	v_cndmask_b32_e32 v1, v1, v32, vcc_lo
	s_delay_alu instid0(VALU_DEP_2) | instskip(SKIP_1) | instid1(VALU_DEP_3)
	v_cmp_gt_f32_e32 vcc_lo, v33, v3
	v_cndmask_b32_e32 v3, v3, v33, vcc_lo
	v_cndmask_b32_e32 v1, v1, v34, vcc_lo
	s_delay_alu instid0(VALU_DEP_2) | instskip(SKIP_1) | instid1(VALU_DEP_3)
	v_cmp_gt_f32_e32 vcc_lo, v35, v3
	v_cndmask_b32_e32 v3, v3, v35, vcc_lo
	v_cndmask_b32_e32 v1, v1, v36, vcc_lo
	s_delay_alu instid0(VALU_DEP_2) | instskip(SKIP_1) | instid1(VALU_DEP_3)
	v_cmp_gt_f32_e32 vcc_lo, v37, v3
	v_cndmask_b32_e32 v3, v3, v37, vcc_lo
	v_cndmask_b32_e32 v1, v1, v38, vcc_lo
	s_delay_alu instid0(VALU_DEP_2) | instskip(SKIP_1) | instid1(VALU_DEP_3)
	v_cmp_gt_f32_e32 vcc_lo, v39, v3
	v_cndmask_b32_e32 v3, v3, v39, vcc_lo
	v_cndmask_b32_e32 v1, v1, v40, vcc_lo
	s_delay_alu instid0(VALU_DEP_2) | instskip(NEXT) | instid1(VALU_DEP_2)
	v_cmp_gt_f32_e32 vcc_lo, v41, v3
	v_cndmask_b32_e32 v5, v1, v42, vcc_lo
	v_cndmask_b32_e32 v1, v3, v41, vcc_lo
	s_delay_alu instid0(VALU_DEP_2) | instskip(NEXT) | instid1(VALU_DEP_2)
	v_mov_b32_dpp v25, v5 quad_perm:[1,0,3,2] row_mask:0xf bank_mask:0xf
	v_mov_b32_dpp v3, v1 quad_perm:[1,0,3,2] row_mask:0xf bank_mask:0xf
	s_delay_alu instid0(VALU_DEP_2) | instskip(NEXT) | instid1(VALU_DEP_2)
	v_cmp_lt_i32_e32 vcc_lo, v25, v5
	v_cmp_eq_f32_e64 s0, v1, v3
	v_cmp_lt_f32_e64 s1, v1, v3
	s_delay_alu instid0(VALU_DEP_2)
	s_and_b32 s0, s0, vcc_lo
	s_delay_alu instid0(VALU_DEP_1) | instid1(SALU_CYCLE_1)
	s_or_b32 vcc_lo, s1, s0
	v_cndmask_b32_e32 v25, v5, v25, vcc_lo
	s_and_saveexec_b32 s1, s2
	s_cbranch_execz .LBB164_16
; %bb.15:                               ;   in Loop: Header=BB164_14 Depth=1
	v_cndmask_b32_e32 v1, v1, v3, vcc_lo
	s_delay_alu instid0(VALU_DEP_2) | instskip(SKIP_4) | instid1(VALU_DEP_4)
	v_cmp_le_i32_e32 vcc_lo, s5, v25
	v_cmp_gt_i32_e64 s0, s6, v25
	v_ashrrev_i32_e32 v5, 31, v4
	v_subrev_nc_u32_e32 v51, s5, v25
	v_sub_f32_e32 v27, v1, v43
	s_and_b32 s0, vcc_lo, s0
	s_delay_alu instid0(SALU_CYCLE_1) | instskip(NEXT) | instid1(VALU_DEP_1)
	s_and_b32 vcc_lo, s16, s0
	v_mul_f32_e32 v1, 0x3fb8aa3b, v27
	s_delay_alu instid0(VALU_DEP_1) | instskip(SKIP_1) | instid1(VALU_DEP_2)
	v_fma_f32 v3, 0x3fb8aa3b, v27, -v1
	v_rndne_f32_e32 v45, v1
	v_fmac_f32_e32 v3, 0x32a5705f, v27
	s_delay_alu instid0(VALU_DEP_2) | instskip(SKIP_2) | instid1(VALU_DEP_3)
	v_sub_f32_e32 v1, v1, v45
	v_cvt_i32_f32_e32 v50, v45
	v_lshlrev_b64 v[45:46], 2, v[4:5]
	v_add_f32_e32 v1, v1, v3
	v_ashrrev_i32_e32 v3, 31, v2
	s_delay_alu instid0(VALU_DEP_2) | instskip(SKIP_1) | instid1(VALU_DEP_2)
	v_exp_f32_e32 v49, v1
	v_ashrrev_i32_e32 v1, 31, v0
	v_lshlrev_b64 v[47:48], 2, v[2:3]
	s_waitcnt_depctr 0xfff
	v_ldexp_f32 v3, v49, v50
	v_lshlrev_b64 v[49:50], 2, v[0:1]
	v_cndmask_b32_e32 v1, 32, v51, vcc_lo
	v_cmp_ngt_f32_e32 vcc_lo, 0xc2ce8ed0, v27
	s_delay_alu instid0(VALU_DEP_4) | instskip(SKIP_3) | instid1(VALU_DEP_4)
	v_cndmask_b32_e32 v3, 0, v3, vcc_lo
	v_add_co_u32 v45, vcc_lo, s12, v45
	v_add_co_ci_u32_e32 v46, vcc_lo, s13, v46, vcc_lo
	v_cmp_nlt_f32_e32 vcc_lo, 0x42b17218, v27
	v_cndmask_b32_e32 v3, 0x7f800000, v3, vcc_lo
	s_waitcnt lgkmcnt(0)
	v_add_co_u32 v47, vcc_lo, s8, v47
	v_add_co_ci_u32_e32 v48, vcc_lo, s9, v48, vcc_lo
	s_delay_alu instid0(VALU_DEP_3)
	v_add_f32_e32 v44, v44, v3
	v_add_co_u32 v49, vcc_lo, s10, v49
	v_add_co_ci_u32_e32 v50, vcc_lo, s11, v50, vcc_lo
	global_store_b32 v[45:46], v3, off
	global_store_b32 v[47:48], v1, off
	;; [unrolled: 1-line block ×3, first 2 shown]
.LBB164_16:                             ;   in Loop: Header=BB164_14 Depth=1
	s_or_b32 exec_lo, exec_lo, s1
	s_delay_alu instid0(VALU_DEP_1) | instskip(SKIP_1) | instid1(VALU_DEP_1)
	v_ashrrev_i32_e32 v3, 31, v25
	s_mov_b32 s0, exec_lo
	v_lshrrev_b32_e32 v1, 28, v3
	s_delay_alu instid0(VALU_DEP_1) | instskip(NEXT) | instid1(VALU_DEP_1)
	v_add_nc_u32_e32 v5, v25, v1
	v_ashrrev_i32_e32 v1, 4, v5
	v_lshrrev_b32_e32 v5, 31, v5
	s_delay_alu instid0(VALU_DEP_1) | instskip(NEXT) | instid1(VALU_DEP_1)
	v_add_nc_u32_e32 v5, v1, v5
	v_and_b32_e32 v5, -2, v5
	s_delay_alu instid0(VALU_DEP_1) | instskip(NEXT) | instid1(VALU_DEP_1)
	v_sub_nc_u32_e32 v5, v1, v5
	v_cmpx_eq_u32_e64 v11, v5
	s_cbranch_execz .LBB164_13
; %bb.17:                               ;   in Loop: Header=BB164_14 Depth=1
	v_lshrrev_b32_e32 v3, 27, v3
	v_lshlrev_b32_e32 v1, 4, v1
	s_delay_alu instid0(VALU_DEP_2) | instskip(NEXT) | instid1(VALU_DEP_2)
	v_add_nc_u32_e32 v3, v25, v3
	v_sub_nc_u32_e32 v1, v25, v1
	s_delay_alu instid0(VALU_DEP_2) | instskip(NEXT) | instid1(VALU_DEP_1)
	v_ashrrev_i32_e32 v3, 5, v3
	v_lshl_add_u32 v1, v3, 4, v1
	s_delay_alu instid0(VALU_DEP_1)
	v_cmp_ne_u32_e32 vcc_lo, 15, v1
	v_cndmask_b32_e32 v41, 0xff800000, v41, vcc_lo
	v_cmp_ne_u32_e32 vcc_lo, 14, v1
	v_cndmask_b32_e32 v39, 0xff800000, v39, vcc_lo
	;; [unrolled: 2-line block ×16, first 2 shown]
	s_branch .LBB164_13
.LBB164_18:
	v_mov_b32_e32 v44, 0
.LBB164_19:
	v_cmp_eq_u32_e32 vcc_lo, 0, v11
	s_delay_alu instid0(VALU_DEP_2) | instskip(NEXT) | instid1(VALU_DEP_1)
	v_cmp_neq_f32_e64 s0, 0, v44
	s_and_b32 s0, vcc_lo, s0
	s_delay_alu instid0(SALU_CYCLE_1)
	s_and_b32 exec_lo, exec_lo, s0
	s_cbranch_execz .LBB164_23
; %bb.20:
	s_and_not1_b32 vcc_lo, exec_lo, s7
	s_cbranch_vccnz .LBB164_23
; %bb.21:
	v_div_scale_f32 v0, null, v44, v44, 1.0
	v_div_scale_f32 v3, vcc_lo, 1.0, v44, 1.0
	v_ashrrev_i32_e32 v9, 31, v8
	s_delay_alu instid0(VALU_DEP_3) | instskip(SKIP_2) | instid1(VALU_DEP_1)
	v_rcp_f32_e32 v1, v0
	s_waitcnt_depctr 0xfff
	v_fma_f32 v2, -v0, v1, 1.0
	v_fmac_f32_e32 v1, v2, v1
	s_delay_alu instid0(VALU_DEP_1) | instskip(NEXT) | instid1(VALU_DEP_1)
	v_mul_f32_e32 v2, v3, v1
	v_fma_f32 v4, -v0, v2, v3
	s_delay_alu instid0(VALU_DEP_1) | instskip(NEXT) | instid1(VALU_DEP_1)
	v_fmac_f32_e32 v2, v4, v1
	v_fma_f32 v0, -v0, v2, v3
	s_delay_alu instid0(VALU_DEP_1) | instskip(SKIP_1) | instid1(VALU_DEP_2)
	v_div_fmas_f32 v2, v0, v1, v2
	v_lshlrev_b64 v[0:1], 2, v[8:9]
	v_div_fixup_f32 v2, v2, v44, 1.0
	s_delay_alu instid0(VALU_DEP_2) | instskip(NEXT) | instid1(VALU_DEP_3)
	v_add_co_u32 v0, vcc_lo, s12, v0
	v_add_co_ci_u32_e32 v1, vcc_lo, s13, v1, vcc_lo
.LBB164_22:                             ; =>This Inner Loop Header: Depth=1
	global_load_b32 v3, v[0:1], off
	s_add_i32 s4, s4, -1
	s_delay_alu instid0(SALU_CYCLE_1)
	s_cmp_lg_u32 s4, 0
	s_waitcnt vmcnt(0)
	v_mul_f32_e32 v3, v2, v3
	global_store_b32 v[0:1], v3, off
	v_add_co_u32 v0, vcc_lo, v0, 4
	v_add_co_ci_u32_e32 v1, vcc_lo, 0, v1, vcc_lo
	s_cbranch_scc1 .LBB164_22
.LBB164_23:
	s_nop 0
	s_sendmsg sendmsg(MSG_DEALLOC_VGPRS)
	s_endpgm
	.section	.rodata,"a",@progbits
	.p2align	6, 0x0
	.amdhsa_kernel _ZN4vllm3moe17topkGatingSoftmaxIDF16_Li16ELi32ELi8ELi32ELb1ELi8ELNS0_23SharedExpertScoringFuncE1EEEvPKT_PKbPfiPiS9_iiiiii
		.amdhsa_group_segment_fixed_size 0
		.amdhsa_private_segment_fixed_size 0
		.amdhsa_kernarg_size 72
		.amdhsa_user_sgpr_count 15
		.amdhsa_user_sgpr_dispatch_ptr 0
		.amdhsa_user_sgpr_queue_ptr 0
		.amdhsa_user_sgpr_kernarg_segment_ptr 1
		.amdhsa_user_sgpr_dispatch_id 0
		.amdhsa_user_sgpr_private_segment_size 0
		.amdhsa_wavefront_size32 1
		.amdhsa_uses_dynamic_stack 0
		.amdhsa_enable_private_segment 0
		.amdhsa_system_sgpr_workgroup_id_x 1
		.amdhsa_system_sgpr_workgroup_id_y 0
		.amdhsa_system_sgpr_workgroup_id_z 0
		.amdhsa_system_sgpr_workgroup_info 0
		.amdhsa_system_vgpr_workitem_id 1
		.amdhsa_next_free_vgpr 52
		.amdhsa_next_free_sgpr 18
		.amdhsa_reserve_vcc 1
		.amdhsa_float_round_mode_32 0
		.amdhsa_float_round_mode_16_64 0
		.amdhsa_float_denorm_mode_32 3
		.amdhsa_float_denorm_mode_16_64 3
		.amdhsa_dx10_clamp 1
		.amdhsa_ieee_mode 1
		.amdhsa_fp16_overflow 0
		.amdhsa_workgroup_processor_mode 1
		.amdhsa_memory_ordered 1
		.amdhsa_forward_progress 0
		.amdhsa_shared_vgpr_count 0
		.amdhsa_exception_fp_ieee_invalid_op 0
		.amdhsa_exception_fp_denorm_src 0
		.amdhsa_exception_fp_ieee_div_zero 0
		.amdhsa_exception_fp_ieee_overflow 0
		.amdhsa_exception_fp_ieee_underflow 0
		.amdhsa_exception_fp_ieee_inexact 0
		.amdhsa_exception_int_div_zero 0
	.end_amdhsa_kernel
	.section	.text._ZN4vllm3moe17topkGatingSoftmaxIDF16_Li16ELi32ELi8ELi32ELb1ELi8ELNS0_23SharedExpertScoringFuncE1EEEvPKT_PKbPfiPiS9_iiiiii,"axG",@progbits,_ZN4vllm3moe17topkGatingSoftmaxIDF16_Li16ELi32ELi8ELi32ELb1ELi8ELNS0_23SharedExpertScoringFuncE1EEEvPKT_PKbPfiPiS9_iiiiii,comdat
.Lfunc_end164:
	.size	_ZN4vllm3moe17topkGatingSoftmaxIDF16_Li16ELi32ELi8ELi32ELb1ELi8ELNS0_23SharedExpertScoringFuncE1EEEvPKT_PKbPfiPiS9_iiiiii, .Lfunc_end164-_ZN4vllm3moe17topkGatingSoftmaxIDF16_Li16ELi32ELi8ELi32ELb1ELi8ELNS0_23SharedExpertScoringFuncE1EEEvPKT_PKbPfiPiS9_iiiiii
                                        ; -- End function
	.section	.AMDGPU.csdata,"",@progbits
; Kernel info:
; codeLenInByte = 2904
; NumSgprs: 20
; NumVgprs: 52
; ScratchSize: 0
; MemoryBound: 0
; FloatMode: 240
; IeeeMode: 1
; LDSByteSize: 0 bytes/workgroup (compile time only)
; SGPRBlocks: 2
; VGPRBlocks: 6
; NumSGPRsForWavesPerEU: 20
; NumVGPRsForWavesPerEU: 52
; Occupancy: 16
; WaveLimiterHint : 0
; COMPUTE_PGM_RSRC2:SCRATCH_EN: 0
; COMPUTE_PGM_RSRC2:USER_SGPR: 15
; COMPUTE_PGM_RSRC2:TRAP_HANDLER: 0
; COMPUTE_PGM_RSRC2:TGID_X_EN: 1
; COMPUTE_PGM_RSRC2:TGID_Y_EN: 0
; COMPUTE_PGM_RSRC2:TGID_Z_EN: 0
; COMPUTE_PGM_RSRC2:TIDIG_COMP_CNT: 1
	.section	.text._ZN4vllm3moe17topkGatingSoftmaxIDF16_Li16ELi32ELi8ELi32ELb0ELi8ELNS0_23SharedExpertScoringFuncE1EEEvPKT_PKbPfiPiS9_iiiiii,"axG",@progbits,_ZN4vllm3moe17topkGatingSoftmaxIDF16_Li16ELi32ELi8ELi32ELb0ELi8ELNS0_23SharedExpertScoringFuncE1EEEvPKT_PKbPfiPiS9_iiiiii,comdat
	.protected	_ZN4vllm3moe17topkGatingSoftmaxIDF16_Li16ELi32ELi8ELi32ELb0ELi8ELNS0_23SharedExpertScoringFuncE1EEEvPKT_PKbPfiPiS9_iiiiii ; -- Begin function _ZN4vllm3moe17topkGatingSoftmaxIDF16_Li16ELi32ELi8ELi32ELb0ELi8ELNS0_23SharedExpertScoringFuncE1EEEvPKT_PKbPfiPiS9_iiiiii
	.globl	_ZN4vllm3moe17topkGatingSoftmaxIDF16_Li16ELi32ELi8ELi32ELb0ELi8ELNS0_23SharedExpertScoringFuncE1EEEvPKT_PKbPfiPiS9_iiiiii
	.p2align	8
	.type	_ZN4vllm3moe17topkGatingSoftmaxIDF16_Li16ELi32ELi8ELi32ELb0ELi8ELNS0_23SharedExpertScoringFuncE1EEEvPKT_PKbPfiPiS9_iiiiii,@function
_ZN4vllm3moe17topkGatingSoftmaxIDF16_Li16ELi32ELi8ELi32ELb0ELi8ELNS0_23SharedExpertScoringFuncE1EEEvPKT_PKbPfiPiS9_iiiiii: ; @_ZN4vllm3moe17topkGatingSoftmaxIDF16_Li16ELi32ELi8ELi32ELb0ELi8ELNS0_23SharedExpertScoringFuncE1EEEvPKT_PKbPfiPiS9_iiiiii
; %bb.0:
	s_load_b32 s16, s[0:1], 0x18
	v_bfe_u32 v1, v0, 10, 10
	v_and_b32_e32 v0, 0x3ff, v0
	s_lshl_b32 s18, s15, 7
	s_mov_b32 s2, exec_lo
	s_delay_alu instid0(VALU_DEP_2) | instskip(NEXT) | instid1(VALU_DEP_2)
	v_lshlrev_b32_e32 v31, 4, v1
	v_lshrrev_b32_e32 v32, 1, v0
	s_delay_alu instid0(VALU_DEP_1) | instskip(SKIP_1) | instid1(VALU_DEP_1)
	v_add3_u32 v44, s18, v31, v32
	s_waitcnt lgkmcnt(0)
	v_cmpx_gt_i32_e64 s16, v44
	s_cbranch_execz .LBB165_24
; %bb.1:
	s_clause 0x1
	s_load_b128 s[8:11], s[0:1], 0x0
	s_load_b64 s[12:13], s[0:1], 0x10
	s_waitcnt lgkmcnt(0)
	s_cmp_eq_u64 s[10:11], 0
	s_cbranch_scc1 .LBB165_3
; %bb.2:
	v_ashrrev_i32_e32 v2, 31, v44
	v_add_co_u32 v1, vcc_lo, s10, v44
	s_delay_alu instid0(VALU_DEP_2) | instskip(SKIP_3) | instid1(VALU_DEP_1)
	v_add_co_ci_u32_e32 v2, vcc_lo, s11, v2, vcc_lo
	global_load_u8 v1, v[1:2], off
	s_waitcnt vmcnt(0)
	v_and_b32_e32 v1, 1, v1
	v_cmp_eq_u32_e32 vcc_lo, 1, v1
	s_xor_b32 s2, vcc_lo, -1
	s_delay_alu instid0(SALU_CYCLE_1)
	s_or_not1_b32 s17, s2, exec_lo
	s_branch .LBB165_4
.LBB165_3:
	s_mov_b32 s17, -1
.LBB165_4:
	s_clause 0x1
	s_load_b64 s[14:15], s[0:1], 0x40
	s_load_b128 s[4:7], s[0:1], 0x30
	v_and_b32_e32 v11, 1, v0
	s_mov_b32 s3, 0
	s_delay_alu instid0(VALU_DEP_1)
	v_dual_mov_b32 v13, v11 :: v_dual_lshlrev_b32 v0, 5, v11
	v_lshlrev_b32_e32 v12, 1, v11
	v_lshlrev_b32_e32 v20, 4, v11
	s_waitcnt lgkmcnt(0)
	v_mul_lo_u32 v1, v44, s15
	v_mul_lo_u32 v8, v44, s7
	s_mov_b32 s7, 0x3fb8aa3b
	s_delay_alu instid0(VALU_DEP_2) | instskip(NEXT) | instid1(VALU_DEP_1)
	v_ashrrev_i32_e32 v2, 31, v1
	v_lshlrev_b64 v[9:10], 1, v[1:2]
	s_delay_alu instid0(VALU_DEP_1) | instskip(NEXT) | instid1(VALU_DEP_2)
	v_add_co_u32 v1, vcc_lo, s8, v9
	v_add_co_ci_u32_e32 v2, vcc_lo, s9, v10, vcc_lo
	s_delay_alu instid0(VALU_DEP_2) | instskip(NEXT) | instid1(VALU_DEP_2)
	v_add_co_u32 v4, vcc_lo, v1, v0
	v_add_co_ci_u32_e32 v5, vcc_lo, 0, v2, vcc_lo
	v_add_co_u32 v9, vcc_lo, v9, v12
	v_add_co_ci_u32_e32 v10, vcc_lo, 0, v10, vcc_lo
	s_clause 0x1
	global_load_b128 v[0:3], v[4:5], off offset:16
	global_load_b128 v[4:7], v[4:5], off
	v_add_co_u32 v9, vcc_lo, v9, s8
	v_add_co_ci_u32_e32 v10, vcc_lo, s9, v10, vcc_lo
	v_add_nc_u32_e32 v12, s4, v8
	s_delay_alu instid0(VALU_DEP_3) | instskip(NEXT) | instid1(VALU_DEP_3)
	v_add_co_u32 v9, vcc_lo, v9, 64
	v_add_co_ci_u32_e32 v10, vcc_lo, 0, v10, vcc_lo
	s_mov_b32 s8, 0x32a5705f
.LBB165_5:                              ; =>This Inner Loop Header: Depth=1
	global_load_u16 v14, v[9:10], off
	v_add_nc_u32_e32 v22, 2, v13
	v_add_co_u32 v9, s2, v9, 4
	s_delay_alu instid0(VALU_DEP_1) | instskip(SKIP_1) | instid1(VALU_DEP_1)
	v_add_co_ci_u32_e64 v10, s2, 0, v10, s2
	v_cmp_lt_u32_e64 s2, 5, v13
	s_or_b32 s3, s2, s3
	s_waitcnt vmcnt(0)
	v_cvt_f32_f16_e64 v15, -v14
	s_delay_alu instid0(VALU_DEP_1) | instskip(SKIP_1) | instid1(VALU_DEP_2)
	v_mul_f32_e32 v16, 0x3fb8aa3b, v15
	v_cmp_ngt_f32_e32 vcc_lo, 0xc2ce8ed0, v15
	v_rndne_f32_e32 v17, v16
	v_fma_mix_f32 v18, -v14, s7, -v16 op_sel_hi:[1,0,0]
	s_delay_alu instid0(VALU_DEP_2) | instskip(NEXT) | instid1(VALU_DEP_2)
	v_sub_f32_e32 v16, v16, v17
	v_fma_mix_f32 v14, -v14, s8, v18 op_sel_hi:[1,0,0]
	s_delay_alu instid0(VALU_DEP_1) | instskip(SKIP_1) | instid1(VALU_DEP_2)
	v_add_f32_e32 v14, v16, v14
	v_cvt_i32_f32_e32 v16, v17
	v_exp_f32_e32 v14, v14
	s_waitcnt_depctr 0xfff
	v_ldexp_f32 v14, v14, v16
	s_delay_alu instid0(VALU_DEP_1) | instskip(SKIP_1) | instid1(VALU_DEP_2)
	v_cndmask_b32_e32 v14, 0, v14, vcc_lo
	v_cmp_nlt_f32_e32 vcc_lo, 0x42b17218, v15
	v_cndmask_b32_e32 v14, 0x7f800000, v14, vcc_lo
	s_delay_alu instid0(VALU_DEP_1) | instskip(NEXT) | instid1(VALU_DEP_1)
	v_add_f32_e32 v17, 1.0, v14
	v_div_scale_f32 v16, null, v17, v17, 1.0
	v_div_scale_f32 v19, vcc_lo, 1.0, v17, 1.0
	s_delay_alu instid0(VALU_DEP_2) | instskip(SKIP_2) | instid1(VALU_DEP_1)
	v_rcp_f32_e32 v18, v16
	s_waitcnt_depctr 0xfff
	v_fma_f32 v14, -v16, v18, 1.0
	v_fmac_f32_e32 v18, v14, v18
	s_delay_alu instid0(VALU_DEP_1) | instskip(NEXT) | instid1(VALU_DEP_1)
	v_mul_f32_e32 v21, v19, v18
	v_fma_f32 v15, -v16, v21, v19
	s_delay_alu instid0(VALU_DEP_1) | instskip(NEXT) | instid1(VALU_DEP_1)
	v_dual_fmac_f32 v21, v15, v18 :: v_dual_add_nc_u32 v14, v12, v13
	v_ashrrev_i32_e32 v15, 31, v14
	s_delay_alu instid0(VALU_DEP_2) | instskip(NEXT) | instid1(VALU_DEP_2)
	v_fma_f32 v16, -v16, v21, v19
	v_lshlrev_b64 v[13:14], 2, v[14:15]
	s_delay_alu instid0(VALU_DEP_2) | instskip(NEXT) | instid1(VALU_DEP_2)
	v_div_fmas_f32 v18, v16, v18, v21
	v_add_co_u32 v15, vcc_lo, s12, v13
	s_delay_alu instid0(VALU_DEP_3) | instskip(NEXT) | instid1(VALU_DEP_3)
	v_add_co_ci_u32_e32 v16, vcc_lo, s13, v14, vcc_lo
	v_div_fixup_f32 v14, v18, v17, 1.0
	v_mov_b32_e32 v13, v22
	global_store_b32 v[15:16], v14, off
	s_and_not1_b32 exec_lo, exec_lo, s3
	s_cbranch_execnz .LBB165_5
; %bb.6:
	s_or_b32 exec_lo, exec_lo, s3
	v_lshrrev_b32_e32 v9, 16, v4
	v_cvt_f32_f16_e32 v23, v4
	v_or_b32_e32 v27, 1, v20
	v_cvt_f32_f16_e32 v25, v5
	v_lshrrev_b32_e32 v5, 16, v5
	v_cvt_f32_f16_e32 v26, v9
	v_cmp_lt_f16_e32 vcc_lo, v4, v9
	v_or_b32_e32 v28, 2, v20
	v_or_b32_e32 v29, 3, v20
	v_cvt_f32_f16_e32 v24, v5
	v_cvt_f32_f16_e32 v22, v6
	v_dual_cndmask_b32 v4, v20, v27 :: v_dual_cndmask_b32 v9, v23, v26
	v_lshrrev_b32_e32 v6, 16, v6
	v_or_b32_e32 v30, 4, v20
	v_or_b32_e32 v33, 5, v20
	v_cvt_f32_f16_e32 v19, v7
	v_cmp_lt_f32_e32 vcc_lo, v9, v25
	v_cvt_f32_f16_e32 v21, v6
	v_lshrrev_b32_e32 v6, 16, v7
	v_or_b32_e32 v34, 6, v20
	v_or_b32_e32 v35, 7, v20
	v_dual_cndmask_b32 v4, v4, v28 :: v_dual_cndmask_b32 v5, v9, v25
	s_delay_alu instid0(VALU_DEP_4)
	v_cvt_f32_f16_e32 v18, v6
	v_cvt_f32_f16_e32 v17, v0
	v_lshrrev_b32_e32 v0, 16, v0
	v_or_b32_e32 v36, 8, v20
	v_cmp_lt_f32_e32 vcc_lo, v5, v24
	v_cvt_f32_f16_e32 v15, v1
	v_lshrrev_b32_e32 v1, 16, v1
	v_cvt_f32_f16_e32 v16, v0
	v_or_b32_e32 v37, 9, v20
	v_dual_cndmask_b32 v4, v4, v29 :: v_dual_cndmask_b32 v5, v5, v24
	s_delay_alu instid0(VALU_DEP_4)
	v_cvt_f32_f16_e32 v14, v1
	v_cvt_f32_f16_e32 v13, v2
	v_lshrrev_b32_e32 v2, 16, v2
	v_or_b32_e32 v38, 10, v20
	v_cmp_lt_f32_e32 vcc_lo, v5, v22
	v_cvt_f32_f16_e32 v7, v3
	v_or_b32_e32 v39, 11, v20
	v_cvt_f32_f16_e32 v12, v2
	v_lshrrev_b32_e32 v2, 16, v3
	v_cndmask_b32_e32 v5, v5, v22, vcc_lo
	v_cndmask_b32_e32 v4, v4, v30, vcc_lo
	v_or_b32_e32 v40, 12, v20
	v_or_b32_e32 v41, 13, v20
	v_cvt_f32_f16_e32 v6, v2
	v_cmp_lt_f32_e32 vcc_lo, v5, v21
	v_or_b32_e32 v42, 14, v20
	v_or_b32_e32 v43, 15, v20
	v_cndmask_b32_e32 v5, v5, v21, vcc_lo
	v_cndmask_b32_e32 v4, v4, v33, vcc_lo
	s_delay_alu instid0(VALU_DEP_2) | instskip(NEXT) | instid1(VALU_DEP_2)
	v_cmp_lt_f32_e32 vcc_lo, v5, v19
	v_dual_cndmask_b32 v4, v4, v34 :: v_dual_cndmask_b32 v5, v5, v19
	s_delay_alu instid0(VALU_DEP_1) | instskip(NEXT) | instid1(VALU_DEP_2)
	v_cmp_lt_f32_e32 vcc_lo, v5, v18
	v_dual_cndmask_b32 v4, v4, v35 :: v_dual_cndmask_b32 v5, v5, v18
	s_delay_alu instid0(VALU_DEP_1) | instskip(NEXT) | instid1(VALU_DEP_2)
	v_cmp_lt_f32_e32 vcc_lo, v5, v17
	v_cndmask_b32_e32 v0, v4, v36, vcc_lo
	v_cndmask_b32_e32 v4, v5, v17, vcc_lo
	s_delay_alu instid0(VALU_DEP_1) | instskip(SKIP_1) | instid1(VALU_DEP_4)
	v_cmp_lt_f32_e32 vcc_lo, v4, v16
	v_cndmask_b32_e32 v4, v4, v16, vcc_lo
	v_cndmask_b32_e32 v0, v0, v37, vcc_lo
	s_delay_alu instid0(VALU_DEP_2) | instskip(SKIP_1) | instid1(VALU_DEP_3)
	v_cmp_lt_f32_e32 vcc_lo, v4, v15
	v_cndmask_b32_e32 v1, v4, v15, vcc_lo
	v_cndmask_b32_e32 v0, v0, v38, vcc_lo
	s_delay_alu instid0(VALU_DEP_2) | instskip(NEXT) | instid1(VALU_DEP_2)
	v_cmp_lt_f32_e32 vcc_lo, v1, v14
	v_dual_cndmask_b32 v1, v1, v14 :: v_dual_cndmask_b32 v0, v0, v39
	s_delay_alu instid0(VALU_DEP_1) | instskip(NEXT) | instid1(VALU_DEP_2)
	v_cmp_lt_f32_e32 vcc_lo, v1, v13
	v_dual_cndmask_b32 v1, v1, v13 :: v_dual_cndmask_b32 v0, v0, v40
	s_delay_alu instid0(VALU_DEP_1) | instskip(NEXT) | instid1(VALU_DEP_2)
	;; [unrolled: 3-line block ×5, first 2 shown]
	v_mov_b32_dpp v3, v1 quad_perm:[1,0,3,2] row_mask:0xf bank_mask:0xf
	v_mov_b32_dpp v2, v0 quad_perm:[1,0,3,2] row_mask:0xf bank_mask:0xf
	s_delay_alu instid0(VALU_DEP_2) | instskip(NEXT) | instid1(VALU_DEP_2)
	v_cmp_eq_f32_e64 s2, v1, v3
	v_cmp_lt_i32_e32 vcc_lo, v2, v0
	v_cmp_lt_f32_e64 s3, v1, v3
	s_delay_alu instid0(VALU_DEP_3)
	s_and_b32 s2, s2, vcc_lo
	s_delay_alu instid0(VALU_DEP_1) | instid1(SALU_CYCLE_1)
	s_or_b32 s3, s3, s2
	s_cmp_gt_i32 s4, 0
	v_cndmask_b32_e64 v10, v1, v3, s3
	v_cmp_eq_u32_e64 s2, 0, v11
	s_cselect_b32 s7, -1, 0
	s_delay_alu instid0(SALU_CYCLE_1)
	s_and_b32 vcc_lo, exec_lo, s7
	s_cbranch_vccz .LBB165_18
; %bb.7:
	s_load_b128 s[8:11], s[0:1], 0x20
	v_mul_lo_u32 v1, v44, s14
	v_mul_lo_u32 v3, v44, s4
	v_cndmask_b32_e64 v0, v0, v2, s3
	v_mov_b32_e32 v9, 0
	s_and_saveexec_b32 s1, s2
	s_cbranch_execz .LBB165_9
; %bb.8:
	v_sub_f32_e32 v49, v10, v10
	v_ashrrev_i32_e32 v9, 31, v8
	v_cmp_le_i32_e32 vcc_lo, s5, v0
	v_cmp_gt_i32_e64 s0, s6, v0
	v_subrev_nc_u32_e32 v50, s5, v0
	v_mul_f32_e32 v2, 0x3fb8aa3b, v49
	v_lshlrev_b64 v[45:46], 2, v[8:9]
	s_delay_alu instid0(VALU_DEP_4) | instskip(NEXT) | instid1(SALU_CYCLE_1)
	s_and_b32 s0, vcc_lo, s0
	s_and_b32 vcc_lo, s17, s0
	s_delay_alu instid0(VALU_DEP_2) | instskip(SKIP_1) | instid1(VALU_DEP_2)
	v_rndne_f32_e32 v5, v2
	v_fma_f32 v4, 0x3fb8aa3b, v49, -v2
	v_sub_f32_e32 v2, v2, v5
	s_delay_alu instid0(VALU_DEP_2) | instskip(SKIP_1) | instid1(VALU_DEP_2)
	v_fmamk_f32 v4, v49, 0x32a5705f, v4
	v_cvt_i32_f32_e32 v9, v5
	v_add_f32_e32 v2, v2, v4
	v_ashrrev_i32_e32 v4, 31, v3
	s_delay_alu instid0(VALU_DEP_2) | instskip(SKIP_1) | instid1(VALU_DEP_2)
	v_exp_f32_e32 v51, v2
	v_ashrrev_i32_e32 v2, 31, v1
	v_lshlrev_b64 v[4:5], 2, v[3:4]
	s_delay_alu instid0(VALU_DEP_2) | instskip(SKIP_3) | instid1(TRANS32_DEP_1)
	v_lshlrev_b64 v[47:48], 2, v[1:2]
	v_cndmask_b32_e32 v2, 32, v50, vcc_lo
	v_add_co_u32 v45, vcc_lo, s12, v45
	v_add_co_ci_u32_e32 v46, vcc_lo, s13, v46, vcc_lo
	v_ldexp_f32 v9, v51, v9
	v_cmp_ngt_f32_e32 vcc_lo, 0xc2ce8ed0, v49
	s_delay_alu instid0(VALU_DEP_2)
	v_cndmask_b32_e32 v9, 0, v9, vcc_lo
	s_waitcnt lgkmcnt(0)
	v_add_co_u32 v47, vcc_lo, s8, v47
	v_add_co_ci_u32_e32 v48, vcc_lo, s9, v48, vcc_lo
	v_cmp_nlt_f32_e32 vcc_lo, 0x42b17218, v49
	v_cndmask_b32_e32 v9, 0x7f800000, v9, vcc_lo
	v_add_co_u32 v4, vcc_lo, s10, v4
	v_add_co_ci_u32_e32 v5, vcc_lo, s11, v5, vcc_lo
	global_store_b32 v[47:48], v2, off
	global_store_b32 v[45:46], v9, off
	;; [unrolled: 1-line block ×3, first 2 shown]
.LBB165_9:
	s_or_b32 exec_lo, exec_lo, s1
	v_ashrrev_i32_e32 v4, 31, v0
	s_mov_b32 s0, exec_lo
	s_delay_alu instid0(VALU_DEP_1) | instskip(NEXT) | instid1(VALU_DEP_1)
	v_lshrrev_b32_e32 v2, 28, v4
	v_add_nc_u32_e32 v5, v0, v2
	s_delay_alu instid0(VALU_DEP_1) | instskip(SKIP_1) | instid1(VALU_DEP_1)
	v_ashrrev_i32_e32 v2, 4, v5
	v_lshrrev_b32_e32 v5, 31, v5
	v_add_nc_u32_e32 v5, v2, v5
	s_delay_alu instid0(VALU_DEP_1) | instskip(NEXT) | instid1(VALU_DEP_1)
	v_and_b32_e32 v5, -2, v5
	v_sub_nc_u32_e32 v5, v2, v5
	s_delay_alu instid0(VALU_DEP_1)
	v_cmpx_eq_u32_e64 v11, v5
	s_cbranch_execz .LBB165_11
; %bb.10:
	v_lshrrev_b32_e32 v4, 27, v4
	v_lshlrev_b32_e32 v2, 4, v2
	s_delay_alu instid0(VALU_DEP_2) | instskip(NEXT) | instid1(VALU_DEP_2)
	v_add_nc_u32_e32 v4, v0, v4
	v_sub_nc_u32_e32 v0, v0, v2
	s_delay_alu instid0(VALU_DEP_2) | instskip(NEXT) | instid1(VALU_DEP_1)
	v_ashrrev_i32_e32 v2, 5, v4
	v_lshl_add_u32 v0, v2, 4, v0
	s_delay_alu instid0(VALU_DEP_1)
	v_cmp_ne_u32_e32 vcc_lo, 15, v0
	v_cndmask_b32_e32 v6, 0xff800000, v6, vcc_lo
	v_cmp_ne_u32_e32 vcc_lo, 14, v0
	v_cndmask_b32_e32 v7, 0xff800000, v7, vcc_lo
	;; [unrolled: 2-line block ×16, first 2 shown]
.LBB165_11:
	s_or_b32 exec_lo, exec_lo, s0
	s_cmp_eq_u32 s4, 1
	s_cbranch_scc1 .LBB165_19
; %bb.12:
	s_add_i32 s18, s18, s16
	v_add_nc_u32_e32 v0, 1, v3
	v_add3_u32 v31, s18, v32, v31
	v_add_nc_u32_e32 v2, 1, v1
	v_add_nc_u32_e32 v4, 1, v8
	s_add_i32 s3, s4, -1
	s_branch .LBB165_14
.LBB165_13:                             ;   in Loop: Header=BB165_14 Depth=1
	s_or_b32 exec_lo, exec_lo, s0
	v_add_nc_u32_e32 v31, s16, v31
	v_add_nc_u32_e32 v0, 1, v0
	;; [unrolled: 1-line block ×4, first 2 shown]
	s_add_i32 s3, s3, -1
	s_delay_alu instid0(SALU_CYCLE_1)
	s_cmp_eq_u32 s3, 0
	s_cbranch_scc1 .LBB165_19
.LBB165_14:                             ; =>This Inner Loop Header: Depth=1
	v_cmp_gt_f32_e32 vcc_lo, v26, v23
	v_cndmask_b32_e32 v3, v23, v26, vcc_lo
	v_cndmask_b32_e32 v1, v20, v27, vcc_lo
	s_delay_alu instid0(VALU_DEP_2) | instskip(SKIP_1) | instid1(VALU_DEP_3)
	v_cmp_gt_f32_e32 vcc_lo, v25, v3
	v_cndmask_b32_e32 v3, v3, v25, vcc_lo
	v_cndmask_b32_e32 v1, v1, v28, vcc_lo
	s_delay_alu instid0(VALU_DEP_2) | instskip(SKIP_1) | instid1(VALU_DEP_3)
	v_cmp_gt_f32_e32 vcc_lo, v24, v3
	v_cndmask_b32_e32 v3, v3, v24, vcc_lo
	v_cndmask_b32_e32 v1, v1, v29, vcc_lo
	s_delay_alu instid0(VALU_DEP_2) | instskip(SKIP_1) | instid1(VALU_DEP_3)
	v_cmp_gt_f32_e32 vcc_lo, v22, v3
	v_cndmask_b32_e32 v3, v3, v22, vcc_lo
	v_cndmask_b32_e32 v1, v1, v30, vcc_lo
	s_delay_alu instid0(VALU_DEP_2) | instskip(SKIP_1) | instid1(VALU_DEP_3)
	v_cmp_gt_f32_e32 vcc_lo, v21, v3
	v_cndmask_b32_e32 v3, v3, v21, vcc_lo
	v_cndmask_b32_e32 v1, v1, v33, vcc_lo
	s_delay_alu instid0(VALU_DEP_2) | instskip(SKIP_1) | instid1(VALU_DEP_3)
	v_cmp_gt_f32_e32 vcc_lo, v19, v3
	v_cndmask_b32_e32 v3, v3, v19, vcc_lo
	v_cndmask_b32_e32 v1, v1, v34, vcc_lo
	s_delay_alu instid0(VALU_DEP_2) | instskip(SKIP_1) | instid1(VALU_DEP_3)
	v_cmp_gt_f32_e32 vcc_lo, v18, v3
	v_cndmask_b32_e32 v3, v3, v18, vcc_lo
	v_cndmask_b32_e32 v1, v1, v35, vcc_lo
	s_delay_alu instid0(VALU_DEP_2) | instskip(SKIP_1) | instid1(VALU_DEP_3)
	v_cmp_gt_f32_e32 vcc_lo, v17, v3
	v_cndmask_b32_e32 v3, v3, v17, vcc_lo
	v_cndmask_b32_e32 v1, v1, v36, vcc_lo
	s_delay_alu instid0(VALU_DEP_2) | instskip(SKIP_1) | instid1(VALU_DEP_3)
	v_cmp_gt_f32_e32 vcc_lo, v16, v3
	v_cndmask_b32_e32 v3, v3, v16, vcc_lo
	v_cndmask_b32_e32 v1, v1, v37, vcc_lo
	s_delay_alu instid0(VALU_DEP_2) | instskip(SKIP_1) | instid1(VALU_DEP_3)
	v_cmp_gt_f32_e32 vcc_lo, v15, v3
	v_cndmask_b32_e32 v3, v3, v15, vcc_lo
	v_cndmask_b32_e32 v1, v1, v38, vcc_lo
	s_delay_alu instid0(VALU_DEP_2) | instskip(SKIP_1) | instid1(VALU_DEP_3)
	v_cmp_gt_f32_e32 vcc_lo, v14, v3
	v_cndmask_b32_e32 v3, v3, v14, vcc_lo
	v_cndmask_b32_e32 v1, v1, v39, vcc_lo
	s_delay_alu instid0(VALU_DEP_2) | instskip(SKIP_1) | instid1(VALU_DEP_3)
	v_cmp_gt_f32_e32 vcc_lo, v13, v3
	v_cndmask_b32_e32 v3, v3, v13, vcc_lo
	v_cndmask_b32_e32 v1, v1, v40, vcc_lo
	s_delay_alu instid0(VALU_DEP_2) | instskip(SKIP_1) | instid1(VALU_DEP_3)
	v_cmp_gt_f32_e32 vcc_lo, v12, v3
	v_cndmask_b32_e32 v3, v3, v12, vcc_lo
	v_cndmask_b32_e32 v1, v1, v41, vcc_lo
	s_delay_alu instid0(VALU_DEP_2) | instskip(SKIP_1) | instid1(VALU_DEP_3)
	v_cmp_gt_f32_e32 vcc_lo, v7, v3
	v_cndmask_b32_e32 v3, v3, v7, vcc_lo
	v_cndmask_b32_e32 v1, v1, v42, vcc_lo
	s_delay_alu instid0(VALU_DEP_2) | instskip(NEXT) | instid1(VALU_DEP_2)
	v_cmp_gt_f32_e32 vcc_lo, v6, v3
	v_cndmask_b32_e32 v5, v1, v43, vcc_lo
	v_cndmask_b32_e32 v1, v3, v6, vcc_lo
	s_delay_alu instid0(VALU_DEP_2) | instskip(NEXT) | instid1(VALU_DEP_2)
	v_mov_b32_dpp v32, v5 quad_perm:[1,0,3,2] row_mask:0xf bank_mask:0xf
	v_mov_b32_dpp v3, v1 quad_perm:[1,0,3,2] row_mask:0xf bank_mask:0xf
	s_delay_alu instid0(VALU_DEP_2) | instskip(NEXT) | instid1(VALU_DEP_2)
	v_cmp_lt_i32_e32 vcc_lo, v32, v5
	v_cmp_eq_f32_e64 s0, v1, v3
	v_cmp_lt_f32_e64 s1, v1, v3
	s_delay_alu instid0(VALU_DEP_2)
	s_and_b32 s0, s0, vcc_lo
	s_delay_alu instid0(VALU_DEP_1) | instid1(SALU_CYCLE_1)
	s_or_b32 vcc_lo, s1, s0
	v_cndmask_b32_e32 v32, v5, v32, vcc_lo
	s_and_saveexec_b32 s1, s2
	s_cbranch_execz .LBB165_16
; %bb.15:                               ;   in Loop: Header=BB165_14 Depth=1
	v_cndmask_b32_e32 v1, v1, v3, vcc_lo
	s_delay_alu instid0(VALU_DEP_2) | instskip(SKIP_3) | instid1(VALU_DEP_3)
	v_cmp_le_i32_e32 vcc_lo, s5, v32
	v_cmp_gt_i32_e64 s0, s6, v32
	v_subrev_nc_u32_e32 v51, s5, v32
	v_ashrrev_i32_e32 v5, 31, v4
	s_and_b32 s0, vcc_lo, s0
	s_delay_alu instid0(SALU_CYCLE_1) | instskip(SKIP_1) | instid1(VALU_DEP_1)
	s_and_b32 vcc_lo, s17, s0
	v_sub_f32_e32 v50, v1, v10
	v_mul_f32_e32 v1, 0x3fb8aa3b, v50
	s_delay_alu instid0(VALU_DEP_1) | instskip(SKIP_1) | instid1(VALU_DEP_2)
	v_fma_f32 v3, 0x3fb8aa3b, v50, -v1
	v_rndne_f32_e32 v44, v1
	v_fmac_f32_e32 v3, 0x32a5705f, v50
	s_delay_alu instid0(VALU_DEP_2) | instskip(SKIP_2) | instid1(VALU_DEP_3)
	v_sub_f32_e32 v1, v1, v44
	v_cvt_i32_f32_e32 v49, v44
	v_lshlrev_b64 v[44:45], 2, v[4:5]
	v_add_f32_e32 v1, v1, v3
	v_ashrrev_i32_e32 v3, 31, v2
	s_delay_alu instid0(VALU_DEP_2) | instskip(SKIP_1) | instid1(VALU_DEP_2)
	v_exp_f32_e32 v48, v1
	v_ashrrev_i32_e32 v1, 31, v0
	v_lshlrev_b64 v[46:47], 2, v[2:3]
	s_waitcnt_depctr 0xfff
	v_ldexp_f32 v3, v48, v49
	v_lshlrev_b64 v[48:49], 2, v[0:1]
	v_cndmask_b32_e32 v1, 32, v51, vcc_lo
	v_cmp_ngt_f32_e32 vcc_lo, 0xc2ce8ed0, v50
	s_delay_alu instid0(VALU_DEP_4) | instskip(SKIP_3) | instid1(VALU_DEP_4)
	v_cndmask_b32_e32 v3, 0, v3, vcc_lo
	v_add_co_u32 v44, vcc_lo, s12, v44
	v_add_co_ci_u32_e32 v45, vcc_lo, s13, v45, vcc_lo
	v_cmp_nlt_f32_e32 vcc_lo, 0x42b17218, v50
	v_cndmask_b32_e32 v3, 0x7f800000, v3, vcc_lo
	s_waitcnt lgkmcnt(0)
	v_add_co_u32 v46, vcc_lo, s8, v46
	v_add_co_ci_u32_e32 v47, vcc_lo, s9, v47, vcc_lo
	v_add_co_u32 v48, vcc_lo, s10, v48
	v_add_f32_e32 v9, v9, v3
	v_add_co_ci_u32_e32 v49, vcc_lo, s11, v49, vcc_lo
	global_store_b32 v[44:45], v3, off
	global_store_b32 v[46:47], v1, off
	;; [unrolled: 1-line block ×3, first 2 shown]
.LBB165_16:                             ;   in Loop: Header=BB165_14 Depth=1
	s_or_b32 exec_lo, exec_lo, s1
	s_delay_alu instid0(VALU_DEP_1) | instskip(SKIP_1) | instid1(VALU_DEP_1)
	v_ashrrev_i32_e32 v3, 31, v32
	s_mov_b32 s0, exec_lo
	v_lshrrev_b32_e32 v1, 28, v3
	s_delay_alu instid0(VALU_DEP_1) | instskip(NEXT) | instid1(VALU_DEP_1)
	v_add_nc_u32_e32 v5, v32, v1
	v_ashrrev_i32_e32 v1, 4, v5
	v_lshrrev_b32_e32 v5, 31, v5
	s_delay_alu instid0(VALU_DEP_1) | instskip(NEXT) | instid1(VALU_DEP_1)
	v_add_nc_u32_e32 v5, v1, v5
	v_and_b32_e32 v5, -2, v5
	s_delay_alu instid0(VALU_DEP_1) | instskip(NEXT) | instid1(VALU_DEP_1)
	v_sub_nc_u32_e32 v5, v1, v5
	v_cmpx_eq_u32_e64 v11, v5
	s_cbranch_execz .LBB165_13
; %bb.17:                               ;   in Loop: Header=BB165_14 Depth=1
	v_lshrrev_b32_e32 v3, 27, v3
	v_lshlrev_b32_e32 v1, 4, v1
	s_delay_alu instid0(VALU_DEP_2) | instskip(NEXT) | instid1(VALU_DEP_2)
	v_add_nc_u32_e32 v3, v32, v3
	v_sub_nc_u32_e32 v1, v32, v1
	s_delay_alu instid0(VALU_DEP_2) | instskip(NEXT) | instid1(VALU_DEP_1)
	v_ashrrev_i32_e32 v3, 5, v3
	v_lshl_add_u32 v1, v3, 4, v1
	s_delay_alu instid0(VALU_DEP_1)
	v_cmp_ne_u32_e32 vcc_lo, 15, v1
	v_cndmask_b32_e32 v6, 0xff800000, v6, vcc_lo
	v_cmp_ne_u32_e32 vcc_lo, 14, v1
	v_cndmask_b32_e32 v7, 0xff800000, v7, vcc_lo
	;; [unrolled: 2-line block ×16, first 2 shown]
	s_branch .LBB165_13
.LBB165_18:
	v_mov_b32_e32 v9, 0
.LBB165_19:
	v_sub_f32_e32 v5, v24, v10
	v_sub_f32_e32 v0, v23, v10
	;; [unrolled: 1-line block ×5, first 2 shown]
	v_mul_f32_e32 v27, 0x3fb8aa3b, v5
	v_dual_sub_f32 v1, v26, v10 :: v_dual_mul_f32 v2, 0x3fb8aa3b, v0
	v_sub_f32_e32 v3, v25, v10
	v_cmp_ngt_f32_e32 vcc_lo, 0xc2ce8ed0, v0
	s_delay_alu instid0(VALU_DEP_4) | instskip(NEXT) | instid1(VALU_DEP_4)
	v_rndne_f32_e32 v30, v27
	v_mul_f32_e32 v4, 0x3fb8aa3b, v1
	v_rndne_f32_e32 v23, v2
	v_mul_f32_e32 v26, 0x3fb8aa3b, v3
	v_fma_f32 v29, 0x3fb8aa3b, v5, -v27
	v_sub_f32_e32 v20, v22, v10
	v_fma_f32 v22, 0x3fb8aa3b, v0, -v2
	v_fma_f32 v24, 0x3fb8aa3b, v1, -v4
	v_rndne_f32_e32 v25, v4
	v_dual_fmac_f32 v29, 0x32a5705f, v5 :: v_dual_sub_f32 v2, v2, v23
	s_delay_alu instid0(VALU_DEP_4) | instskip(NEXT) | instid1(VALU_DEP_4)
	v_fmac_f32_e32 v22, 0x32a5705f, v0
	v_fmac_f32_e32 v24, 0x32a5705f, v1
	s_delay_alu instid0(VALU_DEP_4) | instskip(SKIP_1) | instid1(VALU_DEP_4)
	v_dual_sub_f32 v4, v4, v25 :: v_dual_sub_f32 v21, v21, v10
	v_cvt_i32_f32_e32 v23, v23
	v_add_f32_e32 v2, v2, v22
	v_fma_f32 v22, 0x3fb8aa3b, v3, -v26
	s_delay_alu instid0(VALU_DEP_4)
	v_add_f32_e32 v4, v4, v24
	v_rndne_f32_e32 v24, v26
	v_cvt_i32_f32_e32 v25, v25
	v_exp_f32_e32 v2, v2
	v_dual_fmac_f32 v22, 0x32a5705f, v3 :: v_dual_sub_f32 v19, v19, v10
	v_exp_f32_e32 v4, v4
	v_sub_f32_e32 v26, v26, v24
	v_cvt_i32_f32_e32 v24, v24
	v_sub_f32_e32 v15, v15, v10
	v_sub_f32_e32 v14, v14, v10
	s_delay_alu instid0(VALU_DEP_4) | instskip(NEXT) | instid1(TRANS32_DEP_2)
	v_add_f32_e32 v22, v26, v22
	v_ldexp_f32 v2, v2, v23
	v_sub_f32_e32 v23, v27, v30
	s_delay_alu instid0(TRANS32_DEP_1) | instskip(NEXT) | instid1(VALU_DEP_4)
	v_ldexp_f32 v4, v4, v25
	v_exp_f32_e32 v22, v22
	s_delay_alu instid0(VALU_DEP_3) | instskip(SKIP_1) | instid1(VALU_DEP_3)
	v_cndmask_b32_e32 v2, 0, v2, vcc_lo
	v_cmp_ngt_f32_e32 vcc_lo, 0xc2ce8ed0, v1
	v_dual_add_f32 v23, v23, v29 :: v_dual_cndmask_b32 v4, 0, v4
	v_cmp_nlt_f32_e32 vcc_lo, 0x42b17218, v0
	s_delay_alu instid0(VALU_DEP_2) | instskip(SKIP_3) | instid1(TRANS32_DEP_2)
	v_exp_f32_e32 v23, v23
	v_cndmask_b32_e32 v0, 0x7f800000, v2, vcc_lo
	v_cmp_nlt_f32_e32 vcc_lo, 0x42b17218, v1
	v_cndmask_b32_e32 v1, 0x7f800000, v4, vcc_lo
	v_ldexp_f32 v4, v22, v24
	v_cmp_ngt_f32_e32 vcc_lo, 0xc2ce8ed0, v3
	s_delay_alu instid0(VALU_DEP_2)
	v_dual_add_f32 v0, v0, v1 :: v_dual_cndmask_b32 v1, 0, v4
	v_cvt_i32_f32_e32 v4, v30
	v_cmp_nlt_f32_e32 vcc_lo, 0x42b17218, v3
	s_delay_alu instid0(TRANS32_DEP_1) | instid1(VALU_DEP_2)
	v_ldexp_f32 v3, v23, v4
	s_delay_alu instid0(VALU_DEP_4) | instskip(SKIP_3) | instid1(VALU_DEP_4)
	v_cndmask_b32_e32 v1, 0x7f800000, v1, vcc_lo
	v_cmp_ngt_f32_e32 vcc_lo, 0xc2ce8ed0, v5
	v_mul_f32_e32 v28, 0x3fb8aa3b, v20
	v_mul_f32_e32 v4, 0x3fb8aa3b, v21
	v_dual_add_f32 v0, v0, v1 :: v_dual_cndmask_b32 v1, 0, v3
	s_delay_alu instid0(VALU_DEP_3) | instskip(SKIP_1) | instid1(VALU_DEP_4)
	v_fma_f32 v2, 0x3fb8aa3b, v20, -v28
	v_rndne_f32_e32 v22, v28
	v_fma_f32 v3, 0x3fb8aa3b, v21, -v4
	v_rndne_f32_e32 v23, v4
	v_cmp_nlt_f32_e32 vcc_lo, 0x42b17218, v5
	v_fmac_f32_e32 v2, 0x32a5705f, v20
	v_sub_f32_e32 v24, v28, v22
	v_cvt_i32_f32_e32 v5, v22
	v_fmac_f32_e32 v3, 0x32a5705f, v21
	v_dual_cndmask_b32 v1, 0x7f800000, v1 :: v_dual_sub_f32 v4, v4, v23
	s_delay_alu instid0(VALU_DEP_4) | instskip(SKIP_1) | instid1(VALU_DEP_3)
	v_add_f32_e32 v2, v24, v2
	v_cmp_ngt_f32_e32 vcc_lo, 0xc2ce8ed0, v20
	v_add_f32_e32 v0, v0, v1
	s_delay_alu instid0(VALU_DEP_3) | instskip(SKIP_2) | instid1(VALU_DEP_1)
	v_exp_f32_e32 v2, v2
	s_waitcnt_depctr 0xfff
	v_ldexp_f32 v1, v2, v5
	v_dual_add_f32 v2, v4, v3 :: v_dual_cndmask_b32 v1, 0, v1
	s_delay_alu instid0(VALU_DEP_1) | instskip(SKIP_2) | instid1(VALU_DEP_3)
	v_exp_f32_e32 v2, v2
	v_cmp_nlt_f32_e32 vcc_lo, 0x42b17218, v20
	v_cvt_i32_f32_e32 v20, v23
	v_cndmask_b32_e32 v1, 0x7f800000, v1, vcc_lo
	v_cmp_ngt_f32_e32 vcc_lo, 0xc2ce8ed0, v21
	s_delay_alu instid0(VALU_DEP_2) | instskip(SKIP_2) | instid1(VALU_DEP_1)
	v_add_f32_e32 v0, v0, v1
	s_waitcnt_depctr 0xfff
	v_ldexp_f32 v1, v2, v20
	v_cndmask_b32_e32 v1, 0, v1, vcc_lo
	v_cmp_nlt_f32_e32 vcc_lo, 0x42b17218, v21
	v_mul_f32_e32 v21, 0x3fb8aa3b, v14
	s_delay_alu instid0(VALU_DEP_3) | instskip(SKIP_2) | instid1(VALU_DEP_3)
	v_cndmask_b32_e32 v1, 0x7f800000, v1, vcc_lo
	v_cmp_ngt_f32_e32 vcc_lo, 0xc2ce8ed0, v19
	v_mul_f32_e32 v22, 0x3fb8aa3b, v19
	v_add_f32_e32 v0, v0, v1
	s_delay_alu instid0(VALU_DEP_2) | instskip(SKIP_1) | instid1(VALU_DEP_2)
	v_fma_f32 v3, 0x3fb8aa3b, v19, -v22
	v_rndne_f32_e32 v4, v22
	v_fmac_f32_e32 v3, 0x32a5705f, v19
	s_delay_alu instid0(VALU_DEP_2) | instskip(SKIP_1) | instid1(VALU_DEP_2)
	v_sub_f32_e32 v5, v22, v4
	v_cvt_i32_f32_e32 v4, v4
	v_add_f32_e32 v3, v5, v3
	s_delay_alu instid0(VALU_DEP_1) | instskip(SKIP_2) | instid1(VALU_DEP_1)
	v_exp_f32_e32 v2, v3
	s_waitcnt_depctr 0xfff
	v_ldexp_f32 v2, v2, v4
	v_cndmask_b32_e32 v1, 0, v2, vcc_lo
	v_cmp_nlt_f32_e32 vcc_lo, 0x42b17218, v19
	s_delay_alu instid0(VALU_DEP_2) | instskip(SKIP_2) | instid1(VALU_DEP_3)
	v_cndmask_b32_e32 v1, 0x7f800000, v1, vcc_lo
	v_mul_f32_e32 v5, 0x3fb8aa3b, v18
	v_cmp_ngt_f32_e32 vcc_lo, 0xc2ce8ed0, v18
	v_add_f32_e32 v0, v0, v1
	s_delay_alu instid0(VALU_DEP_3) | instskip(SKIP_1) | instid1(VALU_DEP_2)
	v_fma_f32 v3, 0x3fb8aa3b, v18, -v5
	v_rndne_f32_e32 v20, v5
	v_fmac_f32_e32 v3, 0x32a5705f, v18
	s_delay_alu instid0(VALU_DEP_2) | instskip(NEXT) | instid1(VALU_DEP_1)
	v_sub_f32_e32 v5, v5, v20
	v_add_f32_e32 v3, v5, v3
	v_sub_f32_e32 v5, v16, v10
	v_cvt_i32_f32_e32 v16, v20
	s_delay_alu instid0(VALU_DEP_3) | instskip(SKIP_2) | instid1(VALU_DEP_1)
	v_exp_f32_e32 v2, v3
	s_waitcnt_depctr 0xfff
	v_ldexp_f32 v1, v2, v16
	v_dual_sub_f32 v4, v17, v10 :: v_dual_cndmask_b32 v1, 0, v1
	s_delay_alu instid0(VALU_DEP_1) | instskip(SKIP_1) | instid1(VALU_DEP_2)
	v_mul_f32_e32 v3, 0x3fb8aa3b, v4
	v_cmp_nlt_f32_e32 vcc_lo, 0x42b17218, v18
	v_rndne_f32_e32 v19, v3
	v_fma_f32 v17, 0x3fb8aa3b, v4, -v3
	s_delay_alu instid0(VALU_DEP_2) | instskip(SKIP_1) | instid1(VALU_DEP_3)
	v_sub_f32_e32 v2, v3, v19
	v_mul_f32_e32 v20, 0x3fb8aa3b, v5
	v_fmac_f32_e32 v17, 0x32a5705f, v4
	v_cvt_i32_f32_e32 v19, v19
	s_delay_alu instid0(VALU_DEP_3) | instskip(SKIP_1) | instid1(VALU_DEP_4)
	v_fma_f32 v3, 0x3fb8aa3b, v5, -v20
	v_rndne_f32_e32 v16, v20
	v_add_f32_e32 v2, v2, v17
	s_delay_alu instid0(VALU_DEP_3) | instskip(NEXT) | instid1(VALU_DEP_3)
	v_fmac_f32_e32 v3, 0x32a5705f, v5
	v_dual_sub_f32 v17, v20, v16 :: v_dual_mul_f32 v20, 0x3fb8aa3b, v15
	s_delay_alu instid0(VALU_DEP_3) | instskip(NEXT) | instid1(VALU_DEP_1)
	v_exp_f32_e32 v2, v2
	v_add_f32_e32 v3, v17, v3
	s_delay_alu instid0(VALU_DEP_2) | instskip(SKIP_4) | instid1(VALU_DEP_3)
	v_fma_f32 v17, 0x3fb8aa3b, v15, -v20
	v_rndne_f32_e32 v18, v20
	v_cndmask_b32_e32 v1, 0x7f800000, v1, vcc_lo
	v_cmp_ngt_f32_e32 vcc_lo, 0xc2ce8ed0, v4
	v_exp_f32_e32 v3, v3
	v_dual_fmac_f32 v17, 0x32a5705f, v15 :: v_dual_sub_f32 v20, v20, v18
	s_delay_alu instid0(VALU_DEP_3) | instskip(NEXT) | instid1(TRANS32_DEP_2)
	v_add_f32_e32 v0, v0, v1
	v_ldexp_f32 v1, v2, v19
	v_cvt_i32_f32_e32 v2, v16
	v_rndne_f32_e32 v19, v21
	v_add_f32_e32 v16, v20, v17
	v_fma_f32 v17, 0x3fb8aa3b, v14, -v21
	v_cndmask_b32_e32 v1, 0, v1, vcc_lo
	s_delay_alu instid0(TRANS32_DEP_1)
	v_ldexp_f32 v2, v3, v2
	v_cmp_nlt_f32_e32 vcc_lo, 0x42b17218, v4
	v_exp_f32_e32 v3, v16
	v_sub_f32_e32 v16, v21, v19
	v_cvt_i32_f32_e32 v4, v18
	v_fmac_f32_e32 v17, 0x32a5705f, v14
	v_cndmask_b32_e32 v1, 0x7f800000, v1, vcc_lo
	v_cmp_ngt_f32_e32 vcc_lo, 0xc2ce8ed0, v5
	s_delay_alu instid0(VALU_DEP_2) | instskip(NEXT) | instid1(TRANS32_DEP_1)
	v_add_f32_e32 v0, v0, v1
	v_ldexp_f32 v1, v3, v4
	v_cndmask_b32_e32 v2, 0, v2, vcc_lo
	v_cmp_nlt_f32_e32 vcc_lo, 0x42b17218, v5
	v_dual_sub_f32 v4, v13, v10 :: v_dual_mul_f32 v13, 0x3fb8aa3b, v12
	s_delay_alu instid0(VALU_DEP_3) | instskip(SKIP_1) | instid1(VALU_DEP_3)
	v_cndmask_b32_e32 v2, 0x7f800000, v2, vcc_lo
	v_cmp_ngt_f32_e32 vcc_lo, 0xc2ce8ed0, v15
	v_mul_f32_e32 v5, 0x3fb8aa3b, v4
	v_cndmask_b32_e32 v1, 0, v1, vcc_lo
	v_cmp_nlt_f32_e32 vcc_lo, 0x42b17218, v15
	v_add_f32_e32 v0, v0, v2
	v_cvt_i32_f32_e32 v2, v19
	s_delay_alu instid0(VALU_DEP_4) | instskip(SKIP_1) | instid1(VALU_DEP_2)
	v_cndmask_b32_e32 v1, 0x7f800000, v1, vcc_lo
	v_cmp_ngt_f32_e32 vcc_lo, 0xc2ce8ed0, v14
	v_add_f32_e32 v0, v0, v1
	v_fma_f32 v1, 0x3fb8aa3b, v4, -v5
	s_delay_alu instid0(VALU_DEP_1) | instskip(NEXT) | instid1(VALU_DEP_1)
	v_dual_add_f32 v16, v16, v17 :: v_dual_fmac_f32 v1, 0x32a5705f, v4
	v_exp_f32_e32 v3, v16
	s_waitcnt_depctr 0xfff
	v_ldexp_f32 v2, v3, v2
	v_rndne_f32_e32 v3, v5
	s_delay_alu instid0(VALU_DEP_1) | instskip(SKIP_2) | instid1(VALU_DEP_3)
	v_dual_cndmask_b32 v2, 0, v2 :: v_dual_sub_f32 v5, v5, v3
	v_cmp_nlt_f32_e32 vcc_lo, 0x42b17218, v14
	v_cvt_i32_f32_e32 v3, v3
	v_dual_add_f32 v1, v5, v1 :: v_dual_cndmask_b32 v2, 0x7f800000, v2
	v_rndne_f32_e32 v5, v13
	v_cmp_ngt_f32_e32 vcc_lo, 0xc2ce8ed0, v4
	s_delay_alu instid0(VALU_DEP_3) | instskip(SKIP_4) | instid1(VALU_DEP_3)
	v_exp_f32_e32 v1, v1
	s_waitcnt_depctr 0xfff
	v_ldexp_f32 v1, v1, v3
	v_add_f32_e32 v0, v0, v2
	v_fma_f32 v2, 0x3fb8aa3b, v12, -v13
	v_cndmask_b32_e32 v1, 0, v1, vcc_lo
	v_cmp_nlt_f32_e32 vcc_lo, 0x42b17218, v4
	v_sub_f32_e32 v6, v6, v10
	s_delay_alu instid0(VALU_DEP_4)
	v_fmac_f32_e32 v2, 0x32a5705f, v12
	v_mul_f32_e32 v14, 0x3fb8aa3b, v7
	v_sub_f32_e32 v10, v13, v5
	v_cndmask_b32_e32 v1, 0x7f800000, v1, vcc_lo
	v_mul_f32_e32 v16, 0x3fb8aa3b, v6
	v_cvt_i32_f32_e32 v5, v5
	v_fma_f32 v13, 0x3fb8aa3b, v7, -v14
	v_rndne_f32_e32 v15, v14
	v_add_f32_e32 v2, v10, v2
	v_rndne_f32_e32 v17, v16
	s_delay_alu instid0(VALU_DEP_4) | instskip(NEXT) | instid1(VALU_DEP_4)
	v_dual_add_f32 v0, v0, v1 :: v_dual_fmac_f32 v13, 0x32a5705f, v7
	v_sub_f32_e32 v10, v14, v15
	s_delay_alu instid0(VALU_DEP_4) | instskip(SKIP_2) | instid1(VALU_DEP_3)
	v_exp_f32_e32 v2, v2
	v_fma_f32 v14, 0x3fb8aa3b, v6, -v16
	v_cvt_i32_f32_e32 v4, v15
	v_add_f32_e32 v3, v10, v13
	v_sub_f32_e32 v10, v16, v17
	s_delay_alu instid0(VALU_DEP_4) | instskip(SKIP_1) | instid1(VALU_DEP_4)
	v_fmac_f32_e32 v14, 0x32a5705f, v6
	v_cmp_ngt_f32_e32 vcc_lo, 0xc2ce8ed0, v12
	v_exp_f32_e32 v3, v3
	s_delay_alu instid0(TRANS32_DEP_2) | instskip(NEXT) | instid1(VALU_DEP_3)
	v_ldexp_f32 v2, v2, v5
	v_add_f32_e32 v10, v10, v14
	s_delay_alu instid0(VALU_DEP_2) | instskip(SKIP_1) | instid1(VALU_DEP_3)
	v_cndmask_b32_e32 v2, 0, v2, vcc_lo
	v_cmp_nlt_f32_e32 vcc_lo, 0x42b17218, v12
	v_exp_f32_e32 v5, v10
	s_waitcnt_depctr 0xfff
	v_ldexp_f32 v1, v3, v4
	v_cvt_i32_f32_e32 v3, v17
	v_cndmask_b32_e32 v2, 0x7f800000, v2, vcc_lo
	v_cmp_ngt_f32_e32 vcc_lo, 0xc2ce8ed0, v7
	s_delay_alu instid0(VALU_DEP_2) | instskip(SKIP_2) | instid1(VALU_DEP_3)
	v_dual_add_f32 v0, v0, v2 :: v_dual_cndmask_b32 v1, 0, v1
	v_cmp_nlt_f32_e32 vcc_lo, 0x42b17218, v7
	v_ldexp_f32 v3, v5, v3
	v_cndmask_b32_e32 v1, 0x7f800000, v1, vcc_lo
	v_cmp_ngt_f32_e32 vcc_lo, 0xc2ce8ed0, v6
	s_delay_alu instid0(VALU_DEP_2) | instskip(NEXT) | instid1(VALU_DEP_4)
	v_add_f32_e32 v0, v0, v1
	v_cndmask_b32_e32 v2, 0, v3, vcc_lo
	v_cmp_nlt_f32_e32 vcc_lo, 0x42b17218, v6
	s_delay_alu instid0(VALU_DEP_2) | instskip(SKIP_1) | instid1(VALU_DEP_2)
	v_cndmask_b32_e32 v1, 0x7f800000, v2, vcc_lo
	v_cmp_eq_u32_e32 vcc_lo, 0, v11
	v_add_f32_e32 v0, v0, v1
	s_delay_alu instid0(VALU_DEP_1)
	v_mov_b32_dpp v1, v0 quad_perm:[1,0,3,2] row_mask:0xf bank_mask:0xf
	s_and_b32 exec_lo, exec_lo, vcc_lo
	s_cbranch_execz .LBB165_24
; %bb.20:
	s_delay_alu instid0(VALU_DEP_1) | instskip(NEXT) | instid1(VALU_DEP_1)
	v_add_f32_e32 v0, v0, v1
	v_add_f32_e32 v0, v9, v0
	s_delay_alu instid0(VALU_DEP_1)
	v_cmp_neq_f32_e32 vcc_lo, 0, v0
	s_and_b32 exec_lo, exec_lo, vcc_lo
	s_cbranch_execz .LBB165_24
; %bb.21:
	s_and_not1_b32 vcc_lo, exec_lo, s7
	s_cbranch_vccnz .LBB165_24
; %bb.22:
	v_div_scale_f32 v1, null, v0, v0, 1.0
	v_div_scale_f32 v4, vcc_lo, 1.0, v0, 1.0
	v_ashrrev_i32_e32 v9, 31, v8
	s_delay_alu instid0(VALU_DEP_3) | instskip(SKIP_2) | instid1(VALU_DEP_1)
	v_rcp_f32_e32 v2, v1
	s_waitcnt_depctr 0xfff
	v_fma_f32 v3, -v1, v2, 1.0
	v_fmac_f32_e32 v2, v3, v2
	s_delay_alu instid0(VALU_DEP_1) | instskip(NEXT) | instid1(VALU_DEP_1)
	v_mul_f32_e32 v3, v4, v2
	v_fma_f32 v5, -v1, v3, v4
	s_delay_alu instid0(VALU_DEP_1) | instskip(NEXT) | instid1(VALU_DEP_1)
	v_fmac_f32_e32 v3, v5, v2
	v_fma_f32 v1, -v1, v3, v4
	s_delay_alu instid0(VALU_DEP_1) | instskip(SKIP_1) | instid1(VALU_DEP_2)
	v_div_fmas_f32 v1, v1, v2, v3
	v_lshlrev_b64 v[3:4], 2, v[8:9]
	v_div_fixup_f32 v2, v1, v0, 1.0
	s_delay_alu instid0(VALU_DEP_2) | instskip(NEXT) | instid1(VALU_DEP_3)
	v_add_co_u32 v0, vcc_lo, s12, v3
	v_add_co_ci_u32_e32 v1, vcc_lo, s13, v4, vcc_lo
.LBB165_23:                             ; =>This Inner Loop Header: Depth=1
	global_load_b32 v3, v[0:1], off
	s_add_i32 s4, s4, -1
	s_delay_alu instid0(SALU_CYCLE_1)
	s_cmp_lg_u32 s4, 0
	s_waitcnt vmcnt(0)
	v_mul_f32_e32 v3, v2, v3
	global_store_b32 v[0:1], v3, off
	v_add_co_u32 v0, vcc_lo, v0, 4
	v_add_co_ci_u32_e32 v1, vcc_lo, 0, v1, vcc_lo
	s_cbranch_scc1 .LBB165_23
.LBB165_24:
	s_nop 0
	s_sendmsg sendmsg(MSG_DEALLOC_VGPRS)
	s_endpgm
	.section	.rodata,"a",@progbits
	.p2align	6, 0x0
	.amdhsa_kernel _ZN4vllm3moe17topkGatingSoftmaxIDF16_Li16ELi32ELi8ELi32ELb0ELi8ELNS0_23SharedExpertScoringFuncE1EEEvPKT_PKbPfiPiS9_iiiiii
		.amdhsa_group_segment_fixed_size 0
		.amdhsa_private_segment_fixed_size 0
		.amdhsa_kernarg_size 72
		.amdhsa_user_sgpr_count 15
		.amdhsa_user_sgpr_dispatch_ptr 0
		.amdhsa_user_sgpr_queue_ptr 0
		.amdhsa_user_sgpr_kernarg_segment_ptr 1
		.amdhsa_user_sgpr_dispatch_id 0
		.amdhsa_user_sgpr_private_segment_size 0
		.amdhsa_wavefront_size32 1
		.amdhsa_uses_dynamic_stack 0
		.amdhsa_enable_private_segment 0
		.amdhsa_system_sgpr_workgroup_id_x 1
		.amdhsa_system_sgpr_workgroup_id_y 0
		.amdhsa_system_sgpr_workgroup_id_z 0
		.amdhsa_system_sgpr_workgroup_info 0
		.amdhsa_system_vgpr_workitem_id 1
		.amdhsa_next_free_vgpr 52
		.amdhsa_next_free_sgpr 19
		.amdhsa_reserve_vcc 1
		.amdhsa_float_round_mode_32 0
		.amdhsa_float_round_mode_16_64 0
		.amdhsa_float_denorm_mode_32 3
		.amdhsa_float_denorm_mode_16_64 3
		.amdhsa_dx10_clamp 1
		.amdhsa_ieee_mode 1
		.amdhsa_fp16_overflow 0
		.amdhsa_workgroup_processor_mode 1
		.amdhsa_memory_ordered 1
		.amdhsa_forward_progress 0
		.amdhsa_shared_vgpr_count 0
		.amdhsa_exception_fp_ieee_invalid_op 0
		.amdhsa_exception_fp_denorm_src 0
		.amdhsa_exception_fp_ieee_div_zero 0
		.amdhsa_exception_fp_ieee_overflow 0
		.amdhsa_exception_fp_ieee_underflow 0
		.amdhsa_exception_fp_ieee_inexact 0
		.amdhsa_exception_int_div_zero 0
	.end_amdhsa_kernel
	.section	.text._ZN4vllm3moe17topkGatingSoftmaxIDF16_Li16ELi32ELi8ELi32ELb0ELi8ELNS0_23SharedExpertScoringFuncE1EEEvPKT_PKbPfiPiS9_iiiiii,"axG",@progbits,_ZN4vllm3moe17topkGatingSoftmaxIDF16_Li16ELi32ELi8ELi32ELb0ELi8ELNS0_23SharedExpertScoringFuncE1EEEvPKT_PKbPfiPiS9_iiiiii,comdat
.Lfunc_end165:
	.size	_ZN4vllm3moe17topkGatingSoftmaxIDF16_Li16ELi32ELi8ELi32ELb0ELi8ELNS0_23SharedExpertScoringFuncE1EEEvPKT_PKbPfiPiS9_iiiiii, .Lfunc_end165-_ZN4vllm3moe17topkGatingSoftmaxIDF16_Li16ELi32ELi8ELi32ELb0ELi8ELNS0_23SharedExpertScoringFuncE1EEEvPKT_PKbPfiPiS9_iiiiii
                                        ; -- End function
	.section	.AMDGPU.csdata,"",@progbits
; Kernel info:
; codeLenInByte = 4616
; NumSgprs: 21
; NumVgprs: 52
; ScratchSize: 0
; MemoryBound: 0
; FloatMode: 240
; IeeeMode: 1
; LDSByteSize: 0 bytes/workgroup (compile time only)
; SGPRBlocks: 2
; VGPRBlocks: 6
; NumSGPRsForWavesPerEU: 21
; NumVGPRsForWavesPerEU: 52
; Occupancy: 16
; WaveLimiterHint : 0
; COMPUTE_PGM_RSRC2:SCRATCH_EN: 0
; COMPUTE_PGM_RSRC2:USER_SGPR: 15
; COMPUTE_PGM_RSRC2:TRAP_HANDLER: 0
; COMPUTE_PGM_RSRC2:TGID_X_EN: 1
; COMPUTE_PGM_RSRC2:TGID_Y_EN: 0
; COMPUTE_PGM_RSRC2:TGID_Z_EN: 0
; COMPUTE_PGM_RSRC2:TIDIG_COMP_CNT: 1
	.section	.text._ZN4vllm3moe17topkGatingSoftmaxIDF16_Li16ELi64ELi8ELi32ELb1ELi0ELNS0_23SharedExpertScoringFuncE0EEEvPKT_PKbPfiPiS9_iiiiii,"axG",@progbits,_ZN4vllm3moe17topkGatingSoftmaxIDF16_Li16ELi64ELi8ELi32ELb1ELi0ELNS0_23SharedExpertScoringFuncE0EEEvPKT_PKbPfiPiS9_iiiiii,comdat
	.protected	_ZN4vllm3moe17topkGatingSoftmaxIDF16_Li16ELi64ELi8ELi32ELb1ELi0ELNS0_23SharedExpertScoringFuncE0EEEvPKT_PKbPfiPiS9_iiiiii ; -- Begin function _ZN4vllm3moe17topkGatingSoftmaxIDF16_Li16ELi64ELi8ELi32ELb1ELi0ELNS0_23SharedExpertScoringFuncE0EEEvPKT_PKbPfiPiS9_iiiiii
	.globl	_ZN4vllm3moe17topkGatingSoftmaxIDF16_Li16ELi64ELi8ELi32ELb1ELi0ELNS0_23SharedExpertScoringFuncE0EEEvPKT_PKbPfiPiS9_iiiiii
	.p2align	8
	.type	_ZN4vllm3moe17topkGatingSoftmaxIDF16_Li16ELi64ELi8ELi32ELb1ELi0ELNS0_23SharedExpertScoringFuncE0EEEvPKT_PKbPfiPiS9_iiiiii,@function
_ZN4vllm3moe17topkGatingSoftmaxIDF16_Li16ELi64ELi8ELi32ELb1ELi0ELNS0_23SharedExpertScoringFuncE0EEEvPKT_PKbPfiPiS9_iiiiii: ; @_ZN4vllm3moe17topkGatingSoftmaxIDF16_Li16ELi64ELi8ELi32ELb1ELi0ELNS0_23SharedExpertScoringFuncE0EEEvPKT_PKbPfiPiS9_iiiiii
; %bb.0:
	s_load_b32 s16, s[0:1], 0x18
	v_bfe_u32 v1, v0, 10, 10
	v_and_b32_e32 v0, 0x3ff, v0
	s_lshl_b32 s18, s15, 6
	s_mov_b32 s2, exec_lo
	s_delay_alu instid0(VALU_DEP_2) | instskip(NEXT) | instid1(VALU_DEP_2)
	v_lshlrev_b32_e32 v42, 3, v1
	v_lshrrev_b32_e32 v43, 2, v0
	s_delay_alu instid0(VALU_DEP_1) | instskip(SKIP_1) | instid1(VALU_DEP_1)
	v_add3_u32 v7, s18, v42, v43
	s_waitcnt lgkmcnt(0)
	v_cmpx_gt_i32_e64 s16, v7
	s_cbranch_execz .LBB166_20
; %bb.1:
	s_clause 0x1
	s_load_b128 s[4:7], s[0:1], 0x0
	s_load_b64 s[12:13], s[0:1], 0x10
	s_waitcnt lgkmcnt(0)
	s_cmp_eq_u64 s[6:7], 0
	s_cbranch_scc1 .LBB166_3
; %bb.2:
	v_ashrrev_i32_e32 v2, 31, v7
	v_add_co_u32 v1, vcc_lo, s6, v7
	s_delay_alu instid0(VALU_DEP_2) | instskip(SKIP_3) | instid1(VALU_DEP_1)
	v_add_co_ci_u32_e32 v2, vcc_lo, s7, v2, vcc_lo
	global_load_u8 v1, v[1:2], off
	s_waitcnt vmcnt(0)
	v_and_b32_e32 v1, 1, v1
	v_cmp_eq_u32_e32 vcc_lo, 1, v1
	s_xor_b32 s2, vcc_lo, -1
	s_delay_alu instid0(SALU_CYCLE_1)
	s_or_not1_b32 s17, s2, exec_lo
	s_branch .LBB166_4
.LBB166_3:
	s_mov_b32 s17, -1
.LBB166_4:
	s_load_b64 s[14:15], s[0:1], 0x40
	v_and_b32_e32 v8, 3, v0
	s_delay_alu instid0(VALU_DEP_1) | instskip(NEXT) | instid1(VALU_DEP_1)
	v_dual_mov_b32 v6, 0 :: v_dual_lshlrev_b32 v9, 4, v8
	v_or_b32_e32 v10, 1, v9
	v_or_b32_e32 v14, 2, v9
	s_waitcnt lgkmcnt(0)
	v_mul_lo_u32 v1, v7, s15
	s_delay_alu instid0(VALU_DEP_1) | instskip(NEXT) | instid1(VALU_DEP_1)
	v_ashrrev_i32_e32 v2, 31, v1
	v_lshlrev_b64 v[0:1], 1, v[1:2]
	v_lshlrev_b32_e32 v2, 5, v8
	s_delay_alu instid0(VALU_DEP_2) | instskip(NEXT) | instid1(VALU_DEP_3)
	v_add_co_u32 v0, vcc_lo, s4, v0
	v_add_co_ci_u32_e32 v1, vcc_lo, s5, v1, vcc_lo
	s_load_b128 s[4:7], s[0:1], 0x30
	s_delay_alu instid0(VALU_DEP_2) | instskip(NEXT) | instid1(VALU_DEP_2)
	v_add_co_u32 v4, vcc_lo, v0, v2
	v_add_co_ci_u32_e32 v5, vcc_lo, 0, v1, vcc_lo
	s_clause 0x1
	global_load_b128 v[0:3], v[4:5], off
	global_load_b128 v[35:38], v[4:5], off offset:16
	s_waitcnt vmcnt(1)
	v_lshrrev_b32_e32 v4, 16, v0
	v_cvt_f32_f16_e32 v11, v0
	v_cvt_f32_f16_e32 v13, v1
	;; [unrolled: 1-line block ×3, first 2 shown]
	v_lshrrev_b32_e32 v1, 16, v1
	v_cvt_f32_f16_e32 v12, v4
	v_cmp_lt_f16_e32 vcc_lo, v0, v4
	v_lshrrev_b32_e32 v2, 16, v2
	v_cvt_f32_f16_e32 v21, v3
	v_cvt_f32_f16_e32 v15, v1
	s_waitcnt vmcnt(0)
	v_cvt_f32_f16_e32 v25, v35
	v_cndmask_b32_e32 v4, v11, v12, vcc_lo
	v_cndmask_b32_e32 v0, v9, v10, vcc_lo
	v_cvt_f32_f16_e32 v19, v2
	v_lshrrev_b32_e32 v2, 16, v3
	v_cvt_f32_f16_e32 v29, v36
	v_cmp_lt_f32_e32 vcc_lo, v4, v13
	v_cvt_f32_f16_e32 v33, v37
	s_delay_alu instid0(VALU_DEP_4)
	v_cvt_f32_f16_e32 v23, v2
	v_lshrrev_b32_e32 v2, 16, v35
	v_cndmask_b32_e32 v1, v4, v13, vcc_lo
	v_cndmask_b32_e32 v0, v0, v14, vcc_lo
	v_or_b32_e32 v16, 3, v9
	v_or_b32_e32 v18, 4, v9
	;; [unrolled: 1-line block ×3, first 2 shown]
	v_cmp_lt_f32_e32 vcc_lo, v1, v15
	v_or_b32_e32 v22, 6, v9
	v_or_b32_e32 v24, 7, v9
	v_cvt_f32_f16_e32 v27, v2
	v_or_b32_e32 v26, 8, v9
	v_dual_cndmask_b32 v1, v1, v15 :: v_dual_cndmask_b32 v0, v0, v16
	v_or_b32_e32 v28, 9, v9
	v_lshrrev_b32_e32 v2, 16, v36
	v_or_b32_e32 v30, 10, v9
	s_delay_alu instid0(VALU_DEP_4)
	v_cmp_lt_f32_e32 vcc_lo, v1, v17
	v_or_b32_e32 v32, 11, v9
	v_or_b32_e32 v34, 12, v9
	v_cvt_f32_f16_e32 v31, v2
	v_lshrrev_b32_e32 v2, 16, v37
	v_dual_cndmask_b32 v1, v1, v17 :: v_dual_cndmask_b32 v0, v0, v18
	v_cvt_f32_f16_e32 v37, v38
	v_or_b32_e32 v36, 13, v9
	s_delay_alu instid0(VALU_DEP_4) | instskip(NEXT) | instid1(VALU_DEP_4)
	v_cvt_f32_f16_e32 v35, v2
	v_cmp_lt_f32_e32 vcc_lo, v1, v19
	v_lshrrev_b32_e32 v2, 16, v38
	v_or_b32_e32 v38, 14, v9
	v_or_b32_e32 v40, 15, v9
	v_dual_cndmask_b32 v1, v1, v19 :: v_dual_cndmask_b32 v0, v0, v20
	s_delay_alu instid0(VALU_DEP_4) | instskip(NEXT) | instid1(VALU_DEP_2)
	v_cvt_f32_f16_e32 v39, v2
	v_cmp_lt_f32_e32 vcc_lo, v1, v21
	s_delay_alu instid0(VALU_DEP_3) | instskip(NEXT) | instid1(VALU_DEP_1)
	v_dual_cndmask_b32 v1, v1, v21 :: v_dual_cndmask_b32 v0, v0, v22
	v_cmp_lt_f32_e32 vcc_lo, v1, v23
	s_delay_alu instid0(VALU_DEP_2) | instskip(NEXT) | instid1(VALU_DEP_1)
	v_dual_cndmask_b32 v1, v1, v23 :: v_dual_cndmask_b32 v0, v0, v24
	v_cmp_lt_f32_e32 vcc_lo, v1, v25
	s_delay_alu instid0(VALU_DEP_2) | instskip(NEXT) | instid1(VALU_DEP_1)
	;; [unrolled: 3-line block ×9, first 2 shown]
	v_dual_cndmask_b32 v1, v1, v39 :: v_dual_cndmask_b32 v0, v0, v40
	v_mov_b32_dpp v2, v1 quad_perm:[1,0,3,2] row_mask:0xf bank_mask:0xf
	s_delay_alu instid0(VALU_DEP_2) | instskip(NEXT) | instid1(VALU_DEP_2)
	v_mov_b32_dpp v3, v0 quad_perm:[1,0,3,2] row_mask:0xf bank_mask:0xf
	v_cmp_eq_f32_e64 s2, v1, v2
	s_delay_alu instid0(VALU_DEP_2) | instskip(SKIP_1) | instid1(VALU_DEP_3)
	v_cmp_lt_i32_e32 vcc_lo, v3, v0
	v_cmp_lt_f32_e64 s3, v1, v2
	s_and_b32 s2, s2, vcc_lo
	s_delay_alu instid0(VALU_DEP_1) | instid1(SALU_CYCLE_1)
	s_or_b32 vcc_lo, s3, s2
	s_waitcnt lgkmcnt(0)
	s_cmp_gt_i32 s4, 0
	v_cndmask_b32_e32 v2, v1, v2, vcc_lo
	v_cndmask_b32_e32 v0, v0, v3, vcc_lo
	v_cmp_eq_u32_e32 vcc_lo, 0, v8
	s_cselect_b32 s3, -1, 0
	s_cmp_lt_i32 s4, 1
	v_mov_b32_dpp v4, v2 quad_perm:[2,3,0,1] row_mask:0xf bank_mask:0xf
	v_mov_b32_dpp v41, v0 quad_perm:[2,3,0,1] row_mask:0xf bank_mask:0xf
	s_cbranch_scc1 .LBB166_16
; %bb.5:
	s_load_b128 s[8:11], s[0:1], 0x20
	s_delay_alu instid0(VALU_DEP_2) | instskip(NEXT) | instid1(VALU_DEP_2)
	v_cmp_eq_f32_e64 s0, v2, v4
	v_cmp_lt_i32_e64 s1, v41, v0
	v_cmp_lt_f32_e64 s2, v2, v4
	v_mul_lo_u32 v1, v7, s7
	v_mul_lo_u32 v3, v7, s14
	v_mul_lo_u32 v5, v7, s4
	s_and_b32 s0, s0, s1
	v_mov_b32_e32 v6, 0
	s_or_b32 s0, s2, s0
	s_delay_alu instid0(SALU_CYCLE_1)
	v_cndmask_b32_e64 v0, v0, v41, s0
	v_cndmask_b32_e64 v41, v2, v4, s0
	s_and_saveexec_b32 s2, vcc_lo
	s_cbranch_execz .LBB166_7
; %bb.6:
	s_delay_alu instid0(VALU_DEP_1)
	v_sub_f32_e32 v50, v41, v41
	v_cmp_le_i32_e64 s0, s5, v0
	v_cmp_gt_i32_e64 s1, s6, v0
	v_subrev_nc_u32_e32 v51, s5, v0
	v_ashrrev_i32_e32 v6, 31, v5
	v_mul_f32_e32 v2, 0x3fb8aa3b, v50
	s_delay_alu instid0(VALU_DEP_4) | instskip(NEXT) | instid1(SALU_CYCLE_1)
	s_and_b32 s0, s0, s1
	s_and_b32 s0, s17, s0
	s_delay_alu instid0(VALU_DEP_1) | instskip(SKIP_2) | instid1(VALU_DEP_3)
	v_rndne_f32_e32 v46, v2
	v_fma_f32 v4, 0x3fb8aa3b, v50, -v2
	v_lshlrev_b64 v[48:49], 2, v[5:6]
	v_sub_f32_e32 v2, v2, v46
	s_delay_alu instid0(VALU_DEP_3) | instskip(NEXT) | instid1(VALU_DEP_1)
	v_fmamk_f32 v4, v50, 0x32a5705f, v4
	v_add_f32_e32 v4, v2, v4
	v_ashrrev_i32_e32 v2, 31, v1
	s_delay_alu instid0(VALU_DEP_2) | instskip(NEXT) | instid1(VALU_DEP_1)
	v_exp_f32_e32 v52, v4
	v_lshlrev_b64 v[44:45], 2, v[1:2]
	v_ashrrev_i32_e32 v4, 31, v3
	v_cvt_i32_f32_e32 v2, v46
	s_delay_alu instid0(VALU_DEP_2) | instskip(SKIP_2) | instid1(VALU_DEP_1)
	v_lshlrev_b64 v[46:47], 2, v[3:4]
	v_cndmask_b32_e64 v4, 64, v51, s0
	v_add_co_u32 v44, s0, s12, v44
	v_add_co_ci_u32_e64 v45, s0, s13, v45, s0
	s_delay_alu instid0(TRANS32_DEP_1) | instskip(SKIP_1) | instid1(VALU_DEP_1)
	v_ldexp_f32 v2, v52, v2
	v_cmp_ngt_f32_e64 s0, 0xc2ce8ed0, v50
	v_cndmask_b32_e64 v2, 0, v2, s0
	s_waitcnt lgkmcnt(0)
	v_add_co_u32 v46, s0, s8, v46
	s_delay_alu instid0(VALU_DEP_1) | instskip(SKIP_1) | instid1(VALU_DEP_1)
	v_add_co_ci_u32_e64 v47, s0, s9, v47, s0
	v_cmp_nlt_f32_e64 s0, 0x42b17218, v50
	v_cndmask_b32_e64 v6, 0x7f800000, v2, s0
	v_add_co_u32 v48, s0, s10, v48
	s_delay_alu instid0(VALU_DEP_1)
	v_add_co_ci_u32_e64 v49, s0, s11, v49, s0
	global_store_b32 v[46:47], v4, off
	global_store_b32 v[44:45], v6, off
	;; [unrolled: 1-line block ×3, first 2 shown]
.LBB166_7:
	s_or_b32 exec_lo, exec_lo, s2
	v_ashrrev_i32_e32 v4, 31, v0
	s_mov_b32 s1, exec_lo
	s_delay_alu instid0(VALU_DEP_1) | instskip(NEXT) | instid1(VALU_DEP_1)
	v_lshrrev_b32_e32 v2, 28, v4
	v_add_nc_u32_e32 v2, v0, v2
	s_delay_alu instid0(VALU_DEP_1) | instskip(NEXT) | instid1(VALU_DEP_1)
	v_ashrrev_i32_e32 v2, 4, v2
	v_lshrrev_b32_e32 v44, 30, v2
	s_delay_alu instid0(VALU_DEP_1) | instskip(NEXT) | instid1(VALU_DEP_1)
	v_add_nc_u32_e32 v44, v2, v44
	v_and_b32_e32 v44, -4, v44
	s_delay_alu instid0(VALU_DEP_1) | instskip(NEXT) | instid1(VALU_DEP_1)
	v_sub_nc_u32_e32 v44, v2, v44
	v_cmpx_eq_u32_e64 v8, v44
	s_cbranch_execz .LBB166_9
; %bb.8:
	v_lshrrev_b32_e32 v4, 26, v4
	v_lshlrev_b32_e32 v2, 4, v2
	s_delay_alu instid0(VALU_DEP_2) | instskip(NEXT) | instid1(VALU_DEP_2)
	v_add_nc_u32_e32 v4, v0, v4
	v_sub_nc_u32_e32 v0, v0, v2
	s_delay_alu instid0(VALU_DEP_2) | instskip(NEXT) | instid1(VALU_DEP_1)
	v_ashrrev_i32_e32 v2, 6, v4
	v_lshl_add_u32 v0, v2, 4, v0
	s_delay_alu instid0(VALU_DEP_1) | instskip(NEXT) | instid1(VALU_DEP_1)
	v_cmp_ne_u32_e64 s0, 15, v0
	v_cndmask_b32_e64 v39, 0xff800000, v39, s0
	v_cmp_ne_u32_e64 s0, 14, v0
	s_delay_alu instid0(VALU_DEP_1) | instskip(SKIP_1) | instid1(VALU_DEP_1)
	v_cndmask_b32_e64 v37, 0xff800000, v37, s0
	v_cmp_ne_u32_e64 s0, 13, v0
	v_cndmask_b32_e64 v35, 0xff800000, v35, s0
	v_cmp_ne_u32_e64 s0, 12, v0
	s_delay_alu instid0(VALU_DEP_1) | instskip(SKIP_1) | instid1(VALU_DEP_1)
	v_cndmask_b32_e64 v33, 0xff800000, v33, s0
	;; [unrolled: 5-line block ×7, first 2 shown]
	v_cmp_ne_u32_e64 s0, 1, v0
	v_cndmask_b32_e64 v12, 0xff800000, v12, s0
	v_cmp_ne_u32_e64 s0, 0, v0
	s_delay_alu instid0(VALU_DEP_1)
	v_cndmask_b32_e64 v11, 0xff800000, v11, s0
.LBB166_9:
	s_or_b32 exec_lo, exec_lo, s1
	s_cmp_eq_u32 s4, 1
	s_cbranch_scc1 .LBB166_16
; %bb.10:
	s_add_i32 s18, s18, s16
	v_add_nc_u32_e32 v0, 1, v5
	v_add3_u32 v42, s18, v43, v42
	v_add_nc_u32_e32 v2, 1, v3
	v_add_nc_u32_e32 v4, 1, v1
	s_add_i32 s14, s4, -1
	s_branch .LBB166_12
.LBB166_11:                             ;   in Loop: Header=BB166_12 Depth=1
	s_or_b32 exec_lo, exec_lo, s1
	v_add_nc_u32_e32 v42, s16, v42
	v_add_nc_u32_e32 v0, 1, v0
	v_add_nc_u32_e32 v2, 1, v2
	v_add_nc_u32_e32 v4, 1, v4
	s_add_i32 s14, s14, -1
	s_delay_alu instid0(SALU_CYCLE_1)
	s_cmp_eq_u32 s14, 0
	s_cbranch_scc1 .LBB166_16
.LBB166_12:                             ; =>This Inner Loop Header: Depth=1
	v_cmp_gt_f32_e64 s0, v12, v11
	s_delay_alu instid0(VALU_DEP_1) | instskip(SKIP_1) | instid1(VALU_DEP_2)
	v_cndmask_b32_e64 v3, v11, v12, s0
	v_cndmask_b32_e64 v1, v9, v10, s0
	v_cmp_gt_f32_e64 s0, v13, v3
	s_delay_alu instid0(VALU_DEP_1) | instskip(NEXT) | instid1(VALU_DEP_3)
	v_cndmask_b32_e64 v3, v3, v13, s0
	v_cndmask_b32_e64 v1, v1, v14, s0
	s_delay_alu instid0(VALU_DEP_2) | instskip(NEXT) | instid1(VALU_DEP_1)
	v_cmp_gt_f32_e64 s0, v15, v3
	v_cndmask_b32_e64 v3, v3, v15, s0
	s_delay_alu instid0(VALU_DEP_3) | instskip(NEXT) | instid1(VALU_DEP_2)
	v_cndmask_b32_e64 v1, v1, v16, s0
	v_cmp_gt_f32_e64 s0, v17, v3
	s_delay_alu instid0(VALU_DEP_1) | instskip(NEXT) | instid1(VALU_DEP_3)
	v_cndmask_b32_e64 v3, v3, v17, s0
	v_cndmask_b32_e64 v1, v1, v18, s0
	s_delay_alu instid0(VALU_DEP_2) | instskip(NEXT) | instid1(VALU_DEP_1)
	v_cmp_gt_f32_e64 s0, v19, v3
	v_cndmask_b32_e64 v3, v3, v19, s0
	s_delay_alu instid0(VALU_DEP_3) | instskip(NEXT) | instid1(VALU_DEP_2)
	;; [unrolled: 9-line block ×6, first 2 shown]
	v_cndmask_b32_e64 v1, v1, v36, s0
	v_cmp_gt_f32_e64 s0, v37, v3
	s_delay_alu instid0(VALU_DEP_1) | instskip(NEXT) | instid1(VALU_DEP_3)
	v_cndmask_b32_e64 v3, v3, v37, s0
	v_cndmask_b32_e64 v1, v1, v38, s0
	s_delay_alu instid0(VALU_DEP_2) | instskip(NEXT) | instid1(VALU_DEP_1)
	v_cmp_gt_f32_e64 s0, v39, v3
	v_cndmask_b32_e64 v5, v1, v40, s0
	v_cndmask_b32_e64 v1, v3, v39, s0
	s_delay_alu instid0(VALU_DEP_2) | instskip(NEXT) | instid1(VALU_DEP_2)
	v_mov_b32_dpp v3, v5 quad_perm:[1,0,3,2] row_mask:0xf bank_mask:0xf
	v_mov_b32_dpp v43, v1 quad_perm:[1,0,3,2] row_mask:0xf bank_mask:0xf
	s_delay_alu instid0(VALU_DEP_2) | instskip(NEXT) | instid1(VALU_DEP_2)
	v_cmp_lt_i32_e64 s0, v3, v5
	v_cmp_eq_f32_e64 s1, v1, v43
	v_cmp_lt_f32_e64 s2, v1, v43
	s_delay_alu instid0(VALU_DEP_2)
	s_and_b32 s0, s1, s0
	s_delay_alu instid0(VALU_DEP_1) | instid1(SALU_CYCLE_1)
	s_or_b32 s0, s2, s0
	s_delay_alu instid0(SALU_CYCLE_1) | instskip(SKIP_1) | instid1(VALU_DEP_2)
	v_cndmask_b32_e64 v1, v1, v43, s0
	v_cndmask_b32_e64 v5, v5, v3, s0
	v_mov_b32_dpp v3, v1 quad_perm:[2,3,0,1] row_mask:0xf bank_mask:0xf
	s_delay_alu instid0(VALU_DEP_2) | instskip(NEXT) | instid1(VALU_DEP_2)
	v_mov_b32_dpp v43, v5 quad_perm:[2,3,0,1] row_mask:0xf bank_mask:0xf
	v_cmp_eq_f32_e64 s0, v1, v3
	s_delay_alu instid0(VALU_DEP_2) | instskip(SKIP_1) | instid1(VALU_DEP_2)
	v_cmp_lt_i32_e64 s1, v43, v5
	v_cmp_lt_f32_e64 s2, v1, v3
	s_and_b32 s0, s0, s1
	s_delay_alu instid0(VALU_DEP_1) | instid1(SALU_CYCLE_1)
	s_or_b32 s0, s2, s0
	s_delay_alu instid0(SALU_CYCLE_1)
	v_cndmask_b32_e64 v43, v5, v43, s0
	s_and_saveexec_b32 s2, vcc_lo
	s_cbranch_execz .LBB166_14
; %bb.13:                               ;   in Loop: Header=BB166_12 Depth=1
	v_cndmask_b32_e64 v1, v1, v3, s0
	s_delay_alu instid0(VALU_DEP_2) | instskip(SKIP_4) | instid1(VALU_DEP_4)
	v_cmp_le_i32_e64 s0, s5, v43
	v_cmp_gt_i32_e64 s1, s6, v43
	v_ashrrev_i32_e32 v5, 31, v4
	v_subrev_nc_u32_e32 v51, s5, v43
	v_sub_f32_e32 v50, v1, v41
	s_and_b32 s0, s0, s1
	s_delay_alu instid0(SALU_CYCLE_1) | instskip(NEXT) | instid1(VALU_DEP_1)
	s_and_b32 s0, s17, s0
	v_mul_f32_e32 v1, 0x3fb8aa3b, v50
	s_delay_alu instid0(VALU_DEP_1) | instskip(SKIP_1) | instid1(VALU_DEP_2)
	v_fma_f32 v3, 0x3fb8aa3b, v50, -v1
	v_rndne_f32_e32 v44, v1
	v_fmac_f32_e32 v3, 0x32a5705f, v50
	s_delay_alu instid0(VALU_DEP_2) | instskip(SKIP_2) | instid1(VALU_DEP_3)
	v_sub_f32_e32 v1, v1, v44
	v_cvt_i32_f32_e32 v49, v44
	v_lshlrev_b64 v[44:45], 2, v[4:5]
	v_add_f32_e32 v1, v1, v3
	v_ashrrev_i32_e32 v3, 31, v2
	s_delay_alu instid0(VALU_DEP_2) | instskip(SKIP_1) | instid1(VALU_DEP_2)
	v_exp_f32_e32 v48, v1
	v_ashrrev_i32_e32 v1, 31, v0
	v_lshlrev_b64 v[46:47], 2, v[2:3]
	s_waitcnt_depctr 0xfff
	v_ldexp_f32 v3, v48, v49
	v_lshlrev_b64 v[48:49], 2, v[0:1]
	v_cndmask_b32_e64 v1, 64, v51, s0
	v_cmp_ngt_f32_e64 s0, 0xc2ce8ed0, v50
	s_delay_alu instid0(VALU_DEP_1) | instskip(SKIP_1) | instid1(VALU_DEP_1)
	v_cndmask_b32_e64 v3, 0, v3, s0
	v_add_co_u32 v44, s0, s12, v44
	v_add_co_ci_u32_e64 v45, s0, s13, v45, s0
	v_cmp_nlt_f32_e64 s0, 0x42b17218, v50
	s_delay_alu instid0(VALU_DEP_1) | instskip(SKIP_2) | instid1(VALU_DEP_1)
	v_cndmask_b32_e64 v3, 0x7f800000, v3, s0
	s_waitcnt lgkmcnt(0)
	v_add_co_u32 v46, s0, s8, v46
	v_add_co_ci_u32_e64 v47, s0, s9, v47, s0
	s_delay_alu instid0(VALU_DEP_3) | instskip(SKIP_1) | instid1(VALU_DEP_1)
	v_add_f32_e32 v6, v6, v3
	v_add_co_u32 v48, s0, s10, v48
	v_add_co_ci_u32_e64 v49, s0, s11, v49, s0
	global_store_b32 v[44:45], v3, off
	global_store_b32 v[46:47], v1, off
	;; [unrolled: 1-line block ×3, first 2 shown]
.LBB166_14:                             ;   in Loop: Header=BB166_12 Depth=1
	s_or_b32 exec_lo, exec_lo, s2
	s_delay_alu instid0(VALU_DEP_1) | instskip(SKIP_1) | instid1(VALU_DEP_1)
	v_ashrrev_i32_e32 v3, 31, v43
	s_mov_b32 s1, exec_lo
	v_lshrrev_b32_e32 v1, 28, v3
	s_delay_alu instid0(VALU_DEP_1) | instskip(NEXT) | instid1(VALU_DEP_1)
	v_add_nc_u32_e32 v1, v43, v1
	v_ashrrev_i32_e32 v1, 4, v1
	s_delay_alu instid0(VALU_DEP_1) | instskip(NEXT) | instid1(VALU_DEP_1)
	v_lshrrev_b32_e32 v5, 30, v1
	v_add_nc_u32_e32 v5, v1, v5
	s_delay_alu instid0(VALU_DEP_1) | instskip(NEXT) | instid1(VALU_DEP_1)
	v_and_b32_e32 v5, -4, v5
	v_sub_nc_u32_e32 v5, v1, v5
	s_delay_alu instid0(VALU_DEP_1)
	v_cmpx_eq_u32_e64 v8, v5
	s_cbranch_execz .LBB166_11
; %bb.15:                               ;   in Loop: Header=BB166_12 Depth=1
	v_lshrrev_b32_e32 v3, 26, v3
	v_lshlrev_b32_e32 v1, 4, v1
	s_delay_alu instid0(VALU_DEP_2) | instskip(NEXT) | instid1(VALU_DEP_2)
	v_add_nc_u32_e32 v3, v43, v3
	v_sub_nc_u32_e32 v1, v43, v1
	s_delay_alu instid0(VALU_DEP_2) | instskip(NEXT) | instid1(VALU_DEP_1)
	v_ashrrev_i32_e32 v3, 6, v3
	v_lshl_add_u32 v1, v3, 4, v1
	s_delay_alu instid0(VALU_DEP_1) | instskip(NEXT) | instid1(VALU_DEP_1)
	v_cmp_ne_u32_e64 s0, 15, v1
	v_cndmask_b32_e64 v39, 0xff800000, v39, s0
	v_cmp_ne_u32_e64 s0, 14, v1
	s_delay_alu instid0(VALU_DEP_1) | instskip(SKIP_1) | instid1(VALU_DEP_1)
	v_cndmask_b32_e64 v37, 0xff800000, v37, s0
	v_cmp_ne_u32_e64 s0, 13, v1
	v_cndmask_b32_e64 v35, 0xff800000, v35, s0
	v_cmp_ne_u32_e64 s0, 12, v1
	s_delay_alu instid0(VALU_DEP_1) | instskip(SKIP_1) | instid1(VALU_DEP_1)
	v_cndmask_b32_e64 v33, 0xff800000, v33, s0
	;; [unrolled: 5-line block ×7, first 2 shown]
	v_cmp_ne_u32_e64 s0, 1, v1
	v_cndmask_b32_e64 v12, 0xff800000, v12, s0
	v_cmp_ne_u32_e64 s0, 0, v1
	s_delay_alu instid0(VALU_DEP_1)
	v_cndmask_b32_e64 v11, 0xff800000, v11, s0
	s_branch .LBB166_11
.LBB166_16:
	v_cmp_eq_u32_e32 vcc_lo, 0, v8
	v_cmp_neq_f32_e64 s0, 0, v6
	s_delay_alu instid0(VALU_DEP_1) | instskip(NEXT) | instid1(SALU_CYCLE_1)
	s_and_b32 s0, vcc_lo, s0
	s_and_b32 exec_lo, exec_lo, s0
	s_cbranch_execz .LBB166_20
; %bb.17:
	s_and_not1_b32 vcc_lo, exec_lo, s3
	s_cbranch_vccnz .LBB166_20
; %bb.18:
	v_div_scale_f32 v1, null, v6, v6, 1.0
	v_div_scale_f32 v3, vcc_lo, 1.0, v6, 1.0
	s_delay_alu instid0(VALU_DEP_2) | instskip(SKIP_2) | instid1(VALU_DEP_1)
	v_rcp_f32_e32 v2, v1
	s_waitcnt_depctr 0xfff
	v_fma_f32 v0, -v1, v2, 1.0
	v_fmac_f32_e32 v2, v0, v2
	v_mul_lo_u32 v0, v7, s7
	s_delay_alu instid0(VALU_DEP_2) | instskip(NEXT) | instid1(VALU_DEP_1)
	v_mul_f32_e32 v4, v3, v2
	v_fma_f32 v5, -v1, v4, v3
	s_delay_alu instid0(VALU_DEP_1) | instskip(NEXT) | instid1(VALU_DEP_1)
	v_fmac_f32_e32 v4, v5, v2
	v_fma_f32 v3, -v1, v4, v3
	v_ashrrev_i32_e32 v1, 31, v0
	s_delay_alu instid0(VALU_DEP_2) | instskip(NEXT) | instid1(VALU_DEP_2)
	v_div_fmas_f32 v2, v3, v2, v4
	v_lshlrev_b64 v[0:1], 2, v[0:1]
	s_delay_alu instid0(VALU_DEP_2) | instskip(NEXT) | instid1(VALU_DEP_2)
	v_div_fixup_f32 v2, v2, v6, 1.0
	v_add_co_u32 v0, vcc_lo, s12, v0
	s_delay_alu instid0(VALU_DEP_3)
	v_add_co_ci_u32_e32 v1, vcc_lo, s13, v1, vcc_lo
.LBB166_19:                             ; =>This Inner Loop Header: Depth=1
	global_load_b32 v3, v[0:1], off
	s_add_i32 s4, s4, -1
	s_delay_alu instid0(SALU_CYCLE_1)
	s_cmp_lg_u32 s4, 0
	s_waitcnt vmcnt(0)
	v_mul_f32_e32 v3, v2, v3
	global_store_b32 v[0:1], v3, off
	v_add_co_u32 v0, vcc_lo, v0, 4
	v_add_co_ci_u32_e32 v1, vcc_lo, 0, v1, vcc_lo
	s_cbranch_scc1 .LBB166_19
.LBB166_20:
	s_nop 0
	s_sendmsg sendmsg(MSG_DEALLOC_VGPRS)
	s_endpgm
	.section	.rodata,"a",@progbits
	.p2align	6, 0x0
	.amdhsa_kernel _ZN4vllm3moe17topkGatingSoftmaxIDF16_Li16ELi64ELi8ELi32ELb1ELi0ELNS0_23SharedExpertScoringFuncE0EEEvPKT_PKbPfiPiS9_iiiiii
		.amdhsa_group_segment_fixed_size 0
		.amdhsa_private_segment_fixed_size 0
		.amdhsa_kernarg_size 72
		.amdhsa_user_sgpr_count 15
		.amdhsa_user_sgpr_dispatch_ptr 0
		.amdhsa_user_sgpr_queue_ptr 0
		.amdhsa_user_sgpr_kernarg_segment_ptr 1
		.amdhsa_user_sgpr_dispatch_id 0
		.amdhsa_user_sgpr_private_segment_size 0
		.amdhsa_wavefront_size32 1
		.amdhsa_uses_dynamic_stack 0
		.amdhsa_enable_private_segment 0
		.amdhsa_system_sgpr_workgroup_id_x 1
		.amdhsa_system_sgpr_workgroup_id_y 0
		.amdhsa_system_sgpr_workgroup_id_z 0
		.amdhsa_system_sgpr_workgroup_info 0
		.amdhsa_system_vgpr_workitem_id 1
		.amdhsa_next_free_vgpr 53
		.amdhsa_next_free_sgpr 19
		.amdhsa_reserve_vcc 1
		.amdhsa_float_round_mode_32 0
		.amdhsa_float_round_mode_16_64 0
		.amdhsa_float_denorm_mode_32 3
		.amdhsa_float_denorm_mode_16_64 3
		.amdhsa_dx10_clamp 1
		.amdhsa_ieee_mode 1
		.amdhsa_fp16_overflow 0
		.amdhsa_workgroup_processor_mode 1
		.amdhsa_memory_ordered 1
		.amdhsa_forward_progress 0
		.amdhsa_shared_vgpr_count 0
		.amdhsa_exception_fp_ieee_invalid_op 0
		.amdhsa_exception_fp_denorm_src 0
		.amdhsa_exception_fp_ieee_div_zero 0
		.amdhsa_exception_fp_ieee_overflow 0
		.amdhsa_exception_fp_ieee_underflow 0
		.amdhsa_exception_fp_ieee_inexact 0
		.amdhsa_exception_int_div_zero 0
	.end_amdhsa_kernel
	.section	.text._ZN4vllm3moe17topkGatingSoftmaxIDF16_Li16ELi64ELi8ELi32ELb1ELi0ELNS0_23SharedExpertScoringFuncE0EEEvPKT_PKbPfiPiS9_iiiiii,"axG",@progbits,_ZN4vllm3moe17topkGatingSoftmaxIDF16_Li16ELi64ELi8ELi32ELb1ELi0ELNS0_23SharedExpertScoringFuncE0EEEvPKT_PKbPfiPiS9_iiiiii,comdat
.Lfunc_end166:
	.size	_ZN4vllm3moe17topkGatingSoftmaxIDF16_Li16ELi64ELi8ELi32ELb1ELi0ELNS0_23SharedExpertScoringFuncE0EEEvPKT_PKbPfiPiS9_iiiiii, .Lfunc_end166-_ZN4vllm3moe17topkGatingSoftmaxIDF16_Li16ELi64ELi8ELi32ELb1ELi0ELNS0_23SharedExpertScoringFuncE0EEEvPKT_PKbPfiPiS9_iiiiii
                                        ; -- End function
	.section	.AMDGPU.csdata,"",@progbits
; Kernel info:
; codeLenInByte = 3320
; NumSgprs: 21
; NumVgprs: 53
; ScratchSize: 0
; MemoryBound: 0
; FloatMode: 240
; IeeeMode: 1
; LDSByteSize: 0 bytes/workgroup (compile time only)
; SGPRBlocks: 2
; VGPRBlocks: 6
; NumSGPRsForWavesPerEU: 21
; NumVGPRsForWavesPerEU: 53
; Occupancy: 16
; WaveLimiterHint : 0
; COMPUTE_PGM_RSRC2:SCRATCH_EN: 0
; COMPUTE_PGM_RSRC2:USER_SGPR: 15
; COMPUTE_PGM_RSRC2:TRAP_HANDLER: 0
; COMPUTE_PGM_RSRC2:TGID_X_EN: 1
; COMPUTE_PGM_RSRC2:TGID_Y_EN: 0
; COMPUTE_PGM_RSRC2:TGID_Z_EN: 0
; COMPUTE_PGM_RSRC2:TIDIG_COMP_CNT: 1
	.section	.text._ZN4vllm3moe17topkGatingSoftmaxIDF16_Li16ELi64ELi8ELi32ELb0ELi0ELNS0_23SharedExpertScoringFuncE0EEEvPKT_PKbPfiPiS9_iiiiii,"axG",@progbits,_ZN4vllm3moe17topkGatingSoftmaxIDF16_Li16ELi64ELi8ELi32ELb0ELi0ELNS0_23SharedExpertScoringFuncE0EEEvPKT_PKbPfiPiS9_iiiiii,comdat
	.protected	_ZN4vllm3moe17topkGatingSoftmaxIDF16_Li16ELi64ELi8ELi32ELb0ELi0ELNS0_23SharedExpertScoringFuncE0EEEvPKT_PKbPfiPiS9_iiiiii ; -- Begin function _ZN4vllm3moe17topkGatingSoftmaxIDF16_Li16ELi64ELi8ELi32ELb0ELi0ELNS0_23SharedExpertScoringFuncE0EEEvPKT_PKbPfiPiS9_iiiiii
	.globl	_ZN4vllm3moe17topkGatingSoftmaxIDF16_Li16ELi64ELi8ELi32ELb0ELi0ELNS0_23SharedExpertScoringFuncE0EEEvPKT_PKbPfiPiS9_iiiiii
	.p2align	8
	.type	_ZN4vllm3moe17topkGatingSoftmaxIDF16_Li16ELi64ELi8ELi32ELb0ELi0ELNS0_23SharedExpertScoringFuncE0EEEvPKT_PKbPfiPiS9_iiiiii,@function
_ZN4vllm3moe17topkGatingSoftmaxIDF16_Li16ELi64ELi8ELi32ELb0ELi0ELNS0_23SharedExpertScoringFuncE0EEEvPKT_PKbPfiPiS9_iiiiii: ; @_ZN4vllm3moe17topkGatingSoftmaxIDF16_Li16ELi64ELi8ELi32ELb0ELi0ELNS0_23SharedExpertScoringFuncE0EEEvPKT_PKbPfiPiS9_iiiiii
; %bb.0:
	s_load_b32 s16, s[0:1], 0x18
	v_bfe_u32 v1, v0, 10, 10
	v_and_b32_e32 v0, 0x3ff, v0
	s_lshl_b32 s18, s15, 6
	s_mov_b32 s2, exec_lo
	s_delay_alu instid0(VALU_DEP_2) | instskip(NEXT) | instid1(VALU_DEP_2)
	v_lshlrev_b32_e32 v42, 3, v1
	v_lshrrev_b32_e32 v43, 2, v0
	s_delay_alu instid0(VALU_DEP_1) | instskip(SKIP_1) | instid1(VALU_DEP_1)
	v_add3_u32 v7, s18, v42, v43
	s_waitcnt lgkmcnt(0)
	v_cmpx_gt_i32_e64 s16, v7
	s_cbranch_execz .LBB167_21
; %bb.1:
	s_clause 0x1
	s_load_b128 s[4:7], s[0:1], 0x0
	s_load_b64 s[12:13], s[0:1], 0x10
	s_waitcnt lgkmcnt(0)
	s_cmp_eq_u64 s[6:7], 0
	s_cbranch_scc1 .LBB167_3
; %bb.2:
	v_ashrrev_i32_e32 v2, 31, v7
	v_add_co_u32 v1, vcc_lo, s6, v7
	s_delay_alu instid0(VALU_DEP_2) | instskip(SKIP_3) | instid1(VALU_DEP_1)
	v_add_co_ci_u32_e32 v2, vcc_lo, s7, v2, vcc_lo
	global_load_u8 v1, v[1:2], off
	s_waitcnt vmcnt(0)
	v_and_b32_e32 v1, 1, v1
	v_cmp_eq_u32_e32 vcc_lo, 1, v1
	s_xor_b32 s2, vcc_lo, -1
	s_delay_alu instid0(SALU_CYCLE_1)
	s_or_not1_b32 s17, s2, exec_lo
	s_branch .LBB167_4
.LBB167_3:
	s_mov_b32 s17, -1
.LBB167_4:
	s_load_b64 s[14:15], s[0:1], 0x40
	v_and_b32_e32 v8, 3, v0
	v_mov_b32_e32 v6, 0
	s_waitcnt lgkmcnt(0)
	v_mul_lo_u32 v1, v7, s15
	s_delay_alu instid0(VALU_DEP_1) | instskip(NEXT) | instid1(VALU_DEP_1)
	v_ashrrev_i32_e32 v2, 31, v1
	v_lshlrev_b64 v[0:1], 1, v[1:2]
	v_lshlrev_b32_e32 v2, 5, v8
	s_delay_alu instid0(VALU_DEP_2) | instskip(NEXT) | instid1(VALU_DEP_3)
	v_add_co_u32 v0, vcc_lo, s4, v0
	v_add_co_ci_u32_e32 v1, vcc_lo, s5, v1, vcc_lo
	s_load_b128 s[4:7], s[0:1], 0x30
	s_delay_alu instid0(VALU_DEP_2) | instskip(NEXT) | instid1(VALU_DEP_2)
	v_add_co_u32 v4, vcc_lo, v0, v2
	v_add_co_ci_u32_e32 v5, vcc_lo, 0, v1, vcc_lo
	s_clause 0x1
	global_load_b128 v[0:3], v[4:5], off
	global_load_b128 v[9:12], v[4:5], off offset:16
	s_waitcnt vmcnt(1)
	v_lshrrev_b32_e32 v4, 16, v0
	v_cvt_f32_f16_e32 v26, v0
	v_cvt_f32_f16_e32 v21, v2
	v_lshlrev_b32_e32 v24, 4, v8
	v_cvt_f32_f16_e32 v23, v1
	v_cvt_f32_f16_e32 v25, v4
	v_cmp_lt_f16_e32 vcc_lo, v0, v4
	v_lshrrev_b32_e32 v2, 16, v2
	v_or_b32_e32 v27, 1, v24
	v_cvt_f32_f16_e32 v19, v3
	v_lshrrev_b32_e32 v1, 16, v1
	v_cndmask_b32_e32 v4, v26, v25, vcc_lo
	v_cvt_f32_f16_e32 v20, v2
	v_cndmask_b32_e32 v0, v24, v27, vcc_lo
	v_or_b32_e32 v28, 2, v24
	v_cvt_f32_f16_e32 v22, v1
	v_cmp_lt_f32_e32 vcc_lo, v4, v23
	v_lshrrev_b32_e32 v2, 16, v3
	v_or_b32_e32 v29, 3, v24
	s_waitcnt vmcnt(0)
	v_cvt_f32_f16_e32 v17, v9
	v_cvt_f32_f16_e32 v15, v10
	v_cndmask_b32_e32 v1, v4, v23, vcc_lo
	v_cvt_f32_f16_e32 v18, v2
	v_cndmask_b32_e32 v0, v0, v28, vcc_lo
	v_lshrrev_b32_e32 v2, 16, v9
	v_cvt_f32_f16_e32 v13, v11
	v_cmp_lt_f32_e32 vcc_lo, v1, v22
	s_delay_alu instid0(VALU_DEP_3) | instskip(SKIP_3) | instid1(VALU_DEP_3)
	v_cvt_f32_f16_e32 v16, v2
	v_lshrrev_b32_e32 v2, 16, v10
	v_dual_cndmask_b32 v1, v1, v22 :: v_dual_cndmask_b32 v0, v0, v29
	v_cvt_f32_f16_e32 v10, v12
	v_cvt_f32_f16_e32 v14, v2
	s_delay_alu instid0(VALU_DEP_3)
	v_cmp_lt_f32_e32 vcc_lo, v1, v21
	v_lshrrev_b32_e32 v2, 16, v11
	v_cndmask_b32_e32 v1, v1, v21, vcc_lo
	v_or_b32_e32 v30, 4, v24
	v_or_b32_e32 v31, 5, v24
	;; [unrolled: 1-line block ×4, first 2 shown]
	v_cvt_f32_f16_e32 v11, v2
	v_cndmask_b32_e32 v0, v0, v30, vcc_lo
	v_cmp_lt_f32_e32 vcc_lo, v1, v20
	v_or_b32_e32 v34, 8, v24
	v_or_b32_e32 v35, 9, v24
	;; [unrolled: 1-line block ×3, first 2 shown]
	v_lshrrev_b32_e32 v2, 16, v12
	v_dual_cndmask_b32 v1, v1, v20 :: v_dual_cndmask_b32 v0, v0, v31
	v_or_b32_e32 v37, 11, v24
	v_or_b32_e32 v38, 12, v24
	s_delay_alu instid0(VALU_DEP_4) | instskip(NEXT) | instid1(VALU_DEP_4)
	v_cvt_f32_f16_e32 v9, v2
	v_cmp_lt_f32_e32 vcc_lo, v1, v19
	v_or_b32_e32 v39, 13, v24
	v_or_b32_e32 v40, 14, v24
	;; [unrolled: 1-line block ×3, first 2 shown]
	v_dual_cndmask_b32 v1, v1, v19 :: v_dual_cndmask_b32 v0, v0, v32
	s_delay_alu instid0(VALU_DEP_1) | instskip(NEXT) | instid1(VALU_DEP_2)
	v_cmp_lt_f32_e32 vcc_lo, v1, v18
	v_dual_cndmask_b32 v1, v1, v18 :: v_dual_cndmask_b32 v0, v0, v33
	s_delay_alu instid0(VALU_DEP_1) | instskip(NEXT) | instid1(VALU_DEP_2)
	v_cmp_lt_f32_e32 vcc_lo, v1, v17
	v_dual_cndmask_b32 v1, v1, v17 :: v_dual_cndmask_b32 v0, v0, v34
	s_delay_alu instid0(VALU_DEP_1) | instskip(NEXT) | instid1(VALU_DEP_2)
	v_cmp_lt_f32_e32 vcc_lo, v1, v16
	v_dual_cndmask_b32 v1, v1, v16 :: v_dual_cndmask_b32 v0, v0, v35
	s_delay_alu instid0(VALU_DEP_1) | instskip(NEXT) | instid1(VALU_DEP_2)
	v_cmp_lt_f32_e32 vcc_lo, v1, v15
	v_dual_cndmask_b32 v1, v1, v15 :: v_dual_cndmask_b32 v0, v0, v36
	s_delay_alu instid0(VALU_DEP_1) | instskip(NEXT) | instid1(VALU_DEP_2)
	v_cmp_lt_f32_e32 vcc_lo, v1, v14
	v_dual_cndmask_b32 v1, v1, v14 :: v_dual_cndmask_b32 v0, v0, v37
	s_delay_alu instid0(VALU_DEP_1) | instskip(NEXT) | instid1(VALU_DEP_2)
	v_cmp_lt_f32_e32 vcc_lo, v1, v13
	v_dual_cndmask_b32 v1, v1, v13 :: v_dual_cndmask_b32 v0, v0, v38
	s_delay_alu instid0(VALU_DEP_1) | instskip(SKIP_1) | instid1(VALU_DEP_3)
	v_cmp_lt_f32_e32 vcc_lo, v1, v11
	v_cndmask_b32_e32 v1, v1, v11, vcc_lo
	v_cndmask_b32_e32 v0, v0, v39, vcc_lo
	s_delay_alu instid0(VALU_DEP_2) | instskip(NEXT) | instid1(VALU_DEP_2)
	v_cmp_lt_f32_e32 vcc_lo, v1, v10
	v_dual_cndmask_b32 v1, v1, v10 :: v_dual_cndmask_b32 v0, v0, v40
	s_delay_alu instid0(VALU_DEP_1) | instskip(NEXT) | instid1(VALU_DEP_2)
	v_cmp_lt_f32_e32 vcc_lo, v1, v9
	v_cndmask_b32_e32 v0, v0, v41, vcc_lo
	v_cndmask_b32_e32 v1, v1, v9, vcc_lo
	s_delay_alu instid0(VALU_DEP_2) | instskip(NEXT) | instid1(VALU_DEP_2)
	v_mov_b32_dpp v2, v0 quad_perm:[1,0,3,2] row_mask:0xf bank_mask:0xf
	v_mov_b32_dpp v3, v1 quad_perm:[1,0,3,2] row_mask:0xf bank_mask:0xf
	s_delay_alu instid0(VALU_DEP_2) | instskip(NEXT) | instid1(VALU_DEP_2)
	v_cmp_lt_i32_e32 vcc_lo, v2, v0
	v_cmp_eq_f32_e64 s2, v1, v3
	v_cmp_lt_f32_e64 s3, v1, v3
	s_delay_alu instid0(VALU_DEP_2)
	s_and_b32 s2, s2, vcc_lo
	s_delay_alu instid0(VALU_DEP_1) | instid1(SALU_CYCLE_1)
	s_or_b32 vcc_lo, s3, s2
	v_dual_cndmask_b32 v1, v1, v3 :: v_dual_cndmask_b32 v0, v0, v2
	s_delay_alu instid0(VALU_DEP_1) | instskip(NEXT) | instid1(VALU_DEP_2)
	v_mov_b32_dpp v3, v1 quad_perm:[2,3,0,1] row_mask:0xf bank_mask:0xf
	v_mov_b32_dpp v2, v0 quad_perm:[2,3,0,1] row_mask:0xf bank_mask:0xf
	s_delay_alu instid0(VALU_DEP_2) | instskip(NEXT) | instid1(VALU_DEP_2)
	v_cmp_eq_f32_e32 vcc_lo, v1, v3
	v_cmp_lt_i32_e64 s2, v2, v0
	v_cmp_lt_f32_e64 s3, v1, v3
	s_delay_alu instid0(VALU_DEP_2) | instskip(SKIP_1) | instid1(VALU_DEP_2)
	s_and_b32 s2, vcc_lo, s2
	v_cmp_eq_u32_e32 vcc_lo, 0, v8
	s_or_b32 s2, s3, s2
	s_waitcnt lgkmcnt(0)
	s_cmp_gt_i32 s4, 0
	v_cndmask_b32_e64 v12, v1, v3, s2
	s_cselect_b32 s3, -1, 0
	s_cmp_lt_i32 s4, 1
	s_cbranch_scc1 .LBB167_16
; %bb.5:
	s_load_b128 s[8:11], s[0:1], 0x20
	v_mul_lo_u32 v1, v7, s7
	v_mul_lo_u32 v3, v7, s14
	;; [unrolled: 1-line block ×3, first 2 shown]
	v_cndmask_b32_e64 v0, v0, v2, s2
	v_mov_b32_e32 v6, 0
	s_and_saveexec_b32 s2, vcc_lo
	s_cbranch_execz .LBB167_7
; %bb.6:
	v_sub_f32_e32 v50, v12, v12
	v_cmp_le_i32_e64 s0, s5, v0
	v_cmp_gt_i32_e64 s1, s6, v0
	v_subrev_nc_u32_e32 v51, s5, v0
	v_ashrrev_i32_e32 v6, 31, v5
	v_mul_f32_e32 v2, 0x3fb8aa3b, v50
	s_delay_alu instid0(VALU_DEP_4) | instskip(NEXT) | instid1(SALU_CYCLE_1)
	s_and_b32 s0, s0, s1
	s_and_b32 s0, s17, s0
	s_delay_alu instid0(VALU_DEP_1) | instskip(SKIP_2) | instid1(VALU_DEP_3)
	v_rndne_f32_e32 v46, v2
	v_fma_f32 v4, 0x3fb8aa3b, v50, -v2
	v_lshlrev_b64 v[48:49], 2, v[5:6]
	v_sub_f32_e32 v2, v2, v46
	s_delay_alu instid0(VALU_DEP_3) | instskip(NEXT) | instid1(VALU_DEP_1)
	v_fmamk_f32 v4, v50, 0x32a5705f, v4
	v_add_f32_e32 v4, v2, v4
	v_ashrrev_i32_e32 v2, 31, v1
	s_delay_alu instid0(VALU_DEP_2) | instskip(NEXT) | instid1(VALU_DEP_1)
	v_exp_f32_e32 v52, v4
	v_lshlrev_b64 v[44:45], 2, v[1:2]
	v_ashrrev_i32_e32 v4, 31, v3
	v_cvt_i32_f32_e32 v2, v46
	s_delay_alu instid0(VALU_DEP_2) | instskip(SKIP_2) | instid1(VALU_DEP_1)
	v_lshlrev_b64 v[46:47], 2, v[3:4]
	v_cndmask_b32_e64 v4, 64, v51, s0
	v_add_co_u32 v44, s0, s12, v44
	v_add_co_ci_u32_e64 v45, s0, s13, v45, s0
	s_delay_alu instid0(TRANS32_DEP_1) | instskip(SKIP_1) | instid1(VALU_DEP_1)
	v_ldexp_f32 v2, v52, v2
	v_cmp_ngt_f32_e64 s0, 0xc2ce8ed0, v50
	v_cndmask_b32_e64 v2, 0, v2, s0
	s_waitcnt lgkmcnt(0)
	v_add_co_u32 v46, s0, s8, v46
	s_delay_alu instid0(VALU_DEP_1) | instskip(SKIP_1) | instid1(VALU_DEP_1)
	v_add_co_ci_u32_e64 v47, s0, s9, v47, s0
	v_cmp_nlt_f32_e64 s0, 0x42b17218, v50
	v_cndmask_b32_e64 v6, 0x7f800000, v2, s0
	v_add_co_u32 v48, s0, s10, v48
	s_delay_alu instid0(VALU_DEP_1)
	v_add_co_ci_u32_e64 v49, s0, s11, v49, s0
	global_store_b32 v[46:47], v4, off
	global_store_b32 v[44:45], v6, off
	;; [unrolled: 1-line block ×3, first 2 shown]
.LBB167_7:
	s_or_b32 exec_lo, exec_lo, s2
	v_ashrrev_i32_e32 v4, 31, v0
	s_mov_b32 s1, exec_lo
	s_delay_alu instid0(VALU_DEP_1) | instskip(NEXT) | instid1(VALU_DEP_1)
	v_lshrrev_b32_e32 v2, 28, v4
	v_add_nc_u32_e32 v2, v0, v2
	s_delay_alu instid0(VALU_DEP_1) | instskip(NEXT) | instid1(VALU_DEP_1)
	v_ashrrev_i32_e32 v2, 4, v2
	v_lshrrev_b32_e32 v44, 30, v2
	s_delay_alu instid0(VALU_DEP_1) | instskip(NEXT) | instid1(VALU_DEP_1)
	v_add_nc_u32_e32 v44, v2, v44
	v_and_b32_e32 v44, -4, v44
	s_delay_alu instid0(VALU_DEP_1) | instskip(NEXT) | instid1(VALU_DEP_1)
	v_sub_nc_u32_e32 v44, v2, v44
	v_cmpx_eq_u32_e64 v8, v44
	s_cbranch_execz .LBB167_9
; %bb.8:
	v_lshrrev_b32_e32 v4, 26, v4
	v_lshlrev_b32_e32 v2, 4, v2
	s_delay_alu instid0(VALU_DEP_2) | instskip(NEXT) | instid1(VALU_DEP_2)
	v_add_nc_u32_e32 v4, v0, v4
	v_sub_nc_u32_e32 v0, v0, v2
	s_delay_alu instid0(VALU_DEP_2) | instskip(NEXT) | instid1(VALU_DEP_1)
	v_ashrrev_i32_e32 v2, 6, v4
	v_lshl_add_u32 v0, v2, 4, v0
	s_delay_alu instid0(VALU_DEP_1) | instskip(NEXT) | instid1(VALU_DEP_1)
	v_cmp_ne_u32_e64 s0, 15, v0
	v_cndmask_b32_e64 v9, 0xff800000, v9, s0
	v_cmp_ne_u32_e64 s0, 14, v0
	s_delay_alu instid0(VALU_DEP_1) | instskip(SKIP_1) | instid1(VALU_DEP_1)
	v_cndmask_b32_e64 v10, 0xff800000, v10, s0
	v_cmp_ne_u32_e64 s0, 13, v0
	v_cndmask_b32_e64 v11, 0xff800000, v11, s0
	v_cmp_ne_u32_e64 s0, 12, v0
	s_delay_alu instid0(VALU_DEP_1) | instskip(SKIP_1) | instid1(VALU_DEP_1)
	v_cndmask_b32_e64 v13, 0xff800000, v13, s0
	v_cmp_ne_u32_e64 s0, 11, v0
	v_cndmask_b32_e64 v14, 0xff800000, v14, s0
	v_cmp_ne_u32_e64 s0, 10, v0
	s_delay_alu instid0(VALU_DEP_1) | instskip(SKIP_1) | instid1(VALU_DEP_1)
	v_cndmask_b32_e64 v15, 0xff800000, v15, s0
	v_cmp_ne_u32_e64 s0, 9, v0
	v_cndmask_b32_e64 v16, 0xff800000, v16, s0
	v_cmp_ne_u32_e64 s0, 8, v0
	s_delay_alu instid0(VALU_DEP_1) | instskip(SKIP_1) | instid1(VALU_DEP_1)
	v_cndmask_b32_e64 v17, 0xff800000, v17, s0
	v_cmp_ne_u32_e64 s0, 7, v0
	v_cndmask_b32_e64 v18, 0xff800000, v18, s0
	v_cmp_ne_u32_e64 s0, 6, v0
	s_delay_alu instid0(VALU_DEP_1) | instskip(SKIP_1) | instid1(VALU_DEP_1)
	v_cndmask_b32_e64 v19, 0xff800000, v19, s0
	v_cmp_ne_u32_e64 s0, 5, v0
	v_cndmask_b32_e64 v20, 0xff800000, v20, s0
	v_cmp_ne_u32_e64 s0, 4, v0
	s_delay_alu instid0(VALU_DEP_1) | instskip(SKIP_1) | instid1(VALU_DEP_1)
	v_cndmask_b32_e64 v21, 0xff800000, v21, s0
	v_cmp_ne_u32_e64 s0, 3, v0
	v_cndmask_b32_e64 v22, 0xff800000, v22, s0
	v_cmp_ne_u32_e64 s0, 2, v0
	s_delay_alu instid0(VALU_DEP_1) | instskip(SKIP_1) | instid1(VALU_DEP_1)
	v_cndmask_b32_e64 v23, 0xff800000, v23, s0
	v_cmp_ne_u32_e64 s0, 1, v0
	v_cndmask_b32_e64 v25, 0xff800000, v25, s0
	v_cmp_ne_u32_e64 s0, 0, v0
	s_delay_alu instid0(VALU_DEP_1)
	v_cndmask_b32_e64 v26, 0xff800000, v26, s0
.LBB167_9:
	s_or_b32 exec_lo, exec_lo, s1
	s_cmp_eq_u32 s4, 1
	s_cbranch_scc1 .LBB167_16
; %bb.10:
	s_add_i32 s18, s18, s16
	v_add_nc_u32_e32 v0, 1, v5
	v_add3_u32 v42, s18, v43, v42
	v_add_nc_u32_e32 v2, 1, v3
	v_add_nc_u32_e32 v4, 1, v1
	s_add_i32 s14, s4, -1
	s_branch .LBB167_12
.LBB167_11:                             ;   in Loop: Header=BB167_12 Depth=1
	s_or_b32 exec_lo, exec_lo, s1
	v_add_nc_u32_e32 v42, s16, v42
	v_add_nc_u32_e32 v0, 1, v0
	;; [unrolled: 1-line block ×4, first 2 shown]
	s_add_i32 s14, s14, -1
	s_delay_alu instid0(SALU_CYCLE_1)
	s_cmp_eq_u32 s14, 0
	s_cbranch_scc1 .LBB167_16
.LBB167_12:                             ; =>This Inner Loop Header: Depth=1
	v_cmp_gt_f32_e64 s0, v25, v26
	s_delay_alu instid0(VALU_DEP_1) | instskip(SKIP_1) | instid1(VALU_DEP_2)
	v_cndmask_b32_e64 v3, v26, v25, s0
	v_cndmask_b32_e64 v1, v24, v27, s0
	v_cmp_gt_f32_e64 s0, v23, v3
	s_delay_alu instid0(VALU_DEP_1) | instskip(NEXT) | instid1(VALU_DEP_3)
	v_cndmask_b32_e64 v3, v3, v23, s0
	v_cndmask_b32_e64 v1, v1, v28, s0
	s_delay_alu instid0(VALU_DEP_2) | instskip(NEXT) | instid1(VALU_DEP_1)
	v_cmp_gt_f32_e64 s0, v22, v3
	v_cndmask_b32_e64 v3, v3, v22, s0
	s_delay_alu instid0(VALU_DEP_3) | instskip(NEXT) | instid1(VALU_DEP_2)
	v_cndmask_b32_e64 v1, v1, v29, s0
	v_cmp_gt_f32_e64 s0, v21, v3
	s_delay_alu instid0(VALU_DEP_1) | instskip(NEXT) | instid1(VALU_DEP_3)
	v_cndmask_b32_e64 v3, v3, v21, s0
	v_cndmask_b32_e64 v1, v1, v30, s0
	s_delay_alu instid0(VALU_DEP_2) | instskip(NEXT) | instid1(VALU_DEP_1)
	v_cmp_gt_f32_e64 s0, v20, v3
	v_cndmask_b32_e64 v3, v3, v20, s0
	s_delay_alu instid0(VALU_DEP_3) | instskip(NEXT) | instid1(VALU_DEP_2)
	;; [unrolled: 9-line block ×6, first 2 shown]
	v_cndmask_b32_e64 v1, v1, v39, s0
	v_cmp_gt_f32_e64 s0, v10, v3
	s_delay_alu instid0(VALU_DEP_1) | instskip(NEXT) | instid1(VALU_DEP_3)
	v_cndmask_b32_e64 v3, v3, v10, s0
	v_cndmask_b32_e64 v1, v1, v40, s0
	s_delay_alu instid0(VALU_DEP_2) | instskip(NEXT) | instid1(VALU_DEP_1)
	v_cmp_gt_f32_e64 s0, v9, v3
	v_cndmask_b32_e64 v5, v1, v41, s0
	v_cndmask_b32_e64 v1, v3, v9, s0
	s_delay_alu instid0(VALU_DEP_2) | instskip(NEXT) | instid1(VALU_DEP_2)
	v_mov_b32_dpp v3, v5 quad_perm:[1,0,3,2] row_mask:0xf bank_mask:0xf
	v_mov_b32_dpp v43, v1 quad_perm:[1,0,3,2] row_mask:0xf bank_mask:0xf
	s_delay_alu instid0(VALU_DEP_2) | instskip(NEXT) | instid1(VALU_DEP_2)
	v_cmp_lt_i32_e64 s0, v3, v5
	v_cmp_eq_f32_e64 s1, v1, v43
	v_cmp_lt_f32_e64 s2, v1, v43
	s_delay_alu instid0(VALU_DEP_2)
	s_and_b32 s0, s1, s0
	s_delay_alu instid0(VALU_DEP_1) | instid1(SALU_CYCLE_1)
	s_or_b32 s0, s2, s0
	s_delay_alu instid0(SALU_CYCLE_1) | instskip(SKIP_1) | instid1(VALU_DEP_2)
	v_cndmask_b32_e64 v1, v1, v43, s0
	v_cndmask_b32_e64 v5, v5, v3, s0
	v_mov_b32_dpp v3, v1 quad_perm:[2,3,0,1] row_mask:0xf bank_mask:0xf
	s_delay_alu instid0(VALU_DEP_2) | instskip(NEXT) | instid1(VALU_DEP_2)
	v_mov_b32_dpp v43, v5 quad_perm:[2,3,0,1] row_mask:0xf bank_mask:0xf
	v_cmp_eq_f32_e64 s0, v1, v3
	s_delay_alu instid0(VALU_DEP_2) | instskip(SKIP_1) | instid1(VALU_DEP_2)
	v_cmp_lt_i32_e64 s1, v43, v5
	v_cmp_lt_f32_e64 s2, v1, v3
	s_and_b32 s0, s0, s1
	s_delay_alu instid0(VALU_DEP_1) | instid1(SALU_CYCLE_1)
	s_or_b32 s0, s2, s0
	s_delay_alu instid0(SALU_CYCLE_1)
	v_cndmask_b32_e64 v43, v5, v43, s0
	s_and_saveexec_b32 s2, vcc_lo
	s_cbranch_execz .LBB167_14
; %bb.13:                               ;   in Loop: Header=BB167_12 Depth=1
	v_cndmask_b32_e64 v1, v1, v3, s0
	s_delay_alu instid0(VALU_DEP_2) | instskip(SKIP_4) | instid1(VALU_DEP_4)
	v_cmp_le_i32_e64 s0, s5, v43
	v_cmp_gt_i32_e64 s1, s6, v43
	v_ashrrev_i32_e32 v5, 31, v4
	v_subrev_nc_u32_e32 v51, s5, v43
	v_sub_f32_e32 v50, v1, v12
	s_and_b32 s0, s0, s1
	s_delay_alu instid0(SALU_CYCLE_1) | instskip(NEXT) | instid1(VALU_DEP_1)
	s_and_b32 s0, s17, s0
	v_mul_f32_e32 v1, 0x3fb8aa3b, v50
	s_delay_alu instid0(VALU_DEP_1) | instskip(SKIP_1) | instid1(VALU_DEP_2)
	v_fma_f32 v3, 0x3fb8aa3b, v50, -v1
	v_rndne_f32_e32 v44, v1
	v_fmac_f32_e32 v3, 0x32a5705f, v50
	s_delay_alu instid0(VALU_DEP_2) | instskip(SKIP_2) | instid1(VALU_DEP_3)
	v_sub_f32_e32 v1, v1, v44
	v_cvt_i32_f32_e32 v49, v44
	v_lshlrev_b64 v[44:45], 2, v[4:5]
	v_add_f32_e32 v1, v1, v3
	v_ashrrev_i32_e32 v3, 31, v2
	s_delay_alu instid0(VALU_DEP_2) | instskip(SKIP_1) | instid1(VALU_DEP_2)
	v_exp_f32_e32 v48, v1
	v_ashrrev_i32_e32 v1, 31, v0
	v_lshlrev_b64 v[46:47], 2, v[2:3]
	s_waitcnt_depctr 0xfff
	v_ldexp_f32 v3, v48, v49
	v_lshlrev_b64 v[48:49], 2, v[0:1]
	v_cndmask_b32_e64 v1, 64, v51, s0
	v_cmp_ngt_f32_e64 s0, 0xc2ce8ed0, v50
	s_delay_alu instid0(VALU_DEP_1) | instskip(SKIP_1) | instid1(VALU_DEP_1)
	v_cndmask_b32_e64 v3, 0, v3, s0
	v_add_co_u32 v44, s0, s12, v44
	v_add_co_ci_u32_e64 v45, s0, s13, v45, s0
	v_cmp_nlt_f32_e64 s0, 0x42b17218, v50
	s_delay_alu instid0(VALU_DEP_1) | instskip(SKIP_2) | instid1(VALU_DEP_1)
	v_cndmask_b32_e64 v3, 0x7f800000, v3, s0
	s_waitcnt lgkmcnt(0)
	v_add_co_u32 v46, s0, s8, v46
	v_add_co_ci_u32_e64 v47, s0, s9, v47, s0
	s_delay_alu instid0(VALU_DEP_3) | instskip(SKIP_1) | instid1(VALU_DEP_1)
	v_add_f32_e32 v6, v6, v3
	v_add_co_u32 v48, s0, s10, v48
	v_add_co_ci_u32_e64 v49, s0, s11, v49, s0
	global_store_b32 v[44:45], v3, off
	global_store_b32 v[46:47], v1, off
	;; [unrolled: 1-line block ×3, first 2 shown]
.LBB167_14:                             ;   in Loop: Header=BB167_12 Depth=1
	s_or_b32 exec_lo, exec_lo, s2
	s_delay_alu instid0(VALU_DEP_1) | instskip(SKIP_1) | instid1(VALU_DEP_1)
	v_ashrrev_i32_e32 v3, 31, v43
	s_mov_b32 s1, exec_lo
	v_lshrrev_b32_e32 v1, 28, v3
	s_delay_alu instid0(VALU_DEP_1) | instskip(NEXT) | instid1(VALU_DEP_1)
	v_add_nc_u32_e32 v1, v43, v1
	v_ashrrev_i32_e32 v1, 4, v1
	s_delay_alu instid0(VALU_DEP_1) | instskip(NEXT) | instid1(VALU_DEP_1)
	v_lshrrev_b32_e32 v5, 30, v1
	v_add_nc_u32_e32 v5, v1, v5
	s_delay_alu instid0(VALU_DEP_1) | instskip(NEXT) | instid1(VALU_DEP_1)
	v_and_b32_e32 v5, -4, v5
	v_sub_nc_u32_e32 v5, v1, v5
	s_delay_alu instid0(VALU_DEP_1)
	v_cmpx_eq_u32_e64 v8, v5
	s_cbranch_execz .LBB167_11
; %bb.15:                               ;   in Loop: Header=BB167_12 Depth=1
	v_lshrrev_b32_e32 v3, 26, v3
	v_lshlrev_b32_e32 v1, 4, v1
	s_delay_alu instid0(VALU_DEP_2) | instskip(NEXT) | instid1(VALU_DEP_2)
	v_add_nc_u32_e32 v3, v43, v3
	v_sub_nc_u32_e32 v1, v43, v1
	s_delay_alu instid0(VALU_DEP_2) | instskip(NEXT) | instid1(VALU_DEP_1)
	v_ashrrev_i32_e32 v3, 6, v3
	v_lshl_add_u32 v1, v3, 4, v1
	s_delay_alu instid0(VALU_DEP_1) | instskip(NEXT) | instid1(VALU_DEP_1)
	v_cmp_ne_u32_e64 s0, 15, v1
	v_cndmask_b32_e64 v9, 0xff800000, v9, s0
	v_cmp_ne_u32_e64 s0, 14, v1
	s_delay_alu instid0(VALU_DEP_1) | instskip(SKIP_1) | instid1(VALU_DEP_1)
	v_cndmask_b32_e64 v10, 0xff800000, v10, s0
	v_cmp_ne_u32_e64 s0, 13, v1
	v_cndmask_b32_e64 v11, 0xff800000, v11, s0
	v_cmp_ne_u32_e64 s0, 12, v1
	s_delay_alu instid0(VALU_DEP_1) | instskip(SKIP_1) | instid1(VALU_DEP_1)
	v_cndmask_b32_e64 v13, 0xff800000, v13, s0
	;; [unrolled: 5-line block ×7, first 2 shown]
	v_cmp_ne_u32_e64 s0, 1, v1
	v_cndmask_b32_e64 v25, 0xff800000, v25, s0
	v_cmp_ne_u32_e64 s0, 0, v1
	s_delay_alu instid0(VALU_DEP_1)
	v_cndmask_b32_e64 v26, 0xff800000, v26, s0
	s_branch .LBB167_11
.LBB167_16:
	s_delay_alu instid0(VALU_DEP_1)
	v_sub_f32_e32 v3, v23, v12
	v_sub_f32_e32 v1, v25, v12
	;; [unrolled: 1-line block ×5, first 2 shown]
	v_mul_f32_e32 v26, 0x3fb8aa3b, v3
	v_mul_f32_e32 v4, 0x3fb8aa3b, v1
	v_sub_f32_e32 v20, v20, v12
	v_sub_f32_e32 v10, v10, v12
	;; [unrolled: 1-line block ×4, first 2 shown]
	v_fma_f32 v24, 0x3fb8aa3b, v1, -v4
	v_rndne_f32_e32 v25, v4
	v_sub_f32_e32 v14, v14, v12
	v_sub_f32_e32 v11, v11, v12
	s_delay_alu instid0(VALU_DEP_4) | instskip(SKIP_4) | instid1(VALU_DEP_4)
	v_dual_sub_f32 v9, v9, v12 :: v_dual_fmac_f32 v24, 0x32a5705f, v1
	v_mul_f32_e32 v27, 0x3fb8aa3b, v5
	v_sub_f32_e32 v4, v4, v25
	v_cvt_i32_f32_e32 v25, v25
	v_cmp_ngt_f32_e32 vcc_lo, 0xc2ce8ed0, v0
	v_rndne_f32_e32 v30, v27
	v_mul_f32_e32 v2, 0x3fb8aa3b, v0
	v_fma_f32 v29, 0x3fb8aa3b, v5, -v27
	v_add_f32_e32 v4, v4, v24
	v_rndne_f32_e32 v24, v26
	s_delay_alu instid0(VALU_DEP_4)
	v_fma_f32 v22, 0x3fb8aa3b, v0, -v2
	v_rndne_f32_e32 v23, v2
	v_sub_f32_e32 v21, v21, v12
	v_fmac_f32_e32 v29, 0x32a5705f, v5
	v_exp_f32_e32 v4, v4
	v_fmac_f32_e32 v22, 0x32a5705f, v0
	v_sub_f32_e32 v2, v2, v23
	v_cvt_i32_f32_e32 v23, v23
	s_delay_alu instid0(VALU_DEP_2) | instskip(SKIP_2) | instid1(TRANS32_DEP_1)
	v_add_f32_e32 v2, v2, v22
	v_fma_f32 v22, 0x3fb8aa3b, v3, -v26
	v_sub_f32_e32 v26, v26, v24
	v_ldexp_f32 v4, v4, v25
	v_cvt_i32_f32_e32 v24, v24
	v_exp_f32_e32 v2, v2
	v_fmac_f32_e32 v22, 0x32a5705f, v3
	s_waitcnt_depctr 0xfff
	v_ldexp_f32 v2, v2, v23
	v_sub_f32_e32 v23, v27, v30
	s_delay_alu instid0(VALU_DEP_2) | instskip(SKIP_1) | instid1(VALU_DEP_3)
	v_cndmask_b32_e32 v2, 0, v2, vcc_lo
	v_cmp_ngt_f32_e32 vcc_lo, 0xc2ce8ed0, v1
	v_dual_add_f32 v23, v23, v29 :: v_dual_cndmask_b32 v4, 0, v4
	v_cmp_nlt_f32_e32 vcc_lo, 0x42b17218, v0
	s_delay_alu instid0(VALU_DEP_2) | instskip(SKIP_3) | instid1(VALU_DEP_1)
	v_exp_f32_e32 v23, v23
	v_cndmask_b32_e32 v0, 0x7f800000, v2, vcc_lo
	v_cmp_nlt_f32_e32 vcc_lo, 0x42b17218, v1
	v_dual_add_f32 v22, v26, v22 :: v_dual_cndmask_b32 v1, 0x7f800000, v4
	v_exp_f32_e32 v22, v22
	v_cmp_ngt_f32_e32 vcc_lo, 0xc2ce8ed0, v3
	s_delay_alu instid0(VALU_DEP_2) | instskip(SKIP_2) | instid1(VALU_DEP_1)
	v_add_f32_e32 v0, v0, v1
	s_waitcnt_depctr 0xfff
	v_ldexp_f32 v4, v22, v24
	v_dual_mul_f32 v28, 0x3fb8aa3b, v21 :: v_dual_cndmask_b32 v1, 0, v4
	s_delay_alu instid0(VALU_DEP_1) | instskip(SKIP_3) | instid1(VALU_DEP_4)
	v_fma_f32 v2, 0x3fb8aa3b, v21, -v28
	v_rndne_f32_e32 v22, v28
	v_cvt_i32_f32_e32 v4, v30
	v_cmp_nlt_f32_e32 vcc_lo, 0x42b17218, v3
	v_fmac_f32_e32 v2, 0x32a5705f, v21
	s_delay_alu instid0(VALU_DEP_4) | instskip(NEXT) | instid1(VALU_DEP_4)
	v_sub_f32_e32 v24, v28, v22
	v_ldexp_f32 v3, v23, v4
	v_cndmask_b32_e32 v1, 0x7f800000, v1, vcc_lo
	v_mul_f32_e32 v4, 0x3fb8aa3b, v20
	v_cmp_ngt_f32_e32 vcc_lo, 0xc2ce8ed0, v5
	v_add_f32_e32 v2, v24, v2
	s_delay_alu instid0(VALU_DEP_4) | instskip(NEXT) | instid1(VALU_DEP_4)
	v_add_f32_e32 v0, v0, v1
	v_rndne_f32_e32 v23, v4
	v_cndmask_b32_e32 v1, 0, v3, vcc_lo
	s_delay_alu instid0(VALU_DEP_4)
	v_exp_f32_e32 v2, v2
	v_fma_f32 v3, 0x3fb8aa3b, v20, -v4
	v_cmp_nlt_f32_e32 vcc_lo, 0x42b17218, v5
	v_cvt_i32_f32_e32 v5, v22
	v_sub_f32_e32 v4, v4, v23
	v_mul_f32_e32 v22, 0x3fb8aa3b, v19
	v_fmac_f32_e32 v3, 0x32a5705f, v20
	v_cndmask_b32_e32 v1, 0x7f800000, v1, vcc_lo
	v_cmp_ngt_f32_e32 vcc_lo, 0xc2ce8ed0, v21
	s_delay_alu instid0(VALU_DEP_2) | instskip(SKIP_4) | instid1(VALU_DEP_4)
	v_add_f32_e32 v0, v0, v1
	v_ldexp_f32 v1, v2, v5
	v_add_f32_e32 v2, v4, v3
	v_fma_f32 v3, 0x3fb8aa3b, v19, -v22
	v_rndne_f32_e32 v4, v22
	v_cndmask_b32_e32 v1, 0, v1, vcc_lo
	s_delay_alu instid0(VALU_DEP_4) | instskip(NEXT) | instid1(VALU_DEP_3)
	v_exp_f32_e32 v2, v2
	v_fmac_f32_e32 v3, 0x32a5705f, v19
	s_delay_alu instid0(VALU_DEP_3) | instskip(SKIP_3) | instid1(VALU_DEP_4)
	v_sub_f32_e32 v5, v22, v4
	v_cmp_nlt_f32_e32 vcc_lo, 0x42b17218, v21
	v_cvt_i32_f32_e32 v21, v23
	v_cvt_i32_f32_e32 v4, v4
	v_add_f32_e32 v3, v5, v3
	v_cndmask_b32_e32 v1, 0x7f800000, v1, vcc_lo
	v_mul_f32_e32 v5, 0x3fb8aa3b, v18
	v_cmp_ngt_f32_e32 vcc_lo, 0xc2ce8ed0, v20
	s_delay_alu instid0(VALU_DEP_3) | instskip(SKIP_3) | instid1(VALU_DEP_2)
	v_add_f32_e32 v0, v0, v1
	v_ldexp_f32 v1, v2, v21
	v_exp_f32_e32 v2, v3
	v_rndne_f32_e32 v21, v5
	v_cndmask_b32_e32 v1, 0, v1, vcc_lo
	v_cmp_nlt_f32_e32 vcc_lo, 0x42b17218, v20
	s_delay_alu instid0(VALU_DEP_2) | instskip(SKIP_3) | instid1(VALU_DEP_2)
	v_cndmask_b32_e32 v1, 0x7f800000, v1, vcc_lo
	s_waitcnt_depctr 0xfff
	v_ldexp_f32 v2, v2, v4
	v_cmp_ngt_f32_e32 vcc_lo, 0xc2ce8ed0, v19
	v_dual_add_f32 v0, v0, v1 :: v_dual_cndmask_b32 v1, 0, v2
	v_cmp_nlt_f32_e32 vcc_lo, 0x42b17218, v19
	s_delay_alu instid0(VALU_DEP_2) | instskip(SKIP_3) | instid1(VALU_DEP_3)
	v_cndmask_b32_e32 v1, 0x7f800000, v1, vcc_lo
	v_fma_f32 v3, 0x3fb8aa3b, v18, -v5
	v_sub_f32_e32 v5, v5, v21
	v_cmp_ngt_f32_e32 vcc_lo, 0xc2ce8ed0, v18
	v_dual_add_f32 v0, v0, v1 :: v_dual_fmac_f32 v3, 0x32a5705f, v18
	s_delay_alu instid0(VALU_DEP_1) | instskip(SKIP_3) | instid1(VALU_DEP_4)
	v_add_f32_e32 v3, v5, v3
	v_sub_f32_e32 v5, v16, v12
	v_cvt_i32_f32_e32 v16, v21
	v_mul_f32_e32 v21, 0x3fb8aa3b, v14
	v_exp_f32_e32 v2, v3
	s_waitcnt_depctr 0xfff
	v_ldexp_f32 v1, v2, v16
	s_delay_alu instid0(VALU_DEP_1) | instskip(NEXT) | instid1(VALU_DEP_1)
	v_dual_sub_f32 v4, v17, v12 :: v_dual_cndmask_b32 v1, 0, v1
	v_mul_f32_e32 v3, 0x3fb8aa3b, v4
	v_cmp_nlt_f32_e32 vcc_lo, 0x42b17218, v18
	s_delay_alu instid0(VALU_DEP_2) | instskip(SKIP_1) | instid1(VALU_DEP_2)
	v_rndne_f32_e32 v19, v3
	v_fma_f32 v17, 0x3fb8aa3b, v4, -v3
	v_sub_f32_e32 v2, v3, v19
	v_mul_f32_e32 v20, 0x3fb8aa3b, v5
	s_delay_alu instid0(VALU_DEP_3) | instskip(SKIP_1) | instid1(VALU_DEP_3)
	v_fmac_f32_e32 v17, 0x32a5705f, v4
	v_cvt_i32_f32_e32 v19, v19
	v_fma_f32 v3, 0x3fb8aa3b, v5, -v20
	v_rndne_f32_e32 v16, v20
	s_delay_alu instid0(VALU_DEP_4) | instskip(NEXT) | instid1(VALU_DEP_3)
	v_add_f32_e32 v2, v2, v17
	v_fmac_f32_e32 v3, 0x32a5705f, v5
	s_delay_alu instid0(VALU_DEP_3) | instskip(NEXT) | instid1(VALU_DEP_3)
	v_dual_sub_f32 v17, v20, v16 :: v_dual_mul_f32 v20, 0x3fb8aa3b, v15
	v_exp_f32_e32 v2, v2
	s_delay_alu instid0(VALU_DEP_1) | instskip(NEXT) | instid1(VALU_DEP_2)
	v_add_f32_e32 v3, v17, v3
	v_fma_f32 v17, 0x3fb8aa3b, v15, -v20
	v_rndne_f32_e32 v18, v20
	v_cndmask_b32_e32 v1, 0x7f800000, v1, vcc_lo
	v_cmp_ngt_f32_e32 vcc_lo, 0xc2ce8ed0, v4
	v_exp_f32_e32 v3, v3
	s_delay_alu instid0(VALU_DEP_3) | instskip(NEXT) | instid1(VALU_DEP_3)
	v_dual_fmac_f32 v17, 0x32a5705f, v15 :: v_dual_sub_f32 v20, v20, v18
	v_add_f32_e32 v0, v0, v1
	s_delay_alu instid0(TRANS32_DEP_2)
	v_ldexp_f32 v1, v2, v19
	v_cvt_i32_f32_e32 v2, v16
	v_rndne_f32_e32 v19, v21
	v_add_f32_e32 v16, v20, v17
	v_fma_f32 v17, 0x3fb8aa3b, v14, -v21
	v_cndmask_b32_e32 v1, 0, v1, vcc_lo
	s_delay_alu instid0(TRANS32_DEP_1)
	v_ldexp_f32 v2, v3, v2
	v_cmp_nlt_f32_e32 vcc_lo, 0x42b17218, v4
	v_exp_f32_e32 v3, v16
	v_sub_f32_e32 v16, v21, v19
	v_cvt_i32_f32_e32 v4, v18
	v_fmac_f32_e32 v17, 0x32a5705f, v14
	v_cndmask_b32_e32 v1, 0x7f800000, v1, vcc_lo
	v_cmp_ngt_f32_e32 vcc_lo, 0xc2ce8ed0, v5
	s_delay_alu instid0(VALU_DEP_3) | instskip(NEXT) | instid1(VALU_DEP_3)
	v_add_f32_e32 v16, v16, v17
	v_add_f32_e32 v0, v0, v1
	s_delay_alu instid0(TRANS32_DEP_1)
	v_ldexp_f32 v1, v3, v4
	v_cndmask_b32_e32 v2, 0, v2, vcc_lo
	v_cmp_nlt_f32_e32 vcc_lo, 0x42b17218, v5
	v_sub_f32_e32 v4, v13, v12
	v_exp_f32_e32 v3, v16
	v_dual_mul_f32 v13, 0x3fb8aa3b, v11 :: v_dual_mul_f32 v16, 0x3fb8aa3b, v9
	s_delay_alu instid0(VALU_DEP_2) | instskip(SKIP_2) | instid1(VALU_DEP_4)
	v_mul_f32_e32 v5, 0x3fb8aa3b, v4
	v_cndmask_b32_e32 v2, 0x7f800000, v2, vcc_lo
	v_cmp_ngt_f32_e32 vcc_lo, 0xc2ce8ed0, v15
	v_rndne_f32_e32 v17, v16
	v_cndmask_b32_e32 v1, 0, v1, vcc_lo
	v_cmp_nlt_f32_e32 vcc_lo, 0x42b17218, v15
	v_add_f32_e32 v0, v0, v2
	v_cvt_i32_f32_e32 v2, v19
	s_delay_alu instid0(VALU_DEP_4) | instskip(SKIP_1) | instid1(VALU_DEP_3)
	v_cndmask_b32_e32 v1, 0x7f800000, v1, vcc_lo
	v_cmp_ngt_f32_e32 vcc_lo, 0xc2ce8ed0, v14
	v_ldexp_f32 v2, v3, v2
	v_rndne_f32_e32 v3, v5
	s_delay_alu instid0(VALU_DEP_4) | instskip(SKIP_1) | instid1(VALU_DEP_3)
	v_add_f32_e32 v0, v0, v1
	v_fma_f32 v1, 0x3fb8aa3b, v4, -v5
	v_sub_f32_e32 v5, v5, v3
	v_cvt_i32_f32_e32 v3, v3
	s_delay_alu instid0(VALU_DEP_3) | instskip(SKIP_1) | instid1(VALU_DEP_2)
	v_dual_fmac_f32 v1, 0x32a5705f, v4 :: v_dual_cndmask_b32 v2, 0, v2
	v_cmp_nlt_f32_e32 vcc_lo, 0x42b17218, v14
	v_dual_mul_f32 v14, 0x3fb8aa3b, v10 :: v_dual_add_f32 v1, v5, v1
	v_rndne_f32_e32 v5, v13
	s_delay_alu instid0(VALU_DEP_4) | instskip(SKIP_1) | instid1(VALU_DEP_4)
	v_cndmask_b32_e32 v2, 0x7f800000, v2, vcc_lo
	v_cmp_ngt_f32_e32 vcc_lo, 0xc2ce8ed0, v4
	v_rndne_f32_e32 v15, v14
	v_exp_f32_e32 v1, v1
	v_sub_f32_e32 v12, v13, v5
	v_cvt_i32_f32_e32 v5, v5
	s_waitcnt_depctr 0xfff
	v_ldexp_f32 v1, v1, v3
	v_add_f32_e32 v0, v0, v2
	v_fma_f32 v2, 0x3fb8aa3b, v11, -v13
	v_fma_f32 v13, 0x3fb8aa3b, v10, -v14
	s_delay_alu instid0(VALU_DEP_4) | instskip(SKIP_1) | instid1(VALU_DEP_3)
	v_cndmask_b32_e32 v1, 0, v1, vcc_lo
	v_cmp_nlt_f32_e32 vcc_lo, 0x42b17218, v4
	v_dual_fmac_f32 v2, 0x32a5705f, v11 :: v_dual_fmac_f32 v13, 0x32a5705f, v10
	v_cvt_i32_f32_e32 v4, v15
	s_delay_alu instid0(VALU_DEP_2) | instskip(SKIP_3) | instid1(VALU_DEP_4)
	v_dual_cndmask_b32 v1, 0x7f800000, v1 :: v_dual_add_f32 v2, v12, v2
	v_sub_f32_e32 v12, v14, v15
	v_fma_f32 v14, 0x3fb8aa3b, v9, -v16
	v_cmp_ngt_f32_e32 vcc_lo, 0xc2ce8ed0, v11
	v_add_f32_e32 v0, v0, v1
	v_exp_f32_e32 v2, v2
	v_add_f32_e32 v3, v12, v13
	v_fmac_f32_e32 v14, 0x32a5705f, v9
	v_sub_f32_e32 v12, v16, v17
	s_delay_alu instid0(VALU_DEP_3) | instskip(NEXT) | instid1(VALU_DEP_1)
	v_exp_f32_e32 v3, v3
	v_add_f32_e32 v12, v12, v14
	s_waitcnt_depctr 0xfff
	v_ldexp_f32 v2, v2, v5
	v_exp_f32_e32 v5, v12
	s_delay_alu instid0(VALU_DEP_1) | instskip(SKIP_3) | instid1(VALU_DEP_4)
	v_cndmask_b32_e32 v2, 0, v2, vcc_lo
	v_cmp_nlt_f32_e32 vcc_lo, 0x42b17218, v11
	v_ldexp_f32 v1, v3, v4
	v_cvt_i32_f32_e32 v3, v17
	v_cndmask_b32_e32 v2, 0x7f800000, v2, vcc_lo
	v_cmp_ngt_f32_e32 vcc_lo, 0xc2ce8ed0, v10
	s_delay_alu instid0(TRANS32_DEP_1) | instid1(VALU_DEP_3)
	v_ldexp_f32 v3, v5, v3
	s_delay_alu instid0(VALU_DEP_3) | instskip(SKIP_1) | instid1(VALU_DEP_2)
	v_dual_add_f32 v0, v0, v2 :: v_dual_cndmask_b32 v1, 0, v1
	v_cmp_nlt_f32_e32 vcc_lo, 0x42b17218, v10
	v_cndmask_b32_e32 v1, 0x7f800000, v1, vcc_lo
	v_cmp_ngt_f32_e32 vcc_lo, 0xc2ce8ed0, v9
	s_delay_alu instid0(VALU_DEP_2) | instskip(SKIP_2) | instid1(VALU_DEP_2)
	v_add_f32_e32 v0, v0, v1
	v_cndmask_b32_e32 v2, 0, v3, vcc_lo
	v_cmp_nlt_f32_e32 vcc_lo, 0x42b17218, v9
	v_cndmask_b32_e32 v1, 0x7f800000, v2, vcc_lo
	v_cmp_eq_u32_e32 vcc_lo, 0, v8
	s_delay_alu instid0(VALU_DEP_2) | instskip(NEXT) | instid1(VALU_DEP_1)
	v_add_f32_e32 v0, v0, v1
	v_mov_b32_dpp v1, v0 quad_perm:[1,0,3,2] row_mask:0xf bank_mask:0xf
	s_delay_alu instid0(VALU_DEP_1) | instskip(NEXT) | instid1(VALU_DEP_1)
	v_add_f32_e32 v0, v0, v1
	v_mov_b32_dpp v1, v0 quad_perm:[2,3,0,1] row_mask:0xf bank_mask:0xf
	s_and_b32 exec_lo, exec_lo, vcc_lo
	s_cbranch_execz .LBB167_21
; %bb.17:
	s_delay_alu instid0(VALU_DEP_1) | instskip(NEXT) | instid1(VALU_DEP_1)
	v_add_f32_e32 v0, v0, v1
	v_add_f32_e32 v0, v6, v0
	s_delay_alu instid0(VALU_DEP_1)
	v_cmp_neq_f32_e32 vcc_lo, 0, v0
	s_and_b32 exec_lo, exec_lo, vcc_lo
	s_cbranch_execz .LBB167_21
; %bb.18:
	s_and_not1_b32 vcc_lo, exec_lo, s3
	s_cbranch_vccnz .LBB167_21
; %bb.19:
	v_div_scale_f32 v2, null, v0, v0, 1.0
	v_div_scale_f32 v4, vcc_lo, 1.0, v0, 1.0
	s_delay_alu instid0(VALU_DEP_2) | instskip(SKIP_2) | instid1(VALU_DEP_1)
	v_rcp_f32_e32 v3, v2
	s_waitcnt_depctr 0xfff
	v_fma_f32 v1, -v2, v3, 1.0
	v_fmac_f32_e32 v3, v1, v3
	v_mul_lo_u32 v1, v7, s7
	s_delay_alu instid0(VALU_DEP_2) | instskip(NEXT) | instid1(VALU_DEP_1)
	v_mul_f32_e32 v5, v4, v3
	v_fma_f32 v6, -v2, v5, v4
	s_delay_alu instid0(VALU_DEP_1) | instskip(NEXT) | instid1(VALU_DEP_1)
	v_fmac_f32_e32 v5, v6, v3
	v_fma_f32 v4, -v2, v5, v4
	v_ashrrev_i32_e32 v2, 31, v1
	s_delay_alu instid0(VALU_DEP_2) | instskip(NEXT) | instid1(VALU_DEP_2)
	v_div_fmas_f32 v5, v4, v3, v5
	v_lshlrev_b64 v[3:4], 2, v[1:2]
	s_delay_alu instid0(VALU_DEP_2) | instskip(NEXT) | instid1(VALU_DEP_2)
	v_div_fixup_f32 v2, v5, v0, 1.0
	v_add_co_u32 v0, vcc_lo, s12, v3
	s_delay_alu instid0(VALU_DEP_3)
	v_add_co_ci_u32_e32 v1, vcc_lo, s13, v4, vcc_lo
.LBB167_20:                             ; =>This Inner Loop Header: Depth=1
	global_load_b32 v3, v[0:1], off
	s_add_i32 s4, s4, -1
	s_delay_alu instid0(SALU_CYCLE_1)
	s_cmp_lg_u32 s4, 0
	s_waitcnt vmcnt(0)
	v_mul_f32_e32 v3, v2, v3
	global_store_b32 v[0:1], v3, off
	v_add_co_u32 v0, vcc_lo, v0, 4
	v_add_co_ci_u32_e32 v1, vcc_lo, 0, v1, vcc_lo
	s_cbranch_scc1 .LBB167_20
.LBB167_21:
	s_nop 0
	s_sendmsg sendmsg(MSG_DEALLOC_VGPRS)
	s_endpgm
	.section	.rodata,"a",@progbits
	.p2align	6, 0x0
	.amdhsa_kernel _ZN4vllm3moe17topkGatingSoftmaxIDF16_Li16ELi64ELi8ELi32ELb0ELi0ELNS0_23SharedExpertScoringFuncE0EEEvPKT_PKbPfiPiS9_iiiiii
		.amdhsa_group_segment_fixed_size 0
		.amdhsa_private_segment_fixed_size 0
		.amdhsa_kernarg_size 72
		.amdhsa_user_sgpr_count 15
		.amdhsa_user_sgpr_dispatch_ptr 0
		.amdhsa_user_sgpr_queue_ptr 0
		.amdhsa_user_sgpr_kernarg_segment_ptr 1
		.amdhsa_user_sgpr_dispatch_id 0
		.amdhsa_user_sgpr_private_segment_size 0
		.amdhsa_wavefront_size32 1
		.amdhsa_uses_dynamic_stack 0
		.amdhsa_enable_private_segment 0
		.amdhsa_system_sgpr_workgroup_id_x 1
		.amdhsa_system_sgpr_workgroup_id_y 0
		.amdhsa_system_sgpr_workgroup_id_z 0
		.amdhsa_system_sgpr_workgroup_info 0
		.amdhsa_system_vgpr_workitem_id 1
		.amdhsa_next_free_vgpr 53
		.amdhsa_next_free_sgpr 19
		.amdhsa_reserve_vcc 1
		.amdhsa_float_round_mode_32 0
		.amdhsa_float_round_mode_16_64 0
		.amdhsa_float_denorm_mode_32 3
		.amdhsa_float_denorm_mode_16_64 3
		.amdhsa_dx10_clamp 1
		.amdhsa_ieee_mode 1
		.amdhsa_fp16_overflow 0
		.amdhsa_workgroup_processor_mode 1
		.amdhsa_memory_ordered 1
		.amdhsa_forward_progress 0
		.amdhsa_shared_vgpr_count 0
		.amdhsa_exception_fp_ieee_invalid_op 0
		.amdhsa_exception_fp_denorm_src 0
		.amdhsa_exception_fp_ieee_div_zero 0
		.amdhsa_exception_fp_ieee_overflow 0
		.amdhsa_exception_fp_ieee_underflow 0
		.amdhsa_exception_fp_ieee_inexact 0
		.amdhsa_exception_int_div_zero 0
	.end_amdhsa_kernel
	.section	.text._ZN4vllm3moe17topkGatingSoftmaxIDF16_Li16ELi64ELi8ELi32ELb0ELi0ELNS0_23SharedExpertScoringFuncE0EEEvPKT_PKbPfiPiS9_iiiiii,"axG",@progbits,_ZN4vllm3moe17topkGatingSoftmaxIDF16_Li16ELi64ELi8ELi32ELb0ELi0ELNS0_23SharedExpertScoringFuncE0EEEvPKT_PKbPfiPiS9_iiiiii,comdat
.Lfunc_end167:
	.size	_ZN4vllm3moe17topkGatingSoftmaxIDF16_Li16ELi64ELi8ELi32ELb0ELi0ELNS0_23SharedExpertScoringFuncE0EEEvPKT_PKbPfiPiS9_iiiiii, .Lfunc_end167-_ZN4vllm3moe17topkGatingSoftmaxIDF16_Li16ELi64ELi8ELi32ELb0ELi0ELNS0_23SharedExpertScoringFuncE0EEEvPKT_PKbPfiPiS9_iiiiii
                                        ; -- End function
	.section	.AMDGPU.csdata,"",@progbits
; Kernel info:
; codeLenInByte = 4996
; NumSgprs: 21
; NumVgprs: 53
; ScratchSize: 0
; MemoryBound: 0
; FloatMode: 240
; IeeeMode: 1
; LDSByteSize: 0 bytes/workgroup (compile time only)
; SGPRBlocks: 2
; VGPRBlocks: 6
; NumSGPRsForWavesPerEU: 21
; NumVGPRsForWavesPerEU: 53
; Occupancy: 16
; WaveLimiterHint : 0
; COMPUTE_PGM_RSRC2:SCRATCH_EN: 0
; COMPUTE_PGM_RSRC2:USER_SGPR: 15
; COMPUTE_PGM_RSRC2:TRAP_HANDLER: 0
; COMPUTE_PGM_RSRC2:TGID_X_EN: 1
; COMPUTE_PGM_RSRC2:TGID_Y_EN: 0
; COMPUTE_PGM_RSRC2:TGID_Z_EN: 0
; COMPUTE_PGM_RSRC2:TIDIG_COMP_CNT: 1
	.section	.text._ZN4vllm3moe17topkGatingSoftmaxIDF16_Li16ELi64ELi8ELi32ELb1ELi1ELNS0_23SharedExpertScoringFuncE1EEEvPKT_PKbPfiPiS9_iiiiii,"axG",@progbits,_ZN4vllm3moe17topkGatingSoftmaxIDF16_Li16ELi64ELi8ELi32ELb1ELi1ELNS0_23SharedExpertScoringFuncE1EEEvPKT_PKbPfiPiS9_iiiiii,comdat
	.protected	_ZN4vllm3moe17topkGatingSoftmaxIDF16_Li16ELi64ELi8ELi32ELb1ELi1ELNS0_23SharedExpertScoringFuncE1EEEvPKT_PKbPfiPiS9_iiiiii ; -- Begin function _ZN4vllm3moe17topkGatingSoftmaxIDF16_Li16ELi64ELi8ELi32ELb1ELi1ELNS0_23SharedExpertScoringFuncE1EEEvPKT_PKbPfiPiS9_iiiiii
	.globl	_ZN4vllm3moe17topkGatingSoftmaxIDF16_Li16ELi64ELi8ELi32ELb1ELi1ELNS0_23SharedExpertScoringFuncE1EEEvPKT_PKbPfiPiS9_iiiiii
	.p2align	8
	.type	_ZN4vllm3moe17topkGatingSoftmaxIDF16_Li16ELi64ELi8ELi32ELb1ELi1ELNS0_23SharedExpertScoringFuncE1EEEvPKT_PKbPfiPiS9_iiiiii,@function
_ZN4vllm3moe17topkGatingSoftmaxIDF16_Li16ELi64ELi8ELi32ELb1ELi1ELNS0_23SharedExpertScoringFuncE1EEEvPKT_PKbPfiPiS9_iiiiii: ; @_ZN4vllm3moe17topkGatingSoftmaxIDF16_Li16ELi64ELi8ELi32ELb1ELi1ELNS0_23SharedExpertScoringFuncE1EEEvPKT_PKbPfiPiS9_iiiiii
; %bb.0:
	s_load_b32 s16, s[0:1], 0x18
	v_bfe_u32 v1, v0, 10, 10
	v_and_b32_e32 v0, 0x3ff, v0
	s_lshl_b32 s18, s15, 6
	s_mov_b32 s2, exec_lo
	s_delay_alu instid0(VALU_DEP_2) | instskip(NEXT) | instid1(VALU_DEP_2)
	v_lshlrev_b32_e32 v42, 3, v1
	v_lshrrev_b32_e32 v43, 2, v0
	s_delay_alu instid0(VALU_DEP_1) | instskip(SKIP_1) | instid1(VALU_DEP_1)
	v_add3_u32 v10, s18, v42, v43
	s_waitcnt lgkmcnt(0)
	v_cmpx_gt_i32_e64 s16, v10
	s_cbranch_execz .LBB168_22
; %bb.1:
	s_clause 0x1
	s_load_b128 s[4:7], s[0:1], 0x0
	s_load_b64 s[12:13], s[0:1], 0x10
	s_waitcnt lgkmcnt(0)
	s_cmp_eq_u64 s[6:7], 0
	s_cbranch_scc1 .LBB168_3
; %bb.2:
	v_ashrrev_i32_e32 v2, 31, v10
	v_add_co_u32 v1, vcc_lo, s6, v10
	s_delay_alu instid0(VALU_DEP_2) | instskip(SKIP_3) | instid1(VALU_DEP_1)
	v_add_co_ci_u32_e32 v2, vcc_lo, s7, v2, vcc_lo
	global_load_u8 v1, v[1:2], off
	s_waitcnt vmcnt(0)
	v_and_b32_e32 v1, 1, v1
	v_cmp_eq_u32_e32 vcc_lo, 1, v1
	s_xor_b32 s2, vcc_lo, -1
	s_delay_alu instid0(SALU_CYCLE_1)
	s_or_not1_b32 s17, s2, exec_lo
	s_branch .LBB168_4
.LBB168_3:
	s_mov_b32 s17, -1
.LBB168_4:
	s_clause 0x1
	s_load_b64 s[14:15], s[0:1], 0x40
	s_load_b128 s[8:11], s[0:1], 0x30
	v_and_b32_e32 v11, 3, v0
	s_delay_alu instid0(VALU_DEP_1) | instskip(SKIP_3) | instid1(VALU_DEP_1)
	v_dual_mov_b32 v13, 0 :: v_dual_lshlrev_b32 v12, 4, v11
	v_cmp_eq_u32_e64 s2, 0, v11
	s_waitcnt lgkmcnt(0)
	v_mul_lo_u32 v1, v10, s15
	v_ashrrev_i32_e32 v2, 31, v1
	s_delay_alu instid0(VALU_DEP_1) | instskip(SKIP_1) | instid1(VALU_DEP_2)
	v_lshlrev_b64 v[0:1], 1, v[1:2]
	v_lshlrev_b32_e32 v2, 5, v11
	v_add_co_u32 v8, vcc_lo, s4, v0
	s_delay_alu instid0(VALU_DEP_3) | instskip(NEXT) | instid1(VALU_DEP_2)
	v_add_co_ci_u32_e32 v9, vcc_lo, s5, v1, vcc_lo
	v_add_co_u32 v4, vcc_lo, v8, v2
	s_delay_alu instid0(VALU_DEP_2)
	v_add_co_ci_u32_e32 v5, vcc_lo, 0, v9, vcc_lo
	s_clause 0x1
	global_load_b128 v[0:3], v[4:5], off offset:16
	global_load_b128 v[4:7], v[4:5], off
	s_and_saveexec_b32 s3, s2
	s_cbranch_execz .LBB168_6
; %bb.5:
	global_load_u16 v8, v[8:9], off offset:128
	s_mov_b32 s4, 0x3fb8aa3b
	s_waitcnt vmcnt(0)
	v_cvt_f32_f16_e64 v9, -v8
	s_delay_alu instid0(VALU_DEP_1) | instskip(SKIP_1) | instid1(VALU_DEP_2)
	v_mul_f32_e32 v14, 0x3fb8aa3b, v9
	v_cmp_ngt_f32_e32 vcc_lo, 0xc2ce8ed0, v9
	v_rndne_f32_e32 v15, v14
	v_fma_mix_f32 v16, -v8, s4, -v14 op_sel_hi:[1,0,0]
	s_mov_b32 s4, 0x32a5705f
	s_delay_alu instid0(VALU_DEP_2) | instskip(NEXT) | instid1(VALU_DEP_2)
	v_sub_f32_e32 v14, v14, v15
	v_fma_mix_f32 v8, -v8, s4, v16 op_sel_hi:[1,0,0]
	s_delay_alu instid0(VALU_DEP_1) | instskip(SKIP_1) | instid1(VALU_DEP_2)
	v_add_f32_e32 v8, v14, v8
	v_cvt_i32_f32_e32 v14, v15
	v_exp_f32_e32 v8, v8
	s_waitcnt_depctr 0xfff
	v_ldexp_f32 v8, v8, v14
	s_delay_alu instid0(VALU_DEP_1) | instskip(SKIP_1) | instid1(VALU_DEP_2)
	v_cndmask_b32_e32 v8, 0, v8, vcc_lo
	v_cmp_nlt_f32_e32 vcc_lo, 0x42b17218, v9
	v_cndmask_b32_e32 v8, 0x7f800000, v8, vcc_lo
	s_delay_alu instid0(VALU_DEP_1) | instskip(NEXT) | instid1(VALU_DEP_1)
	v_add_f32_e32 v14, 1.0, v8
	v_div_scale_f32 v15, null, v14, v14, 1.0
	v_div_scale_f32 v17, vcc_lo, 1.0, v14, 1.0
	s_delay_alu instid0(VALU_DEP_2) | instskip(SKIP_2) | instid1(VALU_DEP_1)
	v_rcp_f32_e32 v16, v15
	s_waitcnt_depctr 0xfff
	v_fma_f32 v8, -v15, v16, 1.0
	v_fmac_f32_e32 v16, v8, v16
	v_mad_u64_u32 v[8:9], null, v10, s11, s[8:9]
	s_delay_alu instid0(VALU_DEP_2) | instskip(NEXT) | instid1(VALU_DEP_2)
	v_mul_f32_e32 v18, v17, v16
	v_ashrrev_i32_e32 v9, 31, v8
	s_delay_alu instid0(VALU_DEP_2) | instskip(NEXT) | instid1(VALU_DEP_2)
	v_fma_f32 v19, -v15, v18, v17
	v_lshlrev_b64 v[8:9], 2, v[8:9]
	s_delay_alu instid0(VALU_DEP_2) | instskip(NEXT) | instid1(VALU_DEP_1)
	v_fmac_f32_e32 v18, v19, v16
	v_fma_f32 v15, -v15, v18, v17
	s_delay_alu instid0(VALU_DEP_1) | instskip(NEXT) | instid1(VALU_DEP_4)
	v_div_fmas_f32 v15, v15, v16, v18
	v_add_co_u32 v8, vcc_lo, s12, v8
	v_add_co_ci_u32_e32 v9, vcc_lo, s13, v9, vcc_lo
	s_delay_alu instid0(VALU_DEP_3)
	v_div_fixup_f32 v14, v15, v14, 1.0
	global_store_b32 v[8:9], v14, off
.LBB168_6:
	s_or_b32 exec_lo, exec_lo, s3
	s_waitcnt vmcnt(0)
	v_lshrrev_b32_e32 v15, 16, v4
	v_cvt_f32_f16_e32 v8, v4
	v_or_b32_e32 v9, 1, v12
	v_or_b32_e32 v16, 2, v12
	v_cvt_f32_f16_e32 v19, v6
	v_cvt_f32_f16_e32 v14, v15
	v_cmp_lt_f16_e32 vcc_lo, v4, v15
	v_cvt_f32_f16_e32 v15, v5
	v_lshrrev_b32_e32 v5, 16, v5
	v_lshrrev_b32_e32 v6, 16, v6
	v_or_b32_e32 v20, 4, v12
	v_cvt_f32_f16_e32 v23, v7
	v_or_b32_e32 v22, 5, v12
	v_cvt_f32_f16_e32 v17, v5
	v_cndmask_b32_e32 v18, v8, v14, vcc_lo
	v_cndmask_b32_e32 v4, v12, v9, vcc_lo
	v_cvt_f32_f16_e32 v21, v6
	v_lshrrev_b32_e32 v6, 16, v7
	v_or_b32_e32 v7, 6, v12
	v_cmp_lt_f32_e32 vcc_lo, v18, v15
	v_cvt_f32_f16_e32 v30, v1
	v_lshrrev_b32_e32 v1, 16, v1
	v_cvt_f32_f16_e32 v24, v6
	v_or_b32_e32 v25, 7, v12
	v_dual_cndmask_b32 v5, v18, v15 :: v_dual_cndmask_b32 v4, v4, v16
	v_or_b32_e32 v18, 3, v12
	v_cvt_f32_f16_e32 v32, v1
	v_cvt_f32_f16_e32 v26, v0
	s_delay_alu instid0(VALU_DEP_4)
	v_cmp_lt_f32_e32 vcc_lo, v5, v17
	v_lshrrev_b32_e32 v0, 16, v0
	v_or_b32_e32 v27, 8, v12
	v_cvt_f32_f16_e32 v34, v2
	v_lshrrev_b32_e32 v2, 16, v2
	v_dual_cndmask_b32 v5, v5, v17 :: v_dual_cndmask_b32 v4, v4, v18
	v_cvt_f32_f16_e32 v28, v0
	v_or_b32_e32 v29, 9, v12
	s_delay_alu instid0(VALU_DEP_4) | instskip(NEXT) | instid1(VALU_DEP_4)
	v_cvt_f32_f16_e32 v36, v2
	v_cmp_lt_f32_e32 vcc_lo, v5, v19
	v_cvt_f32_f16_e32 v38, v3
	v_or_b32_e32 v31, 10, v12
	v_lshrrev_b32_e32 v2, 16, v3
	v_or_b32_e32 v33, 11, v12
	v_dual_cndmask_b32 v5, v5, v19 :: v_dual_cndmask_b32 v4, v4, v20
	v_or_b32_e32 v35, 12, v12
	s_delay_alu instid0(VALU_DEP_4) | instskip(SKIP_1) | instid1(VALU_DEP_4)
	v_cvt_f32_f16_e32 v40, v2
	v_or_b32_e32 v37, 13, v12
	v_cmp_lt_f32_e32 vcc_lo, v5, v21
	v_or_b32_e32 v39, 14, v12
	v_or_b32_e32 v41, 15, v12
	v_dual_cndmask_b32 v5, v5, v21 :: v_dual_cndmask_b32 v4, v4, v22
	s_delay_alu instid0(VALU_DEP_1) | instskip(SKIP_1) | instid1(VALU_DEP_3)
	v_cmp_lt_f32_e32 vcc_lo, v5, v23
	v_cndmask_b32_e32 v5, v5, v23, vcc_lo
	v_cndmask_b32_e32 v4, v4, v7, vcc_lo
	s_delay_alu instid0(VALU_DEP_2) | instskip(NEXT) | instid1(VALU_DEP_2)
	v_cmp_lt_f32_e32 vcc_lo, v5, v24
	v_dual_cndmask_b32 v5, v5, v24 :: v_dual_cndmask_b32 v4, v4, v25
	s_delay_alu instid0(VALU_DEP_1) | instskip(NEXT) | instid1(VALU_DEP_2)
	v_cmp_lt_f32_e32 vcc_lo, v5, v26
	v_cndmask_b32_e32 v0, v4, v27, vcc_lo
	v_cndmask_b32_e32 v4, v5, v26, vcc_lo
	s_delay_alu instid0(VALU_DEP_1) | instskip(SKIP_1) | instid1(VALU_DEP_4)
	v_cmp_lt_f32_e32 vcc_lo, v4, v28
	v_cndmask_b32_e32 v4, v4, v28, vcc_lo
	v_cndmask_b32_e32 v0, v0, v29, vcc_lo
	s_delay_alu instid0(VALU_DEP_2) | instskip(SKIP_1) | instid1(VALU_DEP_3)
	v_cmp_lt_f32_e32 vcc_lo, v4, v30
	v_cndmask_b32_e32 v1, v4, v30, vcc_lo
	v_cndmask_b32_e32 v0, v0, v31, vcc_lo
	s_delay_alu instid0(VALU_DEP_2) | instskip(NEXT) | instid1(VALU_DEP_2)
	v_cmp_lt_f32_e32 vcc_lo, v1, v32
	v_dual_cndmask_b32 v1, v1, v32 :: v_dual_cndmask_b32 v0, v0, v33
	s_delay_alu instid0(VALU_DEP_1) | instskip(NEXT) | instid1(VALU_DEP_2)
	v_cmp_lt_f32_e32 vcc_lo, v1, v34
	v_dual_cndmask_b32 v1, v1, v34 :: v_dual_cndmask_b32 v0, v0, v35
	s_delay_alu instid0(VALU_DEP_1) | instskip(NEXT) | instid1(VALU_DEP_2)
	;; [unrolled: 3-line block ×5, first 2 shown]
	v_mov_b32_dpp v2, v1 quad_perm:[1,0,3,2] row_mask:0xf bank_mask:0xf
	v_mov_b32_dpp v3, v0 quad_perm:[1,0,3,2] row_mask:0xf bank_mask:0xf
	s_delay_alu instid0(VALU_DEP_2) | instskip(NEXT) | instid1(VALU_DEP_2)
	v_cmp_eq_f32_e64 s3, v1, v2
	v_cmp_lt_i32_e32 vcc_lo, v3, v0
	v_cmp_lt_f32_e64 s4, v1, v2
	s_delay_alu instid0(VALU_DEP_3)
	s_and_b32 s3, s3, vcc_lo
	s_delay_alu instid0(VALU_DEP_1) | instid1(SALU_CYCLE_1)
	s_or_b32 vcc_lo, s4, s3
	s_cmp_gt_i32 s8, 0
	v_cndmask_b32_e32 v2, v1, v2, vcc_lo
	v_cndmask_b32_e32 v0, v0, v3, vcc_lo
	s_cselect_b32 s3, -1, 0
	s_delay_alu instid0(SALU_CYCLE_1) | instskip(NEXT) | instid1(VALU_DEP_2)
	s_and_b32 vcc_lo, exec_lo, s3
	v_mov_b32_dpp v4, v2 quad_perm:[2,3,0,1] row_mask:0xf bank_mask:0xf
	s_delay_alu instid0(VALU_DEP_2)
	v_mov_b32_dpp v6, v0 quad_perm:[2,3,0,1] row_mask:0xf bank_mask:0xf
	s_cbranch_vccz .LBB168_18
; %bb.7:
	s_load_b128 s[4:7], s[0:1], 0x20
	s_delay_alu instid0(VALU_DEP_2) | instskip(NEXT) | instid1(VALU_DEP_2)
	v_cmp_eq_f32_e32 vcc_lo, v2, v4
	v_cmp_lt_i32_e64 s0, v6, v0
	v_cmp_lt_f32_e64 s1, v2, v4
	v_mul_lo_u32 v1, v10, s11
	v_mul_lo_u32 v3, v10, s14
	;; [unrolled: 1-line block ×3, first 2 shown]
	s_and_b32 s0, vcc_lo, s0
	v_mov_b32_e32 v13, 0
	s_or_b32 vcc_lo, s1, s0
	v_cndmask_b32_e32 v0, v0, v6, vcc_lo
	v_cndmask_b32_e32 v44, v2, v4, vcc_lo
	s_and_saveexec_b32 s1, s2
	s_cbranch_execz .LBB168_9
; %bb.8:
	s_delay_alu instid0(VALU_DEP_1)
	v_sub_f32_e32 v13, v44, v44
	v_cmp_le_i32_e32 vcc_lo, s9, v0
	v_cmp_gt_i32_e64 s0, s10, v0
	v_subrev_nc_u32_e32 v51, s9, v0
	v_ashrrev_i32_e32 v6, 31, v5
	v_mul_f32_e32 v2, 0x3fb8aa3b, v13
	s_delay_alu instid0(VALU_DEP_4) | instskip(NEXT) | instid1(SALU_CYCLE_1)
	s_and_b32 s0, vcc_lo, s0
	s_and_b32 vcc_lo, s17, s0
	s_delay_alu instid0(VALU_DEP_1) | instskip(SKIP_2) | instid1(VALU_DEP_3)
	v_rndne_f32_e32 v47, v2
	v_fma_f32 v4, 0x3fb8aa3b, v13, -v2
	v_lshlrev_b64 v[49:50], 2, v[5:6]
	v_sub_f32_e32 v2, v2, v47
	s_delay_alu instid0(VALU_DEP_3) | instskip(NEXT) | instid1(VALU_DEP_1)
	v_fmamk_f32 v4, v13, 0x32a5705f, v4
	v_add_f32_e32 v4, v2, v4
	v_ashrrev_i32_e32 v2, 31, v1
	s_delay_alu instid0(VALU_DEP_2) | instskip(NEXT) | instid1(VALU_DEP_1)
	v_exp_f32_e32 v52, v4
	v_lshlrev_b64 v[45:46], 2, v[1:2]
	v_ashrrev_i32_e32 v4, 31, v3
	v_cvt_i32_f32_e32 v2, v47
	s_delay_alu instid0(VALU_DEP_2) | instskip(SKIP_3) | instid1(TRANS32_DEP_1)
	v_lshlrev_b64 v[47:48], 2, v[3:4]
	v_cndmask_b32_e32 v4, 64, v51, vcc_lo
	v_add_co_u32 v45, vcc_lo, s12, v45
	v_add_co_ci_u32_e32 v46, vcc_lo, s13, v46, vcc_lo
	v_ldexp_f32 v2, v52, v2
	v_cmp_ngt_f32_e32 vcc_lo, 0xc2ce8ed0, v13
	s_delay_alu instid0(VALU_DEP_2)
	v_cndmask_b32_e32 v2, 0, v2, vcc_lo
	s_waitcnt lgkmcnt(0)
	v_add_co_u32 v47, vcc_lo, s4, v47
	v_add_co_ci_u32_e32 v48, vcc_lo, s5, v48, vcc_lo
	v_cmp_nlt_f32_e32 vcc_lo, 0x42b17218, v13
	v_cndmask_b32_e32 v13, 0x7f800000, v2, vcc_lo
	v_add_co_u32 v49, vcc_lo, s6, v49
	v_add_co_ci_u32_e32 v50, vcc_lo, s7, v50, vcc_lo
	global_store_b32 v[47:48], v4, off
	global_store_b32 v[45:46], v13, off
	;; [unrolled: 1-line block ×3, first 2 shown]
.LBB168_9:
	s_or_b32 exec_lo, exec_lo, s1
	v_ashrrev_i32_e32 v4, 31, v0
	s_mov_b32 s0, exec_lo
	s_delay_alu instid0(VALU_DEP_1) | instskip(NEXT) | instid1(VALU_DEP_1)
	v_lshrrev_b32_e32 v2, 28, v4
	v_add_nc_u32_e32 v2, v0, v2
	s_delay_alu instid0(VALU_DEP_1) | instskip(NEXT) | instid1(VALU_DEP_1)
	v_ashrrev_i32_e32 v2, 4, v2
	v_lshrrev_b32_e32 v6, 30, v2
	s_delay_alu instid0(VALU_DEP_1) | instskip(NEXT) | instid1(VALU_DEP_1)
	v_add_nc_u32_e32 v6, v2, v6
	v_and_b32_e32 v6, -4, v6
	s_delay_alu instid0(VALU_DEP_1) | instskip(NEXT) | instid1(VALU_DEP_1)
	v_sub_nc_u32_e32 v6, v2, v6
	v_cmpx_eq_u32_e64 v11, v6
	s_cbranch_execz .LBB168_11
; %bb.10:
	v_lshrrev_b32_e32 v4, 26, v4
	v_lshlrev_b32_e32 v2, 4, v2
	s_delay_alu instid0(VALU_DEP_2) | instskip(NEXT) | instid1(VALU_DEP_2)
	v_add_nc_u32_e32 v4, v0, v4
	v_sub_nc_u32_e32 v0, v0, v2
	s_delay_alu instid0(VALU_DEP_2) | instskip(NEXT) | instid1(VALU_DEP_1)
	v_ashrrev_i32_e32 v2, 6, v4
	v_lshl_add_u32 v0, v2, 4, v0
	s_delay_alu instid0(VALU_DEP_1)
	v_cmp_ne_u32_e32 vcc_lo, 15, v0
	v_cndmask_b32_e32 v40, 0xff800000, v40, vcc_lo
	v_cmp_ne_u32_e32 vcc_lo, 14, v0
	v_cndmask_b32_e32 v38, 0xff800000, v38, vcc_lo
	v_cmp_ne_u32_e32 vcc_lo, 13, v0
	v_cndmask_b32_e32 v36, 0xff800000, v36, vcc_lo
	v_cmp_ne_u32_e32 vcc_lo, 12, v0
	v_cndmask_b32_e32 v34, 0xff800000, v34, vcc_lo
	v_cmp_ne_u32_e32 vcc_lo, 11, v0
	v_cndmask_b32_e32 v32, 0xff800000, v32, vcc_lo
	v_cmp_ne_u32_e32 vcc_lo, 10, v0
	v_cndmask_b32_e32 v30, 0xff800000, v30, vcc_lo
	v_cmp_ne_u32_e32 vcc_lo, 9, v0
	v_cndmask_b32_e32 v28, 0xff800000, v28, vcc_lo
	v_cmp_ne_u32_e32 vcc_lo, 8, v0
	v_cndmask_b32_e32 v26, 0xff800000, v26, vcc_lo
	v_cmp_ne_u32_e32 vcc_lo, 7, v0
	v_cndmask_b32_e32 v24, 0xff800000, v24, vcc_lo
	v_cmp_ne_u32_e32 vcc_lo, 6, v0
	v_cndmask_b32_e32 v23, 0xff800000, v23, vcc_lo
	v_cmp_ne_u32_e32 vcc_lo, 5, v0
	v_cndmask_b32_e32 v21, 0xff800000, v21, vcc_lo
	v_cmp_ne_u32_e32 vcc_lo, 4, v0
	v_cndmask_b32_e32 v19, 0xff800000, v19, vcc_lo
	v_cmp_ne_u32_e32 vcc_lo, 3, v0
	v_cndmask_b32_e32 v17, 0xff800000, v17, vcc_lo
	v_cmp_ne_u32_e32 vcc_lo, 2, v0
	v_cndmask_b32_e32 v15, 0xff800000, v15, vcc_lo
	v_cmp_ne_u32_e32 vcc_lo, 1, v0
	v_cndmask_b32_e32 v14, 0xff800000, v14, vcc_lo
	v_cmp_ne_u32_e32 vcc_lo, 0, v0
	v_cndmask_b32_e32 v8, 0xff800000, v8, vcc_lo
.LBB168_11:
	s_or_b32 exec_lo, exec_lo, s0
	s_cmp_eq_u32 s8, 1
	s_cbranch_scc1 .LBB168_18
; %bb.12:
	s_add_i32 s18, s18, s16
	v_add_nc_u32_e32 v0, 1, v5
	v_add3_u32 v6, s18, v43, v42
	v_add_nc_u32_e32 v2, 1, v3
	v_add_nc_u32_e32 v4, 1, v1
	s_add_i32 s14, s8, -1
	s_branch .LBB168_14
.LBB168_13:                             ;   in Loop: Header=BB168_14 Depth=1
	s_or_b32 exec_lo, exec_lo, s0
	v_add_nc_u32_e32 v6, s16, v6
	v_add_nc_u32_e32 v0, 1, v0
	;; [unrolled: 1-line block ×4, first 2 shown]
	s_add_i32 s14, s14, -1
	s_delay_alu instid0(SALU_CYCLE_1)
	s_cmp_eq_u32 s14, 0
	s_cbranch_scc1 .LBB168_18
.LBB168_14:                             ; =>This Inner Loop Header: Depth=1
	v_cmp_gt_f32_e32 vcc_lo, v14, v8
	v_cndmask_b32_e32 v3, v8, v14, vcc_lo
	v_cndmask_b32_e32 v1, v12, v9, vcc_lo
	s_delay_alu instid0(VALU_DEP_2) | instskip(SKIP_1) | instid1(VALU_DEP_3)
	v_cmp_gt_f32_e32 vcc_lo, v15, v3
	v_cndmask_b32_e32 v3, v3, v15, vcc_lo
	v_cndmask_b32_e32 v1, v1, v16, vcc_lo
	s_delay_alu instid0(VALU_DEP_2) | instskip(SKIP_1) | instid1(VALU_DEP_3)
	v_cmp_gt_f32_e32 vcc_lo, v17, v3
	v_cndmask_b32_e32 v3, v3, v17, vcc_lo
	v_cndmask_b32_e32 v1, v1, v18, vcc_lo
	s_delay_alu instid0(VALU_DEP_2) | instskip(SKIP_1) | instid1(VALU_DEP_3)
	v_cmp_gt_f32_e32 vcc_lo, v19, v3
	v_cndmask_b32_e32 v3, v3, v19, vcc_lo
	v_cndmask_b32_e32 v1, v1, v20, vcc_lo
	s_delay_alu instid0(VALU_DEP_2) | instskip(SKIP_1) | instid1(VALU_DEP_3)
	v_cmp_gt_f32_e32 vcc_lo, v21, v3
	v_cndmask_b32_e32 v3, v3, v21, vcc_lo
	v_cndmask_b32_e32 v1, v1, v22, vcc_lo
	s_delay_alu instid0(VALU_DEP_2) | instskip(SKIP_1) | instid1(VALU_DEP_3)
	v_cmp_gt_f32_e32 vcc_lo, v23, v3
	v_cndmask_b32_e32 v3, v3, v23, vcc_lo
	v_cndmask_b32_e32 v1, v1, v7, vcc_lo
	s_delay_alu instid0(VALU_DEP_2) | instskip(SKIP_1) | instid1(VALU_DEP_3)
	v_cmp_gt_f32_e32 vcc_lo, v24, v3
	v_cndmask_b32_e32 v3, v3, v24, vcc_lo
	v_cndmask_b32_e32 v1, v1, v25, vcc_lo
	s_delay_alu instid0(VALU_DEP_2) | instskip(SKIP_1) | instid1(VALU_DEP_3)
	v_cmp_gt_f32_e32 vcc_lo, v26, v3
	v_cndmask_b32_e32 v3, v3, v26, vcc_lo
	v_cndmask_b32_e32 v1, v1, v27, vcc_lo
	s_delay_alu instid0(VALU_DEP_2) | instskip(SKIP_1) | instid1(VALU_DEP_3)
	v_cmp_gt_f32_e32 vcc_lo, v28, v3
	v_cndmask_b32_e32 v3, v3, v28, vcc_lo
	v_cndmask_b32_e32 v1, v1, v29, vcc_lo
	s_delay_alu instid0(VALU_DEP_2) | instskip(SKIP_1) | instid1(VALU_DEP_3)
	v_cmp_gt_f32_e32 vcc_lo, v30, v3
	v_cndmask_b32_e32 v3, v3, v30, vcc_lo
	v_cndmask_b32_e32 v1, v1, v31, vcc_lo
	s_delay_alu instid0(VALU_DEP_2) | instskip(SKIP_1) | instid1(VALU_DEP_3)
	v_cmp_gt_f32_e32 vcc_lo, v32, v3
	v_cndmask_b32_e32 v3, v3, v32, vcc_lo
	v_cndmask_b32_e32 v1, v1, v33, vcc_lo
	s_delay_alu instid0(VALU_DEP_2) | instskip(SKIP_1) | instid1(VALU_DEP_3)
	v_cmp_gt_f32_e32 vcc_lo, v34, v3
	v_cndmask_b32_e32 v3, v3, v34, vcc_lo
	v_cndmask_b32_e32 v1, v1, v35, vcc_lo
	s_delay_alu instid0(VALU_DEP_2) | instskip(SKIP_1) | instid1(VALU_DEP_3)
	v_cmp_gt_f32_e32 vcc_lo, v36, v3
	v_cndmask_b32_e32 v3, v3, v36, vcc_lo
	v_cndmask_b32_e32 v1, v1, v37, vcc_lo
	s_delay_alu instid0(VALU_DEP_2) | instskip(SKIP_1) | instid1(VALU_DEP_3)
	v_cmp_gt_f32_e32 vcc_lo, v38, v3
	v_cndmask_b32_e32 v3, v3, v38, vcc_lo
	v_cndmask_b32_e32 v1, v1, v39, vcc_lo
	s_delay_alu instid0(VALU_DEP_2) | instskip(NEXT) | instid1(VALU_DEP_2)
	v_cmp_gt_f32_e32 vcc_lo, v40, v3
	v_cndmask_b32_e32 v5, v1, v41, vcc_lo
	v_cndmask_b32_e32 v1, v3, v40, vcc_lo
	s_delay_alu instid0(VALU_DEP_2) | instskip(NEXT) | instid1(VALU_DEP_2)
	v_mov_b32_dpp v3, v5 quad_perm:[1,0,3,2] row_mask:0xf bank_mask:0xf
	v_mov_b32_dpp v42, v1 quad_perm:[1,0,3,2] row_mask:0xf bank_mask:0xf
	s_delay_alu instid0(VALU_DEP_2) | instskip(NEXT) | instid1(VALU_DEP_2)
	v_cmp_lt_i32_e32 vcc_lo, v3, v5
	v_cmp_eq_f32_e64 s0, v1, v42
	v_cmp_lt_f32_e64 s1, v1, v42
	s_delay_alu instid0(VALU_DEP_2)
	s_and_b32 s0, s0, vcc_lo
	s_delay_alu instid0(VALU_DEP_1) | instid1(SALU_CYCLE_1)
	s_or_b32 vcc_lo, s1, s0
	v_cndmask_b32_e32 v1, v1, v42, vcc_lo
	v_cndmask_b32_e32 v5, v5, v3, vcc_lo
	s_delay_alu instid0(VALU_DEP_2) | instskip(NEXT) | instid1(VALU_DEP_2)
	v_mov_b32_dpp v3, v1 quad_perm:[2,3,0,1] row_mask:0xf bank_mask:0xf
	v_mov_b32_dpp v42, v5 quad_perm:[2,3,0,1] row_mask:0xf bank_mask:0xf
	s_delay_alu instid0(VALU_DEP_2) | instskip(NEXT) | instid1(VALU_DEP_2)
	v_cmp_eq_f32_e32 vcc_lo, v1, v3
	v_cmp_lt_i32_e64 s0, v42, v5
	v_cmp_lt_f32_e64 s1, v1, v3
	s_delay_alu instid0(VALU_DEP_2)
	s_and_b32 s0, vcc_lo, s0
	s_delay_alu instid0(VALU_DEP_1) | instid1(SALU_CYCLE_1)
	s_or_b32 vcc_lo, s1, s0
	v_cndmask_b32_e32 v42, v5, v42, vcc_lo
	s_and_saveexec_b32 s1, s2
	s_cbranch_execz .LBB168_16
; %bb.15:                               ;   in Loop: Header=BB168_14 Depth=1
	v_cndmask_b32_e32 v1, v1, v3, vcc_lo
	s_delay_alu instid0(VALU_DEP_2) | instskip(SKIP_4) | instid1(VALU_DEP_4)
	v_cmp_le_i32_e32 vcc_lo, s9, v42
	v_cmp_gt_i32_e64 s0, s10, v42
	v_ashrrev_i32_e32 v5, 31, v4
	v_subrev_nc_u32_e32 v51, s9, v42
	v_sub_f32_e32 v43, v1, v44
	s_and_b32 s0, vcc_lo, s0
	s_delay_alu instid0(SALU_CYCLE_1) | instskip(NEXT) | instid1(VALU_DEP_1)
	s_and_b32 vcc_lo, s17, s0
	v_mul_f32_e32 v1, 0x3fb8aa3b, v43
	s_delay_alu instid0(VALU_DEP_1) | instskip(SKIP_1) | instid1(VALU_DEP_2)
	v_fma_f32 v3, 0x3fb8aa3b, v43, -v1
	v_rndne_f32_e32 v45, v1
	v_fmac_f32_e32 v3, 0x32a5705f, v43
	s_delay_alu instid0(VALU_DEP_2) | instskip(SKIP_2) | instid1(VALU_DEP_3)
	v_sub_f32_e32 v1, v1, v45
	v_cvt_i32_f32_e32 v50, v45
	v_lshlrev_b64 v[45:46], 2, v[4:5]
	v_add_f32_e32 v1, v1, v3
	v_ashrrev_i32_e32 v3, 31, v2
	s_delay_alu instid0(VALU_DEP_2) | instskip(SKIP_1) | instid1(VALU_DEP_2)
	v_exp_f32_e32 v49, v1
	v_ashrrev_i32_e32 v1, 31, v0
	v_lshlrev_b64 v[47:48], 2, v[2:3]
	s_waitcnt_depctr 0xfff
	v_ldexp_f32 v3, v49, v50
	v_lshlrev_b64 v[49:50], 2, v[0:1]
	v_cndmask_b32_e32 v1, 64, v51, vcc_lo
	v_cmp_ngt_f32_e32 vcc_lo, 0xc2ce8ed0, v43
	s_delay_alu instid0(VALU_DEP_4) | instskip(SKIP_3) | instid1(VALU_DEP_4)
	v_cndmask_b32_e32 v3, 0, v3, vcc_lo
	v_add_co_u32 v45, vcc_lo, s12, v45
	v_add_co_ci_u32_e32 v46, vcc_lo, s13, v46, vcc_lo
	v_cmp_nlt_f32_e32 vcc_lo, 0x42b17218, v43
	v_cndmask_b32_e32 v3, 0x7f800000, v3, vcc_lo
	s_waitcnt lgkmcnt(0)
	v_add_co_u32 v47, vcc_lo, s4, v47
	v_add_co_ci_u32_e32 v48, vcc_lo, s5, v48, vcc_lo
	v_add_co_u32 v49, vcc_lo, s6, v49
	v_add_f32_e32 v13, v13, v3
	v_add_co_ci_u32_e32 v50, vcc_lo, s7, v50, vcc_lo
	global_store_b32 v[45:46], v3, off
	global_store_b32 v[47:48], v1, off
	;; [unrolled: 1-line block ×3, first 2 shown]
.LBB168_16:                             ;   in Loop: Header=BB168_14 Depth=1
	s_or_b32 exec_lo, exec_lo, s1
	s_delay_alu instid0(VALU_DEP_1) | instskip(SKIP_1) | instid1(VALU_DEP_1)
	v_ashrrev_i32_e32 v3, 31, v42
	s_mov_b32 s0, exec_lo
	v_lshrrev_b32_e32 v1, 28, v3
	s_delay_alu instid0(VALU_DEP_1) | instskip(NEXT) | instid1(VALU_DEP_1)
	v_add_nc_u32_e32 v1, v42, v1
	v_ashrrev_i32_e32 v1, 4, v1
	s_delay_alu instid0(VALU_DEP_1) | instskip(NEXT) | instid1(VALU_DEP_1)
	v_lshrrev_b32_e32 v5, 30, v1
	v_add_nc_u32_e32 v5, v1, v5
	s_delay_alu instid0(VALU_DEP_1) | instskip(NEXT) | instid1(VALU_DEP_1)
	v_and_b32_e32 v5, -4, v5
	v_sub_nc_u32_e32 v5, v1, v5
	s_delay_alu instid0(VALU_DEP_1)
	v_cmpx_eq_u32_e64 v11, v5
	s_cbranch_execz .LBB168_13
; %bb.17:                               ;   in Loop: Header=BB168_14 Depth=1
	v_lshrrev_b32_e32 v3, 26, v3
	v_lshlrev_b32_e32 v1, 4, v1
	s_delay_alu instid0(VALU_DEP_2) | instskip(NEXT) | instid1(VALU_DEP_2)
	v_add_nc_u32_e32 v3, v42, v3
	v_sub_nc_u32_e32 v1, v42, v1
	s_delay_alu instid0(VALU_DEP_2) | instskip(NEXT) | instid1(VALU_DEP_1)
	v_ashrrev_i32_e32 v3, 6, v3
	v_lshl_add_u32 v1, v3, 4, v1
	s_delay_alu instid0(VALU_DEP_1)
	v_cmp_ne_u32_e32 vcc_lo, 15, v1
	v_cndmask_b32_e32 v40, 0xff800000, v40, vcc_lo
	v_cmp_ne_u32_e32 vcc_lo, 14, v1
	v_cndmask_b32_e32 v38, 0xff800000, v38, vcc_lo
	;; [unrolled: 2-line block ×16, first 2 shown]
	s_branch .LBB168_13
.LBB168_18:
	v_cmp_neq_f32_e32 vcc_lo, 0, v13
	s_and_b32 s0, s2, vcc_lo
	s_delay_alu instid0(SALU_CYCLE_1)
	s_and_b32 exec_lo, exec_lo, s0
	s_cbranch_execz .LBB168_22
; %bb.19:
	s_and_not1_b32 vcc_lo, exec_lo, s3
	s_cbranch_vccnz .LBB168_22
; %bb.20:
	v_div_scale_f32 v1, null, v13, v13, 1.0
	v_div_scale_f32 v3, vcc_lo, 1.0, v13, 1.0
	s_delay_alu instid0(VALU_DEP_2) | instskip(SKIP_2) | instid1(VALU_DEP_1)
	v_rcp_f32_e32 v2, v1
	s_waitcnt_depctr 0xfff
	v_fma_f32 v0, -v1, v2, 1.0
	v_fmac_f32_e32 v2, v0, v2
	v_mul_lo_u32 v0, v10, s11
	s_delay_alu instid0(VALU_DEP_2) | instskip(NEXT) | instid1(VALU_DEP_1)
	v_mul_f32_e32 v4, v3, v2
	v_fma_f32 v5, -v1, v4, v3
	s_delay_alu instid0(VALU_DEP_1) | instskip(NEXT) | instid1(VALU_DEP_1)
	v_fmac_f32_e32 v4, v5, v2
	v_fma_f32 v3, -v1, v4, v3
	v_ashrrev_i32_e32 v1, 31, v0
	s_delay_alu instid0(VALU_DEP_2) | instskip(NEXT) | instid1(VALU_DEP_2)
	v_div_fmas_f32 v2, v3, v2, v4
	v_lshlrev_b64 v[0:1], 2, v[0:1]
	s_delay_alu instid0(VALU_DEP_2) | instskip(NEXT) | instid1(VALU_DEP_2)
	v_div_fixup_f32 v2, v2, v13, 1.0
	v_add_co_u32 v0, vcc_lo, s12, v0
	s_delay_alu instid0(VALU_DEP_3)
	v_add_co_ci_u32_e32 v1, vcc_lo, s13, v1, vcc_lo
.LBB168_21:                             ; =>This Inner Loop Header: Depth=1
	global_load_b32 v3, v[0:1], off
	s_add_i32 s8, s8, -1
	s_delay_alu instid0(SALU_CYCLE_1)
	s_cmp_lg_u32 s8, 0
	s_waitcnt vmcnt(0)
	v_mul_f32_e32 v3, v2, v3
	global_store_b32 v[0:1], v3, off
	v_add_co_u32 v0, vcc_lo, v0, 4
	v_add_co_ci_u32_e32 v1, vcc_lo, 0, v1, vcc_lo
	s_cbranch_scc1 .LBB168_21
.LBB168_22:
	s_nop 0
	s_sendmsg sendmsg(MSG_DEALLOC_VGPRS)
	s_endpgm
	.section	.rodata,"a",@progbits
	.p2align	6, 0x0
	.amdhsa_kernel _ZN4vllm3moe17topkGatingSoftmaxIDF16_Li16ELi64ELi8ELi32ELb1ELi1ELNS0_23SharedExpertScoringFuncE1EEEvPKT_PKbPfiPiS9_iiiiii
		.amdhsa_group_segment_fixed_size 0
		.amdhsa_private_segment_fixed_size 0
		.amdhsa_kernarg_size 72
		.amdhsa_user_sgpr_count 15
		.amdhsa_user_sgpr_dispatch_ptr 0
		.amdhsa_user_sgpr_queue_ptr 0
		.amdhsa_user_sgpr_kernarg_segment_ptr 1
		.amdhsa_user_sgpr_dispatch_id 0
		.amdhsa_user_sgpr_private_segment_size 0
		.amdhsa_wavefront_size32 1
		.amdhsa_uses_dynamic_stack 0
		.amdhsa_enable_private_segment 0
		.amdhsa_system_sgpr_workgroup_id_x 1
		.amdhsa_system_sgpr_workgroup_id_y 0
		.amdhsa_system_sgpr_workgroup_id_z 0
		.amdhsa_system_sgpr_workgroup_info 0
		.amdhsa_system_vgpr_workitem_id 1
		.amdhsa_next_free_vgpr 53
		.amdhsa_next_free_sgpr 19
		.amdhsa_reserve_vcc 1
		.amdhsa_float_round_mode_32 0
		.amdhsa_float_round_mode_16_64 0
		.amdhsa_float_denorm_mode_32 3
		.amdhsa_float_denorm_mode_16_64 3
		.amdhsa_dx10_clamp 1
		.amdhsa_ieee_mode 1
		.amdhsa_fp16_overflow 0
		.amdhsa_workgroup_processor_mode 1
		.amdhsa_memory_ordered 1
		.amdhsa_forward_progress 0
		.amdhsa_shared_vgpr_count 0
		.amdhsa_exception_fp_ieee_invalid_op 0
		.amdhsa_exception_fp_denorm_src 0
		.amdhsa_exception_fp_ieee_div_zero 0
		.amdhsa_exception_fp_ieee_overflow 0
		.amdhsa_exception_fp_ieee_underflow 0
		.amdhsa_exception_fp_ieee_inexact 0
		.amdhsa_exception_int_div_zero 0
	.end_amdhsa_kernel
	.section	.text._ZN4vllm3moe17topkGatingSoftmaxIDF16_Li16ELi64ELi8ELi32ELb1ELi1ELNS0_23SharedExpertScoringFuncE1EEEvPKT_PKbPfiPiS9_iiiiii,"axG",@progbits,_ZN4vllm3moe17topkGatingSoftmaxIDF16_Li16ELi64ELi8ELi32ELb1ELi1ELNS0_23SharedExpertScoringFuncE1EEEvPKT_PKbPfiPiS9_iiiiii,comdat
.Lfunc_end168:
	.size	_ZN4vllm3moe17topkGatingSoftmaxIDF16_Li16ELi64ELi8ELi32ELb1ELi1ELNS0_23SharedExpertScoringFuncE1EEEvPKT_PKbPfiPiS9_iiiiii, .Lfunc_end168-_ZN4vllm3moe17topkGatingSoftmaxIDF16_Li16ELi64ELi8ELi32ELb1ELi1ELNS0_23SharedExpertScoringFuncE1EEEvPKT_PKbPfiPiS9_iiiiii
                                        ; -- End function
	.section	.AMDGPU.csdata,"",@progbits
; Kernel info:
; codeLenInByte = 2956
; NumSgprs: 21
; NumVgprs: 53
; ScratchSize: 0
; MemoryBound: 0
; FloatMode: 240
; IeeeMode: 1
; LDSByteSize: 0 bytes/workgroup (compile time only)
; SGPRBlocks: 2
; VGPRBlocks: 6
; NumSGPRsForWavesPerEU: 21
; NumVGPRsForWavesPerEU: 53
; Occupancy: 16
; WaveLimiterHint : 0
; COMPUTE_PGM_RSRC2:SCRATCH_EN: 0
; COMPUTE_PGM_RSRC2:USER_SGPR: 15
; COMPUTE_PGM_RSRC2:TRAP_HANDLER: 0
; COMPUTE_PGM_RSRC2:TGID_X_EN: 1
; COMPUTE_PGM_RSRC2:TGID_Y_EN: 0
; COMPUTE_PGM_RSRC2:TGID_Z_EN: 0
; COMPUTE_PGM_RSRC2:TIDIG_COMP_CNT: 1
	.section	.text._ZN4vllm3moe17topkGatingSoftmaxIDF16_Li16ELi64ELi8ELi32ELb0ELi1ELNS0_23SharedExpertScoringFuncE1EEEvPKT_PKbPfiPiS9_iiiiii,"axG",@progbits,_ZN4vllm3moe17topkGatingSoftmaxIDF16_Li16ELi64ELi8ELi32ELb0ELi1ELNS0_23SharedExpertScoringFuncE1EEEvPKT_PKbPfiPiS9_iiiiii,comdat
	.protected	_ZN4vllm3moe17topkGatingSoftmaxIDF16_Li16ELi64ELi8ELi32ELb0ELi1ELNS0_23SharedExpertScoringFuncE1EEEvPKT_PKbPfiPiS9_iiiiii ; -- Begin function _ZN4vllm3moe17topkGatingSoftmaxIDF16_Li16ELi64ELi8ELi32ELb0ELi1ELNS0_23SharedExpertScoringFuncE1EEEvPKT_PKbPfiPiS9_iiiiii
	.globl	_ZN4vllm3moe17topkGatingSoftmaxIDF16_Li16ELi64ELi8ELi32ELb0ELi1ELNS0_23SharedExpertScoringFuncE1EEEvPKT_PKbPfiPiS9_iiiiii
	.p2align	8
	.type	_ZN4vllm3moe17topkGatingSoftmaxIDF16_Li16ELi64ELi8ELi32ELb0ELi1ELNS0_23SharedExpertScoringFuncE1EEEvPKT_PKbPfiPiS9_iiiiii,@function
_ZN4vllm3moe17topkGatingSoftmaxIDF16_Li16ELi64ELi8ELi32ELb0ELi1ELNS0_23SharedExpertScoringFuncE1EEEvPKT_PKbPfiPiS9_iiiiii: ; @_ZN4vllm3moe17topkGatingSoftmaxIDF16_Li16ELi64ELi8ELi32ELb0ELi1ELNS0_23SharedExpertScoringFuncE1EEEvPKT_PKbPfiPiS9_iiiiii
; %bb.0:
	s_load_b32 s16, s[0:1], 0x18
	v_bfe_u32 v1, v0, 10, 10
	v_and_b32_e32 v0, 0x3ff, v0
	s_lshl_b32 s18, s15, 6
	s_mov_b32 s2, exec_lo
	s_delay_alu instid0(VALU_DEP_2) | instskip(NEXT) | instid1(VALU_DEP_2)
	v_lshlrev_b32_e32 v42, 3, v1
	v_lshrrev_b32_e32 v43, 2, v0
	s_delay_alu instid0(VALU_DEP_1) | instskip(SKIP_1) | instid1(VALU_DEP_1)
	v_add3_u32 v10, s18, v42, v43
	s_waitcnt lgkmcnt(0)
	v_cmpx_gt_i32_e64 s16, v10
	s_cbranch_execz .LBB169_23
; %bb.1:
	s_clause 0x1
	s_load_b128 s[4:7], s[0:1], 0x0
	s_load_b64 s[12:13], s[0:1], 0x10
	s_waitcnt lgkmcnt(0)
	s_cmp_eq_u64 s[6:7], 0
	s_cbranch_scc1 .LBB169_3
; %bb.2:
	v_ashrrev_i32_e32 v2, 31, v10
	v_add_co_u32 v1, vcc_lo, s6, v10
	s_delay_alu instid0(VALU_DEP_2) | instskip(SKIP_3) | instid1(VALU_DEP_1)
	v_add_co_ci_u32_e32 v2, vcc_lo, s7, v2, vcc_lo
	global_load_u8 v1, v[1:2], off
	s_waitcnt vmcnt(0)
	v_and_b32_e32 v1, 1, v1
	v_cmp_eq_u32_e32 vcc_lo, 1, v1
	s_xor_b32 s2, vcc_lo, -1
	s_delay_alu instid0(SALU_CYCLE_1)
	s_or_not1_b32 s17, s2, exec_lo
	s_branch .LBB169_4
.LBB169_3:
	s_mov_b32 s17, -1
.LBB169_4:
	s_clause 0x1
	s_load_b64 s[14:15], s[0:1], 0x40
	s_load_b128 s[8:11], s[0:1], 0x30
	v_and_b32_e32 v21, 3, v0
	s_delay_alu instid0(VALU_DEP_1) | instskip(SKIP_3) | instid1(VALU_DEP_1)
	v_dual_mov_b32 v11, 0 :: v_dual_lshlrev_b32 v22, 4, v21
	v_cmp_eq_u32_e64 s2, 0, v21
	s_waitcnt lgkmcnt(0)
	v_mul_lo_u32 v1, v10, s15
	v_ashrrev_i32_e32 v2, 31, v1
	s_delay_alu instid0(VALU_DEP_1) | instskip(SKIP_1) | instid1(VALU_DEP_2)
	v_lshlrev_b64 v[0:1], 1, v[1:2]
	v_lshlrev_b32_e32 v2, 5, v21
	v_add_co_u32 v8, vcc_lo, s4, v0
	s_delay_alu instid0(VALU_DEP_3) | instskip(NEXT) | instid1(VALU_DEP_2)
	v_add_co_ci_u32_e32 v9, vcc_lo, s5, v1, vcc_lo
	v_add_co_u32 v4, vcc_lo, v8, v2
	s_delay_alu instid0(VALU_DEP_2)
	v_add_co_ci_u32_e32 v5, vcc_lo, 0, v9, vcc_lo
	s_clause 0x1
	global_load_b128 v[0:3], v[4:5], off offset:16
	global_load_b128 v[4:7], v[4:5], off
	s_and_saveexec_b32 s3, s2
	s_cbranch_execz .LBB169_6
; %bb.5:
	global_load_u16 v8, v[8:9], off offset:128
	s_mov_b32 s4, 0x3fb8aa3b
	s_waitcnt vmcnt(0)
	v_cvt_f32_f16_e64 v9, -v8
	s_delay_alu instid0(VALU_DEP_1) | instskip(SKIP_1) | instid1(VALU_DEP_2)
	v_mul_f32_e32 v12, 0x3fb8aa3b, v9
	v_cmp_ngt_f32_e32 vcc_lo, 0xc2ce8ed0, v9
	v_rndne_f32_e32 v13, v12
	v_fma_mix_f32 v14, -v8, s4, -v12 op_sel_hi:[1,0,0]
	s_mov_b32 s4, 0x32a5705f
	s_delay_alu instid0(VALU_DEP_2) | instskip(NEXT) | instid1(VALU_DEP_2)
	v_sub_f32_e32 v12, v12, v13
	v_fma_mix_f32 v8, -v8, s4, v14 op_sel_hi:[1,0,0]
	s_delay_alu instid0(VALU_DEP_1) | instskip(SKIP_1) | instid1(VALU_DEP_2)
	v_add_f32_e32 v8, v12, v8
	v_cvt_i32_f32_e32 v12, v13
	v_exp_f32_e32 v8, v8
	s_waitcnt_depctr 0xfff
	v_ldexp_f32 v8, v8, v12
	s_delay_alu instid0(VALU_DEP_1) | instskip(SKIP_1) | instid1(VALU_DEP_2)
	v_cndmask_b32_e32 v8, 0, v8, vcc_lo
	v_cmp_nlt_f32_e32 vcc_lo, 0x42b17218, v9
	v_cndmask_b32_e32 v8, 0x7f800000, v8, vcc_lo
	s_delay_alu instid0(VALU_DEP_1) | instskip(NEXT) | instid1(VALU_DEP_1)
	v_add_f32_e32 v12, 1.0, v8
	v_div_scale_f32 v13, null, v12, v12, 1.0
	v_div_scale_f32 v15, vcc_lo, 1.0, v12, 1.0
	s_delay_alu instid0(VALU_DEP_2) | instskip(SKIP_2) | instid1(VALU_DEP_1)
	v_rcp_f32_e32 v14, v13
	s_waitcnt_depctr 0xfff
	v_fma_f32 v8, -v13, v14, 1.0
	v_fmac_f32_e32 v14, v8, v14
	v_mad_u64_u32 v[8:9], null, v10, s11, s[8:9]
	s_delay_alu instid0(VALU_DEP_2) | instskip(NEXT) | instid1(VALU_DEP_2)
	v_mul_f32_e32 v16, v15, v14
	v_ashrrev_i32_e32 v9, 31, v8
	s_delay_alu instid0(VALU_DEP_2) | instskip(NEXT) | instid1(VALU_DEP_2)
	v_fma_f32 v17, -v13, v16, v15
	v_lshlrev_b64 v[8:9], 2, v[8:9]
	s_delay_alu instid0(VALU_DEP_2) | instskip(NEXT) | instid1(VALU_DEP_1)
	v_fmac_f32_e32 v16, v17, v14
	v_fma_f32 v13, -v13, v16, v15
	s_delay_alu instid0(VALU_DEP_1) | instskip(NEXT) | instid1(VALU_DEP_4)
	v_div_fmas_f32 v13, v13, v14, v16
	v_add_co_u32 v8, vcc_lo, s12, v8
	v_add_co_ci_u32_e32 v9, vcc_lo, s13, v9, vcc_lo
	s_delay_alu instid0(VALU_DEP_3)
	v_div_fixup_f32 v12, v13, v12, 1.0
	global_store_b32 v[8:9], v12, off
.LBB169_6:
	s_or_b32 exec_lo, exec_lo, s3
	s_waitcnt vmcnt(0)
	v_lshrrev_b32_e32 v8, 16, v4
	v_cvt_f32_f16_e32 v24, v4
	v_cvt_f32_f16_e32 v26, v5
	v_lshrrev_b32_e32 v5, 16, v5
	v_or_b32_e32 v28, 1, v22
	v_cvt_f32_f16_e32 v27, v8
	v_cmp_lt_f16_e32 vcc_lo, v4, v8
	v_or_b32_e32 v29, 2, v22
	v_cvt_f32_f16_e32 v25, v5
	v_cvt_f32_f16_e32 v23, v6
	v_or_b32_e32 v30, 3, v22
	v_cndmask_b32_e32 v8, v24, v27, vcc_lo
	v_cndmask_b32_e32 v4, v22, v28, vcc_lo
	v_lshrrev_b32_e32 v6, 16, v6
	v_or_b32_e32 v31, 4, v22
	v_or_b32_e32 v32, 5, v22
	v_cmp_lt_f32_e32 vcc_lo, v8, v26
	v_cvt_f32_f16_e32 v19, v7
	v_cvt_f32_f16_e32 v20, v6
	v_lshrrev_b32_e32 v6, 16, v7
	v_or_b32_e32 v33, 6, v22
	v_cndmask_b32_e32 v5, v8, v26, vcc_lo
	v_cndmask_b32_e32 v4, v4, v29, vcc_lo
	v_cvt_f32_f16_e32 v15, v1
	v_cvt_f32_f16_e32 v18, v6
	v_lshrrev_b32_e32 v1, 16, v1
	v_cmp_lt_f32_e32 vcc_lo, v5, v25
	v_or_b32_e32 v34, 7, v22
	v_cvt_f32_f16_e32 v17, v0
	v_lshrrev_b32_e32 v0, 16, v0
	v_cvt_f32_f16_e32 v14, v1
	v_dual_cndmask_b32 v5, v5, v25 :: v_dual_cndmask_b32 v4, v4, v30
	v_or_b32_e32 v35, 8, v22
	v_cvt_f32_f16_e32 v13, v2
	v_lshrrev_b32_e32 v2, 16, v2
	s_delay_alu instid0(VALU_DEP_4)
	v_cmp_lt_f32_e32 vcc_lo, v5, v23
	v_cvt_f32_f16_e32 v16, v0
	v_or_b32_e32 v36, 9, v22
	v_or_b32_e32 v37, 10, v22
	v_cvt_f32_f16_e32 v9, v2
	v_cndmask_b32_e32 v5, v5, v23, vcc_lo
	v_cndmask_b32_e32 v4, v4, v31, vcc_lo
	v_lshrrev_b32_e32 v2, 16, v3
	v_cvt_f32_f16_e32 v8, v3
	v_or_b32_e32 v38, 11, v22
	v_cmp_lt_f32_e32 vcc_lo, v5, v20
	v_or_b32_e32 v39, 12, v22
	v_cvt_f32_f16_e32 v7, v2
	v_or_b32_e32 v40, 13, v22
	v_or_b32_e32 v41, 14, v22
	v_cndmask_b32_e32 v5, v5, v20, vcc_lo
	v_cndmask_b32_e32 v4, v4, v32, vcc_lo
	v_or_b32_e32 v44, 15, v22
	s_delay_alu instid0(VALU_DEP_3) | instskip(NEXT) | instid1(VALU_DEP_3)
	v_cmp_lt_f32_e32 vcc_lo, v5, v19
	v_dual_cndmask_b32 v5, v5, v19 :: v_dual_cndmask_b32 v4, v4, v33
	s_delay_alu instid0(VALU_DEP_1) | instskip(SKIP_1) | instid1(VALU_DEP_3)
	v_cmp_lt_f32_e32 vcc_lo, v5, v18
	v_cndmask_b32_e32 v5, v5, v18, vcc_lo
	v_cndmask_b32_e32 v4, v4, v34, vcc_lo
	s_delay_alu instid0(VALU_DEP_2) | instskip(NEXT) | instid1(VALU_DEP_2)
	v_cmp_lt_f32_e32 vcc_lo, v5, v17
	v_cndmask_b32_e32 v0, v4, v35, vcc_lo
	v_cndmask_b32_e32 v4, v5, v17, vcc_lo
	s_delay_alu instid0(VALU_DEP_1) | instskip(SKIP_1) | instid1(VALU_DEP_4)
	v_cmp_lt_f32_e32 vcc_lo, v4, v16
	v_cndmask_b32_e32 v4, v4, v16, vcc_lo
	v_cndmask_b32_e32 v0, v0, v36, vcc_lo
	s_delay_alu instid0(VALU_DEP_2) | instskip(SKIP_1) | instid1(VALU_DEP_3)
	v_cmp_lt_f32_e32 vcc_lo, v4, v15
	v_cndmask_b32_e32 v1, v4, v15, vcc_lo
	v_cndmask_b32_e32 v0, v0, v37, vcc_lo
	s_delay_alu instid0(VALU_DEP_2) | instskip(SKIP_1) | instid1(VALU_DEP_3)
	v_cmp_lt_f32_e32 vcc_lo, v1, v14
	v_cndmask_b32_e32 v1, v1, v14, vcc_lo
	v_cndmask_b32_e32 v0, v0, v38, vcc_lo
	s_delay_alu instid0(VALU_DEP_2) | instskip(NEXT) | instid1(VALU_DEP_2)
	v_cmp_lt_f32_e32 vcc_lo, v1, v13
	v_dual_cndmask_b32 v1, v1, v13 :: v_dual_cndmask_b32 v0, v0, v39
	s_delay_alu instid0(VALU_DEP_1) | instskip(NEXT) | instid1(VALU_DEP_2)
	v_cmp_lt_f32_e32 vcc_lo, v1, v9
	v_dual_cndmask_b32 v1, v1, v9 :: v_dual_cndmask_b32 v0, v0, v40
	s_delay_alu instid0(VALU_DEP_1) | instskip(NEXT) | instid1(VALU_DEP_2)
	;; [unrolled: 3-line block ×4, first 2 shown]
	v_mov_b32_dpp v3, v0 quad_perm:[1,0,3,2] row_mask:0xf bank_mask:0xf
	v_mov_b32_dpp v2, v1 quad_perm:[1,0,3,2] row_mask:0xf bank_mask:0xf
	s_delay_alu instid0(VALU_DEP_2) | instskip(NEXT) | instid1(VALU_DEP_2)
	v_cmp_lt_i32_e64 s3, v3, v0
	v_cmp_eq_f32_e32 vcc_lo, v1, v2
	v_cmp_lt_f32_e64 s4, v1, v2
	s_delay_alu instid0(VALU_DEP_3)
	s_and_b32 s3, vcc_lo, s3
	s_delay_alu instid0(VALU_DEP_1) | instid1(SALU_CYCLE_1)
	s_or_b32 vcc_lo, s4, s3
	v_dual_cndmask_b32 v1, v1, v2 :: v_dual_cndmask_b32 v0, v0, v3
	s_delay_alu instid0(VALU_DEP_1) | instskip(NEXT) | instid1(VALU_DEP_2)
	v_mov_b32_dpp v3, v1 quad_perm:[2,3,0,1] row_mask:0xf bank_mask:0xf
	v_mov_b32_dpp v2, v0 quad_perm:[2,3,0,1] row_mask:0xf bank_mask:0xf
	s_delay_alu instid0(VALU_DEP_2) | instskip(NEXT) | instid1(VALU_DEP_2)
	v_cmp_eq_f32_e32 vcc_lo, v1, v3
	v_cmp_lt_i32_e64 s3, v2, v0
	v_cmp_lt_f32_e64 s4, v1, v3
	s_delay_alu instid0(VALU_DEP_2)
	s_and_b32 s3, vcc_lo, s3
	s_delay_alu instid0(VALU_DEP_1) | instid1(SALU_CYCLE_1)
	s_or_b32 s3, s4, s3
	s_cmp_gt_i32 s8, 0
	v_cndmask_b32_e64 v12, v1, v3, s3
	s_cselect_b32 s15, -1, 0
	s_delay_alu instid0(SALU_CYCLE_1)
	s_and_b32 vcc_lo, exec_lo, s15
	s_cbranch_vccz .LBB169_18
; %bb.7:
	s_load_b128 s[4:7], s[0:1], 0x20
	v_mul_lo_u32 v1, v10, s11
	v_mul_lo_u32 v3, v10, s14
	;; [unrolled: 1-line block ×3, first 2 shown]
	v_cndmask_b32_e64 v0, v0, v2, s3
	v_mov_b32_e32 v11, 0
	s_and_saveexec_b32 s1, s2
	s_cbranch_execz .LBB169_9
; %bb.8:
	v_sub_f32_e32 v11, v12, v12
	v_cmp_le_i32_e32 vcc_lo, s9, v0
	v_cmp_gt_i32_e64 s0, s10, v0
	v_subrev_nc_u32_e32 v51, s9, v0
	v_ashrrev_i32_e32 v6, 31, v5
	v_mul_f32_e32 v2, 0x3fb8aa3b, v11
	s_delay_alu instid0(VALU_DEP_4) | instskip(NEXT) | instid1(SALU_CYCLE_1)
	s_and_b32 s0, vcc_lo, s0
	s_and_b32 vcc_lo, s17, s0
	s_delay_alu instid0(VALU_DEP_1) | instskip(SKIP_2) | instid1(VALU_DEP_3)
	v_rndne_f32_e32 v47, v2
	v_fma_f32 v4, 0x3fb8aa3b, v11, -v2
	v_lshlrev_b64 v[49:50], 2, v[5:6]
	v_sub_f32_e32 v2, v2, v47
	s_delay_alu instid0(VALU_DEP_3) | instskip(NEXT) | instid1(VALU_DEP_1)
	v_fmamk_f32 v4, v11, 0x32a5705f, v4
	v_add_f32_e32 v4, v2, v4
	v_ashrrev_i32_e32 v2, 31, v1
	s_delay_alu instid0(VALU_DEP_2) | instskip(NEXT) | instid1(VALU_DEP_1)
	v_exp_f32_e32 v52, v4
	v_lshlrev_b64 v[45:46], 2, v[1:2]
	v_ashrrev_i32_e32 v4, 31, v3
	v_cvt_i32_f32_e32 v2, v47
	s_delay_alu instid0(VALU_DEP_2) | instskip(SKIP_3) | instid1(TRANS32_DEP_1)
	v_lshlrev_b64 v[47:48], 2, v[3:4]
	v_cndmask_b32_e32 v4, 64, v51, vcc_lo
	v_add_co_u32 v45, vcc_lo, s12, v45
	v_add_co_ci_u32_e32 v46, vcc_lo, s13, v46, vcc_lo
	v_ldexp_f32 v2, v52, v2
	v_cmp_ngt_f32_e32 vcc_lo, 0xc2ce8ed0, v11
	s_delay_alu instid0(VALU_DEP_2)
	v_cndmask_b32_e32 v2, 0, v2, vcc_lo
	s_waitcnt lgkmcnt(0)
	v_add_co_u32 v47, vcc_lo, s4, v47
	v_add_co_ci_u32_e32 v48, vcc_lo, s5, v48, vcc_lo
	v_cmp_nlt_f32_e32 vcc_lo, 0x42b17218, v11
	v_cndmask_b32_e32 v11, 0x7f800000, v2, vcc_lo
	v_add_co_u32 v49, vcc_lo, s6, v49
	v_add_co_ci_u32_e32 v50, vcc_lo, s7, v50, vcc_lo
	global_store_b32 v[47:48], v4, off
	global_store_b32 v[45:46], v11, off
	;; [unrolled: 1-line block ×3, first 2 shown]
.LBB169_9:
	s_or_b32 exec_lo, exec_lo, s1
	v_ashrrev_i32_e32 v4, 31, v0
	s_mov_b32 s0, exec_lo
	s_delay_alu instid0(VALU_DEP_1) | instskip(NEXT) | instid1(VALU_DEP_1)
	v_lshrrev_b32_e32 v2, 28, v4
	v_add_nc_u32_e32 v2, v0, v2
	s_delay_alu instid0(VALU_DEP_1) | instskip(NEXT) | instid1(VALU_DEP_1)
	v_ashrrev_i32_e32 v2, 4, v2
	v_lshrrev_b32_e32 v6, 30, v2
	s_delay_alu instid0(VALU_DEP_1) | instskip(NEXT) | instid1(VALU_DEP_1)
	v_add_nc_u32_e32 v6, v2, v6
	v_and_b32_e32 v6, -4, v6
	s_delay_alu instid0(VALU_DEP_1) | instskip(NEXT) | instid1(VALU_DEP_1)
	v_sub_nc_u32_e32 v6, v2, v6
	v_cmpx_eq_u32_e64 v21, v6
	s_cbranch_execz .LBB169_11
; %bb.10:
	v_lshrrev_b32_e32 v4, 26, v4
	v_lshlrev_b32_e32 v2, 4, v2
	s_delay_alu instid0(VALU_DEP_2) | instskip(NEXT) | instid1(VALU_DEP_2)
	v_add_nc_u32_e32 v4, v0, v4
	v_sub_nc_u32_e32 v0, v0, v2
	s_delay_alu instid0(VALU_DEP_2) | instskip(NEXT) | instid1(VALU_DEP_1)
	v_ashrrev_i32_e32 v2, 6, v4
	v_lshl_add_u32 v0, v2, 4, v0
	s_delay_alu instid0(VALU_DEP_1)
	v_cmp_ne_u32_e32 vcc_lo, 15, v0
	v_cndmask_b32_e32 v7, 0xff800000, v7, vcc_lo
	v_cmp_ne_u32_e32 vcc_lo, 14, v0
	v_cndmask_b32_e32 v8, 0xff800000, v8, vcc_lo
	;; [unrolled: 2-line block ×16, first 2 shown]
.LBB169_11:
	s_or_b32 exec_lo, exec_lo, s0
	s_cmp_eq_u32 s8, 1
	s_cbranch_scc1 .LBB169_18
; %bb.12:
	s_add_i32 s18, s18, s16
	v_add_nc_u32_e32 v0, 1, v5
	v_add3_u32 v6, s18, v43, v42
	v_add_nc_u32_e32 v2, 1, v3
	v_add_nc_u32_e32 v4, 1, v1
	s_add_i32 s3, s8, -1
	s_branch .LBB169_14
.LBB169_13:                             ;   in Loop: Header=BB169_14 Depth=1
	s_or_b32 exec_lo, exec_lo, s0
	v_add_nc_u32_e32 v6, s16, v6
	v_add_nc_u32_e32 v0, 1, v0
	;; [unrolled: 1-line block ×4, first 2 shown]
	s_add_i32 s3, s3, -1
	s_delay_alu instid0(SALU_CYCLE_1)
	s_cmp_eq_u32 s3, 0
	s_cbranch_scc1 .LBB169_18
.LBB169_14:                             ; =>This Inner Loop Header: Depth=1
	v_cmp_gt_f32_e32 vcc_lo, v27, v24
	v_cndmask_b32_e32 v3, v24, v27, vcc_lo
	v_cndmask_b32_e32 v1, v22, v28, vcc_lo
	s_delay_alu instid0(VALU_DEP_2) | instskip(SKIP_1) | instid1(VALU_DEP_3)
	v_cmp_gt_f32_e32 vcc_lo, v26, v3
	v_cndmask_b32_e32 v3, v3, v26, vcc_lo
	v_cndmask_b32_e32 v1, v1, v29, vcc_lo
	s_delay_alu instid0(VALU_DEP_2) | instskip(SKIP_1) | instid1(VALU_DEP_3)
	;; [unrolled: 4-line block ×13, first 2 shown]
	v_cmp_gt_f32_e32 vcc_lo, v8, v3
	v_cndmask_b32_e32 v3, v3, v8, vcc_lo
	v_cndmask_b32_e32 v1, v1, v41, vcc_lo
	s_delay_alu instid0(VALU_DEP_2) | instskip(NEXT) | instid1(VALU_DEP_2)
	v_cmp_gt_f32_e32 vcc_lo, v7, v3
	v_cndmask_b32_e32 v5, v1, v44, vcc_lo
	v_cndmask_b32_e32 v1, v3, v7, vcc_lo
	s_delay_alu instid0(VALU_DEP_2) | instskip(NEXT) | instid1(VALU_DEP_2)
	v_mov_b32_dpp v3, v5 quad_perm:[1,0,3,2] row_mask:0xf bank_mask:0xf
	v_mov_b32_dpp v42, v1 quad_perm:[1,0,3,2] row_mask:0xf bank_mask:0xf
	s_delay_alu instid0(VALU_DEP_2) | instskip(NEXT) | instid1(VALU_DEP_2)
	v_cmp_lt_i32_e32 vcc_lo, v3, v5
	v_cmp_eq_f32_e64 s0, v1, v42
	v_cmp_lt_f32_e64 s1, v1, v42
	s_delay_alu instid0(VALU_DEP_2)
	s_and_b32 s0, s0, vcc_lo
	s_delay_alu instid0(VALU_DEP_1) | instid1(SALU_CYCLE_1)
	s_or_b32 vcc_lo, s1, s0
	v_cndmask_b32_e32 v1, v1, v42, vcc_lo
	v_cndmask_b32_e32 v5, v5, v3, vcc_lo
	s_delay_alu instid0(VALU_DEP_2) | instskip(NEXT) | instid1(VALU_DEP_2)
	v_mov_b32_dpp v3, v1 quad_perm:[2,3,0,1] row_mask:0xf bank_mask:0xf
	v_mov_b32_dpp v42, v5 quad_perm:[2,3,0,1] row_mask:0xf bank_mask:0xf
	s_delay_alu instid0(VALU_DEP_2) | instskip(NEXT) | instid1(VALU_DEP_2)
	v_cmp_eq_f32_e32 vcc_lo, v1, v3
	v_cmp_lt_i32_e64 s0, v42, v5
	v_cmp_lt_f32_e64 s1, v1, v3
	s_delay_alu instid0(VALU_DEP_2)
	s_and_b32 s0, vcc_lo, s0
	s_delay_alu instid0(VALU_DEP_1) | instid1(SALU_CYCLE_1)
	s_or_b32 vcc_lo, s1, s0
	v_cndmask_b32_e32 v42, v5, v42, vcc_lo
	s_and_saveexec_b32 s1, s2
	s_cbranch_execz .LBB169_16
; %bb.15:                               ;   in Loop: Header=BB169_14 Depth=1
	v_cndmask_b32_e32 v1, v1, v3, vcc_lo
	s_delay_alu instid0(VALU_DEP_2) | instskip(SKIP_4) | instid1(VALU_DEP_4)
	v_cmp_le_i32_e32 vcc_lo, s9, v42
	v_cmp_gt_i32_e64 s0, s10, v42
	v_ashrrev_i32_e32 v5, 31, v4
	v_subrev_nc_u32_e32 v51, s9, v42
	v_sub_f32_e32 v43, v1, v12
	s_and_b32 s0, vcc_lo, s0
	s_delay_alu instid0(SALU_CYCLE_1) | instskip(NEXT) | instid1(VALU_DEP_1)
	s_and_b32 vcc_lo, s17, s0
	v_mul_f32_e32 v1, 0x3fb8aa3b, v43
	s_delay_alu instid0(VALU_DEP_1) | instskip(SKIP_1) | instid1(VALU_DEP_2)
	v_fma_f32 v3, 0x3fb8aa3b, v43, -v1
	v_rndne_f32_e32 v45, v1
	v_fmac_f32_e32 v3, 0x32a5705f, v43
	s_delay_alu instid0(VALU_DEP_2) | instskip(SKIP_2) | instid1(VALU_DEP_3)
	v_sub_f32_e32 v1, v1, v45
	v_cvt_i32_f32_e32 v50, v45
	v_lshlrev_b64 v[45:46], 2, v[4:5]
	v_add_f32_e32 v1, v1, v3
	v_ashrrev_i32_e32 v3, 31, v2
	s_delay_alu instid0(VALU_DEP_2) | instskip(SKIP_1) | instid1(VALU_DEP_2)
	v_exp_f32_e32 v49, v1
	v_ashrrev_i32_e32 v1, 31, v0
	v_lshlrev_b64 v[47:48], 2, v[2:3]
	s_waitcnt_depctr 0xfff
	v_ldexp_f32 v3, v49, v50
	v_lshlrev_b64 v[49:50], 2, v[0:1]
	v_cndmask_b32_e32 v1, 64, v51, vcc_lo
	v_cmp_ngt_f32_e32 vcc_lo, 0xc2ce8ed0, v43
	s_delay_alu instid0(VALU_DEP_4) | instskip(SKIP_3) | instid1(VALU_DEP_4)
	v_cndmask_b32_e32 v3, 0, v3, vcc_lo
	v_add_co_u32 v45, vcc_lo, s12, v45
	v_add_co_ci_u32_e32 v46, vcc_lo, s13, v46, vcc_lo
	v_cmp_nlt_f32_e32 vcc_lo, 0x42b17218, v43
	v_cndmask_b32_e32 v3, 0x7f800000, v3, vcc_lo
	s_waitcnt lgkmcnt(0)
	v_add_co_u32 v47, vcc_lo, s4, v47
	v_add_co_ci_u32_e32 v48, vcc_lo, s5, v48, vcc_lo
	v_add_co_u32 v49, vcc_lo, s6, v49
	v_add_f32_e32 v11, v11, v3
	v_add_co_ci_u32_e32 v50, vcc_lo, s7, v50, vcc_lo
	global_store_b32 v[45:46], v3, off
	global_store_b32 v[47:48], v1, off
	global_store_b32 v[49:50], v6, off
.LBB169_16:                             ;   in Loop: Header=BB169_14 Depth=1
	s_or_b32 exec_lo, exec_lo, s1
	s_delay_alu instid0(VALU_DEP_1) | instskip(SKIP_1) | instid1(VALU_DEP_1)
	v_ashrrev_i32_e32 v3, 31, v42
	s_mov_b32 s0, exec_lo
	v_lshrrev_b32_e32 v1, 28, v3
	s_delay_alu instid0(VALU_DEP_1) | instskip(NEXT) | instid1(VALU_DEP_1)
	v_add_nc_u32_e32 v1, v42, v1
	v_ashrrev_i32_e32 v1, 4, v1
	s_delay_alu instid0(VALU_DEP_1) | instskip(NEXT) | instid1(VALU_DEP_1)
	v_lshrrev_b32_e32 v5, 30, v1
	v_add_nc_u32_e32 v5, v1, v5
	s_delay_alu instid0(VALU_DEP_1) | instskip(NEXT) | instid1(VALU_DEP_1)
	v_and_b32_e32 v5, -4, v5
	v_sub_nc_u32_e32 v5, v1, v5
	s_delay_alu instid0(VALU_DEP_1)
	v_cmpx_eq_u32_e64 v21, v5
	s_cbranch_execz .LBB169_13
; %bb.17:                               ;   in Loop: Header=BB169_14 Depth=1
	v_lshrrev_b32_e32 v3, 26, v3
	v_lshlrev_b32_e32 v1, 4, v1
	s_delay_alu instid0(VALU_DEP_2) | instskip(NEXT) | instid1(VALU_DEP_2)
	v_add_nc_u32_e32 v3, v42, v3
	v_sub_nc_u32_e32 v1, v42, v1
	s_delay_alu instid0(VALU_DEP_2) | instskip(NEXT) | instid1(VALU_DEP_1)
	v_ashrrev_i32_e32 v3, 6, v3
	v_lshl_add_u32 v1, v3, 4, v1
	s_delay_alu instid0(VALU_DEP_1)
	v_cmp_ne_u32_e32 vcc_lo, 15, v1
	v_cndmask_b32_e32 v7, 0xff800000, v7, vcc_lo
	v_cmp_ne_u32_e32 vcc_lo, 14, v1
	v_cndmask_b32_e32 v8, 0xff800000, v8, vcc_lo
	;; [unrolled: 2-line block ×16, first 2 shown]
	s_branch .LBB169_13
.LBB169_18:
	s_delay_alu instid0(VALU_DEP_1) | instskip(SKIP_3) | instid1(VALU_DEP_4)
	v_sub_f32_e32 v3, v26, v12
	v_sub_f32_e32 v0, v24, v12
	;; [unrolled: 1-line block ×4, first 2 shown]
	v_dual_sub_f32 v18, v18, v12 :: v_dual_mul_f32 v25, 0x3fb8aa3b, v3
	s_delay_alu instid0(VALU_DEP_4)
	v_mul_f32_e32 v2, 0x3fb8aa3b, v0
	v_cmp_ngt_f32_e32 vcc_lo, 0xc2ce8ed0, v0
	v_sub_f32_e32 v19, v19, v12
	v_sub_f32_e32 v14, v14, v12
	v_sub_f32_e32 v8, v8, v12
	v_rndne_f32_e32 v22, v2
	v_sub_f32_e32 v1, v27, v12
	v_mul_f32_e32 v27, 0x3fb8aa3b, v6
	v_fma_f32 v21, 0x3fb8aa3b, v0, -v2
	s_delay_alu instid0(VALU_DEP_4) | instskip(NEXT) | instid1(VALU_DEP_4)
	v_sub_f32_e32 v2, v2, v22
	v_mul_f32_e32 v4, 0x3fb8aa3b, v1
	v_cvt_i32_f32_e32 v22, v22
	s_delay_alu instid0(VALU_DEP_2) | instskip(SKIP_1) | instid1(VALU_DEP_1)
	v_fma_f32 v23, 0x3fb8aa3b, v1, -v4
	v_rndne_f32_e32 v24, v4
	v_dual_fmac_f32 v23, 0x32a5705f, v1 :: v_dual_sub_f32 v4, v4, v24
	v_fmac_f32_e32 v21, 0x32a5705f, v0
	v_cvt_i32_f32_e32 v24, v24
	s_delay_alu instid0(VALU_DEP_3) | instskip(NEXT) | instid1(VALU_DEP_3)
	v_add_f32_e32 v4, v4, v23
	v_add_f32_e32 v2, v2, v21
	v_fma_f32 v21, 0x3fb8aa3b, v3, -v25
	v_rndne_f32_e32 v23, v25
	v_mul_f32_e32 v26, 0x3fb8aa3b, v5
	v_exp_f32_e32 v4, v4
	v_exp_f32_e32 v2, v2
	v_fmac_f32_e32 v21, 0x32a5705f, v3
	v_sub_f32_e32 v25, v25, v23
	v_fma_f32 v28, 0x3fb8aa3b, v5, -v26
	v_rndne_f32_e32 v29, v26
	v_cvt_i32_f32_e32 v23, v23
	s_delay_alu instid0(TRANS32_DEP_2) | instskip(NEXT) | instid1(TRANS32_DEP_1)
	v_ldexp_f32 v4, v4, v24
	v_ldexp_f32 v2, v2, v22
	s_delay_alu instid0(VALU_DEP_1) | instskip(SKIP_1) | instid1(VALU_DEP_2)
	v_dual_add_f32 v21, v25, v21 :: v_dual_cndmask_b32 v2, 0, v2
	v_cmp_ngt_f32_e32 vcc_lo, 0xc2ce8ed0, v1
	v_exp_f32_e32 v21, v21
	v_cndmask_b32_e32 v4, 0, v4, vcc_lo
	v_cmp_nlt_f32_e32 vcc_lo, 0x42b17218, v0
	v_cndmask_b32_e32 v0, 0x7f800000, v2, vcc_lo
	v_cmp_nlt_f32_e32 vcc_lo, 0x42b17218, v1
	v_sub_f32_e32 v22, v26, v29
	v_fma_f32 v2, 0x3fb8aa3b, v6, -v27
	v_cndmask_b32_e32 v1, 0x7f800000, v4, vcc_lo
	s_delay_alu instid0(TRANS32_DEP_1) | instskip(SKIP_3) | instid1(VALU_DEP_4)
	v_ldexp_f32 v4, v21, v23
	v_cmp_ngt_f32_e32 vcc_lo, 0xc2ce8ed0, v3
	v_fmac_f32_e32 v28, 0x32a5705f, v5
	v_rndne_f32_e32 v21, v27
	v_dual_add_f32 v0, v0, v1 :: v_dual_cndmask_b32 v1, 0, v4
	v_cmp_nlt_f32_e32 vcc_lo, 0x42b17218, v3
	s_delay_alu instid0(VALU_DEP_4) | instskip(SKIP_3) | instid1(VALU_DEP_4)
	v_add_f32_e32 v22, v22, v28
	v_cvt_i32_f32_e32 v4, v29
	v_sub_f32_e32 v23, v27, v21
	v_cndmask_b32_e32 v1, 0x7f800000, v1, vcc_lo
	v_exp_f32_e32 v22, v22
	v_cmp_ngt_f32_e32 vcc_lo, 0xc2ce8ed0, v5
	s_delay_alu instid0(VALU_DEP_2) | instskip(SKIP_2) | instid1(VALU_DEP_1)
	v_add_f32_e32 v0, v0, v1
	s_waitcnt_depctr 0xfff
	v_ldexp_f32 v3, v22, v4
	v_cndmask_b32_e32 v1, 0, v3, vcc_lo
	v_cmp_nlt_f32_e32 vcc_lo, 0x42b17218, v5
	v_sub_f32_e32 v20, v20, v12
	v_cvt_i32_f32_e32 v5, v21
	v_mul_f32_e32 v21, 0x3fb8aa3b, v19
	v_cndmask_b32_e32 v1, 0x7f800000, v1, vcc_lo
	v_cmp_ngt_f32_e32 vcc_lo, 0xc2ce8ed0, v6
	v_mul_f32_e32 v4, 0x3fb8aa3b, v20
	s_delay_alu instid0(VALU_DEP_3) | instskip(NEXT) | instid1(VALU_DEP_2)
	v_add_f32_e32 v0, v0, v1
	v_fma_f32 v3, 0x3fb8aa3b, v20, -v4
	s_delay_alu instid0(VALU_DEP_1) | instskip(NEXT) | instid1(VALU_DEP_1)
	v_dual_fmac_f32 v2, 0x32a5705f, v6 :: v_dual_fmac_f32 v3, 0x32a5705f, v20
	v_add_f32_e32 v2, v23, v2
	s_delay_alu instid0(VALU_DEP_1) | instskip(SKIP_2) | instid1(VALU_DEP_1)
	v_exp_f32_e32 v2, v2
	s_waitcnt_depctr 0xfff
	v_ldexp_f32 v1, v2, v5
	v_cndmask_b32_e32 v1, 0, v1, vcc_lo
	v_rndne_f32_e32 v22, v4
	v_cmp_nlt_f32_e32 vcc_lo, 0x42b17218, v6
	s_delay_alu instid0(VALU_DEP_2) | instskip(SKIP_2) | instid1(VALU_DEP_3)
	v_dual_sub_f32 v4, v4, v22 :: v_dual_cndmask_b32 v1, 0x7f800000, v1
	v_cvt_i32_f32_e32 v6, v22
	v_cmp_ngt_f32_e32 vcc_lo, 0xc2ce8ed0, v20
	v_add_f32_e32 v2, v4, v3
	v_fma_f32 v3, 0x3fb8aa3b, v19, -v21
	v_rndne_f32_e32 v4, v21
	s_delay_alu instid0(VALU_DEP_2) | instskip(NEXT) | instid1(VALU_DEP_2)
	v_fmac_f32_e32 v3, 0x32a5705f, v19
	v_sub_f32_e32 v5, v21, v4
	v_cvt_i32_f32_e32 v4, v4
	s_delay_alu instid0(VALU_DEP_2)
	v_add_f32_e32 v3, v5, v3
	v_mul_f32_e32 v5, 0x3fb8aa3b, v18
	v_exp_f32_e32 v2, v2
	v_add_f32_e32 v0, v0, v1
	s_waitcnt_depctr 0xfff
	v_ldexp_f32 v1, v2, v6
	v_exp_f32_e32 v2, v3
	v_fma_f32 v3, 0x3fb8aa3b, v18, -v5
	v_rndne_f32_e32 v6, v5
	s_delay_alu instid0(VALU_DEP_3) | instskip(SKIP_1) | instid1(VALU_DEP_4)
	v_cndmask_b32_e32 v1, 0, v1, vcc_lo
	v_cmp_nlt_f32_e32 vcc_lo, 0x42b17218, v20
	v_fmac_f32_e32 v3, 0x32a5705f, v18
	v_mul_f32_e32 v20, 0x3fb8aa3b, v14
	s_delay_alu instid0(TRANS32_DEP_1) | instskip(SKIP_4) | instid1(VALU_DEP_4)
	v_ldexp_f32 v2, v2, v4
	v_dual_sub_f32 v4, v17, v12 :: v_dual_cndmask_b32 v1, 0x7f800000, v1
	v_cmp_ngt_f32_e32 vcc_lo, 0xc2ce8ed0, v19
	v_sub_f32_e32 v5, v5, v6
	v_cvt_i32_f32_e32 v6, v6
	v_dual_add_f32 v0, v0, v1 :: v_dual_cndmask_b32 v1, 0, v2
	v_cmp_nlt_f32_e32 vcc_lo, 0x42b17218, v19
	s_delay_alu instid0(VALU_DEP_2) | instskip(SKIP_3) | instid1(VALU_DEP_4)
	v_cndmask_b32_e32 v1, 0x7f800000, v1, vcc_lo
	v_add_f32_e32 v3, v5, v3
	v_sub_f32_e32 v5, v16, v12
	v_cmp_ngt_f32_e32 vcc_lo, 0xc2ce8ed0, v18
	v_add_f32_e32 v0, v0, v1
	s_delay_alu instid0(VALU_DEP_4) | instskip(NEXT) | instid1(VALU_DEP_3)
	v_exp_f32_e32 v2, v3
	v_mul_f32_e32 v19, 0x3fb8aa3b, v5
	s_waitcnt_depctr 0xfff
	v_ldexp_f32 v1, v2, v6
	v_rndne_f32_e32 v6, v19
	v_mul_f32_e32 v3, 0x3fb8aa3b, v4
	s_delay_alu instid0(VALU_DEP_3) | instskip(SKIP_1) | instid1(VALU_DEP_3)
	v_cndmask_b32_e32 v1, 0, v1, vcc_lo
	v_cmp_nlt_f32_e32 vcc_lo, 0x42b17218, v18
	v_fma_f32 v16, 0x3fb8aa3b, v4, -v3
	v_rndne_f32_e32 v17, v3
	s_delay_alu instid0(VALU_DEP_4) | instskip(NEXT) | instid1(VALU_DEP_3)
	v_cndmask_b32_e32 v1, 0x7f800000, v1, vcc_lo
	v_fmac_f32_e32 v16, 0x32a5705f, v4
	s_delay_alu instid0(VALU_DEP_3) | instskip(SKIP_1) | instid1(VALU_DEP_4)
	v_sub_f32_e32 v2, v3, v17
	v_fma_f32 v3, 0x3fb8aa3b, v5, -v19
	v_dual_sub_f32 v15, v15, v12 :: v_dual_add_f32 v0, v0, v1
	v_cvt_i32_f32_e32 v17, v17
	s_delay_alu instid0(VALU_DEP_3) | instskip(SKIP_2) | instid1(VALU_DEP_3)
	v_dual_add_f32 v2, v2, v16 :: v_dual_fmac_f32 v3, 0x32a5705f, v5
	v_sub_f32_e32 v16, v19, v6
	v_cmp_ngt_f32_e32 vcc_lo, 0xc2ce8ed0, v4
	v_exp_f32_e32 v2, v2
	s_delay_alu instid0(VALU_DEP_2)
	v_add_f32_e32 v3, v16, v3
	s_waitcnt_depctr 0xfff
	v_ldexp_f32 v1, v2, v17
	v_rndne_f32_e32 v17, v20
	v_mul_f32_e32 v19, 0x3fb8aa3b, v15
	v_cvt_i32_f32_e32 v2, v6
	s_delay_alu instid0(VALU_DEP_4) | instskip(SKIP_1) | instid1(VALU_DEP_4)
	v_cndmask_b32_e32 v1, 0, v1, vcc_lo
	v_cmp_nlt_f32_e32 vcc_lo, 0x42b17218, v4
	v_fma_f32 v16, 0x3fb8aa3b, v15, -v19
	v_rndne_f32_e32 v18, v19
	s_delay_alu instid0(VALU_DEP_4) | instskip(NEXT) | instid1(VALU_DEP_2)
	v_cndmask_b32_e32 v1, 0x7f800000, v1, vcc_lo
	v_dual_fmac_f32 v16, 0x32a5705f, v15 :: v_dual_sub_f32 v19, v19, v18
	v_cvt_i32_f32_e32 v4, v18
	v_cmp_ngt_f32_e32 vcc_lo, 0xc2ce8ed0, v5
	s_delay_alu instid0(VALU_DEP_4) | instskip(NEXT) | instid1(VALU_DEP_4)
	v_add_f32_e32 v0, v0, v1
	v_add_f32_e32 v6, v19, v16
	v_fma_f32 v16, 0x3fb8aa3b, v14, -v20
	s_delay_alu instid0(VALU_DEP_1)
	v_fmac_f32_e32 v16, 0x32a5705f, v14
	v_exp_f32_e32 v3, v3
	s_waitcnt_depctr 0xfff
	v_ldexp_f32 v2, v3, v2
	v_exp_f32_e32 v3, v6
	v_sub_f32_e32 v6, v20, v17
	s_delay_alu instid0(VALU_DEP_2) | instskip(SKIP_1) | instid1(VALU_DEP_3)
	v_cndmask_b32_e32 v2, 0, v2, vcc_lo
	v_cmp_nlt_f32_e32 vcc_lo, 0x42b17218, v5
	v_add_f32_e32 v6, v6, v16
	s_waitcnt_depctr 0xfff
	v_ldexp_f32 v1, v3, v4
	v_sub_f32_e32 v4, v13, v12
	v_exp_f32_e32 v3, v6
	v_sub_f32_e32 v6, v9, v12
	v_mul_f32_e32 v13, 0x3fb8aa3b, v8
	s_delay_alu instid0(VALU_DEP_3) | instskip(SKIP_3) | instid1(VALU_DEP_3)
	v_mul_f32_e32 v5, 0x3fb8aa3b, v4
	v_cndmask_b32_e32 v2, 0x7f800000, v2, vcc_lo
	v_cmp_ngt_f32_e32 vcc_lo, 0xc2ce8ed0, v15
	v_mul_f32_e32 v9, 0x3fb8aa3b, v6
	v_dual_add_f32 v0, v0, v2 :: v_dual_cndmask_b32 v1, 0, v1
	v_cvt_i32_f32_e32 v2, v17
	v_cmp_nlt_f32_e32 vcc_lo, 0x42b17218, v15
	s_delay_alu instid0(VALU_DEP_2) | instskip(NEXT) | instid1(VALU_DEP_4)
	v_ldexp_f32 v2, v3, v2
	v_cndmask_b32_e32 v1, 0x7f800000, v1, vcc_lo
	v_cmp_ngt_f32_e32 vcc_lo, 0xc2ce8ed0, v14
	s_delay_alu instid0(VALU_DEP_2)
	v_add_f32_e32 v0, v0, v1
	v_fma_f32 v1, 0x3fb8aa3b, v4, -v5
	v_rndne_f32_e32 v3, v5
	v_cndmask_b32_e32 v2, 0, v2, vcc_lo
	v_cmp_nlt_f32_e32 vcc_lo, 0x42b17218, v14
	v_rndne_f32_e32 v14, v13
	v_fmac_f32_e32 v1, 0x32a5705f, v4
	v_sub_f32_e32 v5, v5, v3
	v_cvt_i32_f32_e32 v3, v3
	v_cndmask_b32_e32 v2, 0x7f800000, v2, vcc_lo
	v_cmp_ngt_f32_e32 vcc_lo, 0xc2ce8ed0, v4
	s_delay_alu instid0(VALU_DEP_4) | instskip(SKIP_1) | instid1(VALU_DEP_4)
	v_add_f32_e32 v1, v5, v1
	v_rndne_f32_e32 v5, v9
	v_add_f32_e32 v0, v0, v2
	v_fma_f32 v2, 0x3fb8aa3b, v6, -v9
	v_sub_f32_e32 v7, v7, v12
	v_exp_f32_e32 v1, v1
	v_fma_f32 v12, 0x3fb8aa3b, v8, -v13
	s_delay_alu instid0(VALU_DEP_3) | instskip(SKIP_1) | instid1(VALU_DEP_3)
	v_dual_sub_f32 v9, v9, v5 :: v_dual_fmac_f32 v2, 0x32a5705f, v6
	v_cvt_i32_f32_e32 v5, v5
	v_fmac_f32_e32 v12, 0x32a5705f, v8
	s_delay_alu instid0(VALU_DEP_3) | instskip(SKIP_4) | instid1(VALU_DEP_2)
	v_dual_mul_f32 v15, 0x3fb8aa3b, v7 :: v_dual_add_f32 v2, v9, v2
	s_waitcnt_depctr 0xfff
	v_ldexp_f32 v1, v1, v3
	v_rndne_f32_e32 v16, v15
	v_exp_f32_e32 v2, v2
	v_cndmask_b32_e32 v1, 0, v1, vcc_lo
	v_cmp_nlt_f32_e32 vcc_lo, 0x42b17218, v4
	v_cvt_i32_f32_e32 v4, v14
	s_delay_alu instid0(VALU_DEP_3)
	v_cndmask_b32_e32 v1, 0x7f800000, v1, vcc_lo
	v_sub_f32_e32 v9, v13, v14
	s_waitcnt_depctr 0xfff
	v_ldexp_f32 v2, v2, v5
	v_cmp_ngt_f32_e32 vcc_lo, 0xc2ce8ed0, v6
	v_fma_f32 v13, 0x3fb8aa3b, v7, -v15
	v_dual_add_f32 v0, v0, v1 :: v_dual_add_f32 v3, v9, v12
	s_delay_alu instid0(VALU_DEP_4) | instskip(SKIP_2) | instid1(VALU_DEP_4)
	v_cndmask_b32_e32 v2, 0, v2, vcc_lo
	v_cmp_nlt_f32_e32 vcc_lo, 0x42b17218, v6
	v_sub_f32_e32 v9, v15, v16
	v_exp_f32_e32 v3, v3
	s_delay_alu instid0(VALU_DEP_3) | instskip(SKIP_2) | instid1(VALU_DEP_2)
	v_cndmask_b32_e32 v2, 0x7f800000, v2, vcc_lo
	v_fmac_f32_e32 v13, 0x32a5705f, v7
	v_cmp_ngt_f32_e32 vcc_lo, 0xc2ce8ed0, v8
	v_dual_add_f32 v0, v0, v2 :: v_dual_add_f32 v9, v9, v13
	s_waitcnt_depctr 0xfff
	v_ldexp_f32 v1, v3, v4
	v_cvt_i32_f32_e32 v3, v16
	v_exp_f32_e32 v5, v9
	s_delay_alu instid0(VALU_DEP_2) | instskip(SKIP_1) | instid1(VALU_DEP_2)
	v_cndmask_b32_e32 v1, 0, v1, vcc_lo
	v_cmp_nlt_f32_e32 vcc_lo, 0x42b17218, v8
	v_cndmask_b32_e32 v1, 0x7f800000, v1, vcc_lo
	v_cmp_ngt_f32_e32 vcc_lo, 0xc2ce8ed0, v7
	s_waitcnt_depctr 0xfff
	v_ldexp_f32 v3, v5, v3
	s_delay_alu instid0(VALU_DEP_1) | instskip(SKIP_1) | instid1(VALU_DEP_2)
	v_cndmask_b32_e32 v2, 0, v3, vcc_lo
	v_cmp_nlt_f32_e32 vcc_lo, 0x42b17218, v7
	v_dual_add_f32 v0, v0, v1 :: v_dual_cndmask_b32 v1, 0x7f800000, v2
	s_delay_alu instid0(VALU_DEP_1) | instskip(NEXT) | instid1(VALU_DEP_1)
	v_add_f32_e32 v0, v0, v1
	v_mov_b32_dpp v1, v0 quad_perm:[1,0,3,2] row_mask:0xf bank_mask:0xf
	s_delay_alu instid0(VALU_DEP_1) | instskip(NEXT) | instid1(VALU_DEP_1)
	v_add_f32_e32 v0, v0, v1
	v_mov_b32_dpp v1, v0 quad_perm:[2,3,0,1] row_mask:0xf bank_mask:0xf
	s_and_b32 exec_lo, exec_lo, s2
	s_cbranch_execz .LBB169_23
; %bb.19:
	s_delay_alu instid0(VALU_DEP_1) | instskip(NEXT) | instid1(VALU_DEP_1)
	v_add_f32_e32 v0, v0, v1
	v_add_f32_e32 v0, v11, v0
	s_delay_alu instid0(VALU_DEP_1)
	v_cmp_neq_f32_e32 vcc_lo, 0, v0
	s_and_b32 exec_lo, exec_lo, vcc_lo
	s_cbranch_execz .LBB169_23
; %bb.20:
	s_and_not1_b32 vcc_lo, exec_lo, s15
	s_cbranch_vccnz .LBB169_23
; %bb.21:
	v_div_scale_f32 v2, null, v0, v0, 1.0
	v_div_scale_f32 v4, vcc_lo, 1.0, v0, 1.0
	s_delay_alu instid0(VALU_DEP_2) | instskip(SKIP_2) | instid1(VALU_DEP_1)
	v_rcp_f32_e32 v3, v2
	s_waitcnt_depctr 0xfff
	v_fma_f32 v1, -v2, v3, 1.0
	v_fmac_f32_e32 v3, v1, v3
	v_mul_lo_u32 v1, v10, s11
	s_delay_alu instid0(VALU_DEP_2) | instskip(NEXT) | instid1(VALU_DEP_1)
	v_mul_f32_e32 v5, v4, v3
	v_fma_f32 v6, -v2, v5, v4
	s_delay_alu instid0(VALU_DEP_1) | instskip(NEXT) | instid1(VALU_DEP_1)
	v_fmac_f32_e32 v5, v6, v3
	v_fma_f32 v4, -v2, v5, v4
	v_ashrrev_i32_e32 v2, 31, v1
	s_delay_alu instid0(VALU_DEP_2) | instskip(NEXT) | instid1(VALU_DEP_2)
	v_div_fmas_f32 v5, v4, v3, v5
	v_lshlrev_b64 v[3:4], 2, v[1:2]
	s_delay_alu instid0(VALU_DEP_2) | instskip(NEXT) | instid1(VALU_DEP_2)
	v_div_fixup_f32 v2, v5, v0, 1.0
	v_add_co_u32 v0, vcc_lo, s12, v3
	s_delay_alu instid0(VALU_DEP_3)
	v_add_co_ci_u32_e32 v1, vcc_lo, s13, v4, vcc_lo
.LBB169_22:                             ; =>This Inner Loop Header: Depth=1
	global_load_b32 v3, v[0:1], off
	s_add_i32 s8, s8, -1
	s_delay_alu instid0(SALU_CYCLE_1)
	s_cmp_lg_u32 s8, 0
	s_waitcnt vmcnt(0)
	v_mul_f32_e32 v3, v2, v3
	global_store_b32 v[0:1], v3, off
	v_add_co_u32 v0, vcc_lo, v0, 4
	v_add_co_ci_u32_e32 v1, vcc_lo, 0, v1, vcc_lo
	s_cbranch_scc1 .LBB169_22
.LBB169_23:
	s_nop 0
	s_sendmsg sendmsg(MSG_DEALLOC_VGPRS)
	s_endpgm
	.section	.rodata,"a",@progbits
	.p2align	6, 0x0
	.amdhsa_kernel _ZN4vllm3moe17topkGatingSoftmaxIDF16_Li16ELi64ELi8ELi32ELb0ELi1ELNS0_23SharedExpertScoringFuncE1EEEvPKT_PKbPfiPiS9_iiiiii
		.amdhsa_group_segment_fixed_size 0
		.amdhsa_private_segment_fixed_size 0
		.amdhsa_kernarg_size 72
		.amdhsa_user_sgpr_count 15
		.amdhsa_user_sgpr_dispatch_ptr 0
		.amdhsa_user_sgpr_queue_ptr 0
		.amdhsa_user_sgpr_kernarg_segment_ptr 1
		.amdhsa_user_sgpr_dispatch_id 0
		.amdhsa_user_sgpr_private_segment_size 0
		.amdhsa_wavefront_size32 1
		.amdhsa_uses_dynamic_stack 0
		.amdhsa_enable_private_segment 0
		.amdhsa_system_sgpr_workgroup_id_x 1
		.amdhsa_system_sgpr_workgroup_id_y 0
		.amdhsa_system_sgpr_workgroup_id_z 0
		.amdhsa_system_sgpr_workgroup_info 0
		.amdhsa_system_vgpr_workitem_id 1
		.amdhsa_next_free_vgpr 53
		.amdhsa_next_free_sgpr 19
		.amdhsa_reserve_vcc 1
		.amdhsa_float_round_mode_32 0
		.amdhsa_float_round_mode_16_64 0
		.amdhsa_float_denorm_mode_32 3
		.amdhsa_float_denorm_mode_16_64 3
		.amdhsa_dx10_clamp 1
		.amdhsa_ieee_mode 1
		.amdhsa_fp16_overflow 0
		.amdhsa_workgroup_processor_mode 1
		.amdhsa_memory_ordered 1
		.amdhsa_forward_progress 0
		.amdhsa_shared_vgpr_count 0
		.amdhsa_exception_fp_ieee_invalid_op 0
		.amdhsa_exception_fp_denorm_src 0
		.amdhsa_exception_fp_ieee_div_zero 0
		.amdhsa_exception_fp_ieee_overflow 0
		.amdhsa_exception_fp_ieee_underflow 0
		.amdhsa_exception_fp_ieee_inexact 0
		.amdhsa_exception_int_div_zero 0
	.end_amdhsa_kernel
	.section	.text._ZN4vllm3moe17topkGatingSoftmaxIDF16_Li16ELi64ELi8ELi32ELb0ELi1ELNS0_23SharedExpertScoringFuncE1EEEvPKT_PKbPfiPiS9_iiiiii,"axG",@progbits,_ZN4vllm3moe17topkGatingSoftmaxIDF16_Li16ELi64ELi8ELi32ELb0ELi1ELNS0_23SharedExpertScoringFuncE1EEEvPKT_PKbPfiPiS9_iiiiii,comdat
.Lfunc_end169:
	.size	_ZN4vllm3moe17topkGatingSoftmaxIDF16_Li16ELi64ELi8ELi32ELb0ELi1ELNS0_23SharedExpertScoringFuncE1EEEvPKT_PKbPfiPiS9_iiiiii, .Lfunc_end169-_ZN4vllm3moe17topkGatingSoftmaxIDF16_Li16ELi64ELi8ELi32ELb0ELi1ELNS0_23SharedExpertScoringFuncE1EEEvPKT_PKbPfiPiS9_iiiiii
                                        ; -- End function
	.section	.AMDGPU.csdata,"",@progbits
; Kernel info:
; codeLenInByte = 4676
; NumSgprs: 21
; NumVgprs: 53
; ScratchSize: 0
; MemoryBound: 0
; FloatMode: 240
; IeeeMode: 1
; LDSByteSize: 0 bytes/workgroup (compile time only)
; SGPRBlocks: 2
; VGPRBlocks: 6
; NumSGPRsForWavesPerEU: 21
; NumVGPRsForWavesPerEU: 53
; Occupancy: 16
; WaveLimiterHint : 0
; COMPUTE_PGM_RSRC2:SCRATCH_EN: 0
; COMPUTE_PGM_RSRC2:USER_SGPR: 15
; COMPUTE_PGM_RSRC2:TRAP_HANDLER: 0
; COMPUTE_PGM_RSRC2:TGID_X_EN: 1
; COMPUTE_PGM_RSRC2:TGID_Y_EN: 0
; COMPUTE_PGM_RSRC2:TGID_Z_EN: 0
; COMPUTE_PGM_RSRC2:TIDIG_COMP_CNT: 1
	.section	.text._ZN4vllm3moe17topkGatingSoftmaxIDF16_Li16ELi64ELi8ELi32ELb1ELi2ELNS0_23SharedExpertScoringFuncE1EEEvPKT_PKbPfiPiS9_iiiiii,"axG",@progbits,_ZN4vllm3moe17topkGatingSoftmaxIDF16_Li16ELi64ELi8ELi32ELb1ELi2ELNS0_23SharedExpertScoringFuncE1EEEvPKT_PKbPfiPiS9_iiiiii,comdat
	.protected	_ZN4vllm3moe17topkGatingSoftmaxIDF16_Li16ELi64ELi8ELi32ELb1ELi2ELNS0_23SharedExpertScoringFuncE1EEEvPKT_PKbPfiPiS9_iiiiii ; -- Begin function _ZN4vllm3moe17topkGatingSoftmaxIDF16_Li16ELi64ELi8ELi32ELb1ELi2ELNS0_23SharedExpertScoringFuncE1EEEvPKT_PKbPfiPiS9_iiiiii
	.globl	_ZN4vllm3moe17topkGatingSoftmaxIDF16_Li16ELi64ELi8ELi32ELb1ELi2ELNS0_23SharedExpertScoringFuncE1EEEvPKT_PKbPfiPiS9_iiiiii
	.p2align	8
	.type	_ZN4vllm3moe17topkGatingSoftmaxIDF16_Li16ELi64ELi8ELi32ELb1ELi2ELNS0_23SharedExpertScoringFuncE1EEEvPKT_PKbPfiPiS9_iiiiii,@function
_ZN4vllm3moe17topkGatingSoftmaxIDF16_Li16ELi64ELi8ELi32ELb1ELi2ELNS0_23SharedExpertScoringFuncE1EEEvPKT_PKbPfiPiS9_iiiiii: ; @_ZN4vllm3moe17topkGatingSoftmaxIDF16_Li16ELi64ELi8ELi32ELb1ELi2ELNS0_23SharedExpertScoringFuncE1EEEvPKT_PKbPfiPiS9_iiiiii
; %bb.0:
	s_load_b32 s16, s[0:1], 0x18
	v_bfe_u32 v1, v0, 10, 10
	v_and_b32_e32 v0, 0x3ff, v0
	s_lshl_b32 s18, s15, 6
	s_mov_b32 s2, exec_lo
	s_delay_alu instid0(VALU_DEP_2) | instskip(NEXT) | instid1(VALU_DEP_2)
	v_lshlrev_b32_e32 v42, 3, v1
	v_lshrrev_b32_e32 v43, 2, v0
	s_delay_alu instid0(VALU_DEP_1) | instskip(SKIP_1) | instid1(VALU_DEP_1)
	v_add3_u32 v8, s18, v42, v43
	s_waitcnt lgkmcnt(0)
	v_cmpx_gt_i32_e64 s16, v8
	s_cbranch_execz .LBB170_22
; %bb.1:
	s_clause 0x1
	s_load_b128 s[4:7], s[0:1], 0x0
	s_load_b64 s[12:13], s[0:1], 0x10
	s_waitcnt lgkmcnt(0)
	s_cmp_eq_u64 s[6:7], 0
	s_cbranch_scc1 .LBB170_3
; %bb.2:
	v_ashrrev_i32_e32 v2, 31, v8
	v_add_co_u32 v1, vcc_lo, s6, v8
	s_delay_alu instid0(VALU_DEP_2) | instskip(SKIP_3) | instid1(VALU_DEP_1)
	v_add_co_ci_u32_e32 v2, vcc_lo, s7, v2, vcc_lo
	global_load_u8 v1, v[1:2], off
	s_waitcnt vmcnt(0)
	v_and_b32_e32 v1, 1, v1
	v_cmp_eq_u32_e32 vcc_lo, 1, v1
	s_xor_b32 s2, vcc_lo, -1
	s_delay_alu instid0(SALU_CYCLE_1)
	s_or_not1_b32 s17, s2, exec_lo
	s_branch .LBB170_4
.LBB170_3:
	s_mov_b32 s17, -1
.LBB170_4:
	s_load_b64 s[14:15], s[0:1], 0x40
	v_and_b32_e32 v9, 3, v0
	s_mov_b32 s2, exec_lo
	s_delay_alu instid0(VALU_DEP_1) | instskip(SKIP_2) | instid1(VALU_DEP_1)
	v_dual_mov_b32 v11, 0 :: v_dual_lshlrev_b32 v10, 4, v9
	s_waitcnt lgkmcnt(0)
	v_mul_lo_u32 v1, v8, s15
	v_ashrrev_i32_e32 v2, 31, v1
	s_delay_alu instid0(VALU_DEP_1) | instskip(SKIP_1) | instid1(VALU_DEP_2)
	v_lshlrev_b64 v[0:1], 1, v[1:2]
	v_lshlrev_b32_e32 v2, 5, v9
	v_add_co_u32 v12, vcc_lo, s4, v0
	s_delay_alu instid0(VALU_DEP_3) | instskip(SKIP_1) | instid1(VALU_DEP_2)
	v_add_co_ci_u32_e32 v13, vcc_lo, s5, v1, vcc_lo
	s_load_b128 s[4:7], s[0:1], 0x30
	v_add_co_u32 v4, vcc_lo, v12, v2
	s_delay_alu instid0(VALU_DEP_2)
	v_add_co_ci_u32_e32 v5, vcc_lo, 0, v13, vcc_lo
	s_clause 0x1
	global_load_b128 v[0:3], v[4:5], off offset:16
	global_load_b128 v[4:7], v[4:5], off
	v_cmpx_gt_u32_e32 2, v9
	s_cbranch_execz .LBB170_6
; %bb.5:
	v_lshlrev_b32_e32 v14, 1, v9
	s_mov_b32 s3, 0x3fb8aa3b
	s_delay_alu instid0(VALU_DEP_1) | instskip(SKIP_4) | instid1(VALU_DEP_1)
	v_add_co_u32 v12, vcc_lo, v12, v14
	v_add_co_ci_u32_e32 v13, vcc_lo, 0, v13, vcc_lo
	global_load_u16 v12, v[12:13], off offset:128
	s_waitcnt vmcnt(0)
	v_cvt_f32_f16_e64 v13, -v12
	v_mul_f32_e32 v14, 0x3fb8aa3b, v13
	v_cmp_ngt_f32_e32 vcc_lo, 0xc2ce8ed0, v13
	s_delay_alu instid0(VALU_DEP_2)
	v_fma_mix_f32 v15, -v12, s3, -v14 op_sel_hi:[1,0,0]
	v_rndne_f32_e32 v16, v14
	s_mov_b32 s3, 0x32a5705f
	s_delay_alu instid0(VALU_DEP_2) | instid1(SALU_CYCLE_1)
	v_fma_mix_f32 v12, -v12, s3, v15 op_sel_hi:[1,0,0]
	s_delay_alu instid0(VALU_DEP_2) | instskip(NEXT) | instid1(VALU_DEP_1)
	v_sub_f32_e32 v14, v14, v16
	v_add_f32_e32 v12, v14, v12
	v_cvt_i32_f32_e32 v14, v16
	s_delay_alu instid0(VALU_DEP_2) | instskip(SKIP_2) | instid1(VALU_DEP_1)
	v_exp_f32_e32 v12, v12
	s_waitcnt_depctr 0xfff
	v_ldexp_f32 v12, v12, v14
	v_cndmask_b32_e32 v12, 0, v12, vcc_lo
	v_cmp_nlt_f32_e32 vcc_lo, 0x42b17218, v13
	s_delay_alu instid0(VALU_DEP_2) | instskip(NEXT) | instid1(VALU_DEP_1)
	v_cndmask_b32_e32 v12, 0x7f800000, v12, vcc_lo
	v_add_f32_e32 v14, 1.0, v12
	s_delay_alu instid0(VALU_DEP_1) | instskip(SKIP_1) | instid1(VALU_DEP_2)
	v_div_scale_f32 v13, null, v14, v14, 1.0
	v_div_scale_f32 v16, vcc_lo, 1.0, v14, 1.0
	v_rcp_f32_e32 v15, v13
	s_waitcnt_depctr 0xfff
	v_fma_f32 v12, -v13, v15, 1.0
	s_delay_alu instid0(VALU_DEP_1) | instskip(SKIP_2) | instid1(VALU_DEP_2)
	v_fmac_f32_e32 v15, v12, v15
	s_waitcnt lgkmcnt(0)
	v_mul_lo_u32 v12, v8, s7
	v_mul_f32_e32 v17, v16, v15
	s_delay_alu instid0(VALU_DEP_2) | instskip(NEXT) | instid1(VALU_DEP_2)
	v_add3_u32 v12, v12, s4, v9
	v_fma_f32 v18, -v13, v17, v16
	s_delay_alu instid0(VALU_DEP_1) | instskip(NEXT) | instid1(VALU_DEP_1)
	v_fmac_f32_e32 v17, v18, v15
	v_fma_f32 v16, -v13, v17, v16
	s_delay_alu instid0(VALU_DEP_4) | instskip(NEXT) | instid1(VALU_DEP_2)
	v_ashrrev_i32_e32 v13, 31, v12
	v_div_fmas_f32 v15, v16, v15, v17
	s_delay_alu instid0(VALU_DEP_2) | instskip(NEXT) | instid1(VALU_DEP_2)
	v_lshlrev_b64 v[12:13], 2, v[12:13]
	v_div_fixup_f32 v14, v15, v14, 1.0
	s_delay_alu instid0(VALU_DEP_2) | instskip(NEXT) | instid1(VALU_DEP_3)
	v_add_co_u32 v12, vcc_lo, s12, v12
	v_add_co_ci_u32_e32 v13, vcc_lo, s13, v13, vcc_lo
	global_store_b32 v[12:13], v14, off
.LBB170_6:
	s_or_b32 exec_lo, exec_lo, s2
	s_waitcnt vmcnt(0)
	v_lshrrev_b32_e32 v15, 16, v4
	v_cvt_f32_f16_e32 v12, v4
	v_or_b32_e32 v13, 1, v10
	v_or_b32_e32 v16, 2, v10
	v_cvt_f32_f16_e32 v19, v6
	v_cvt_f32_f16_e32 v14, v15
	v_cmp_lt_f16_e32 vcc_lo, v4, v15
	v_cvt_f32_f16_e32 v15, v5
	v_lshrrev_b32_e32 v5, 16, v5
	v_lshrrev_b32_e32 v6, 16, v6
	v_or_b32_e32 v20, 4, v10
	v_cndmask_b32_e32 v4, v10, v13, vcc_lo
	v_cvt_f32_f16_e32 v23, v7
	v_cvt_f32_f16_e32 v17, v5
	v_cndmask_b32_e32 v18, v12, v14, vcc_lo
	v_cvt_f32_f16_e32 v21, v6
	v_or_b32_e32 v22, 5, v10
	v_lshrrev_b32_e32 v6, 16, v7
	v_or_b32_e32 v7, 6, v10
	v_cmp_lt_f32_e32 vcc_lo, v18, v15
	v_cvt_f32_f16_e32 v30, v1
	v_lshrrev_b32_e32 v1, 16, v1
	v_cvt_f32_f16_e32 v24, v6
	v_or_b32_e32 v25, 7, v10
	v_dual_cndmask_b32 v4, v4, v16 :: v_dual_cndmask_b32 v5, v18, v15
	v_or_b32_e32 v18, 3, v10
	v_cvt_f32_f16_e32 v32, v1
	v_cvt_f32_f16_e32 v26, v0
	v_lshrrev_b32_e32 v0, 16, v0
	v_cmp_lt_f32_e32 vcc_lo, v5, v17
	v_or_b32_e32 v27, 8, v10
	v_cvt_f32_f16_e32 v34, v2
	v_lshrrev_b32_e32 v2, 16, v2
	v_cvt_f32_f16_e32 v28, v0
	v_dual_cndmask_b32 v5, v5, v17 :: v_dual_cndmask_b32 v4, v4, v18
	v_or_b32_e32 v29, 9, v10
	s_delay_alu instid0(VALU_DEP_4) | instskip(SKIP_1) | instid1(VALU_DEP_4)
	v_cvt_f32_f16_e32 v36, v2
	v_cvt_f32_f16_e32 v38, v3
	v_cmp_lt_f32_e32 vcc_lo, v5, v19
	v_or_b32_e32 v31, 10, v10
	v_lshrrev_b32_e32 v2, 16, v3
	v_or_b32_e32 v33, 11, v10
	v_or_b32_e32 v35, 12, v10
	v_dual_cndmask_b32 v5, v5, v19 :: v_dual_cndmask_b32 v4, v4, v20
	s_delay_alu instid0(VALU_DEP_4) | instskip(SKIP_2) | instid1(VALU_DEP_4)
	v_cvt_f32_f16_e32 v40, v2
	v_or_b32_e32 v37, 13, v10
	v_or_b32_e32 v39, 14, v10
	v_cmp_lt_f32_e32 vcc_lo, v5, v21
	v_or_b32_e32 v41, 15, v10
	v_dual_cndmask_b32 v5, v5, v21 :: v_dual_cndmask_b32 v4, v4, v22
	s_delay_alu instid0(VALU_DEP_1) | instskip(SKIP_1) | instid1(VALU_DEP_3)
	v_cmp_lt_f32_e32 vcc_lo, v5, v23
	v_cndmask_b32_e32 v5, v5, v23, vcc_lo
	v_cndmask_b32_e32 v4, v4, v7, vcc_lo
	s_delay_alu instid0(VALU_DEP_2) | instskip(NEXT) | instid1(VALU_DEP_2)
	v_cmp_lt_f32_e32 vcc_lo, v5, v24
	v_dual_cndmask_b32 v5, v5, v24 :: v_dual_cndmask_b32 v4, v4, v25
	s_delay_alu instid0(VALU_DEP_1) | instskip(NEXT) | instid1(VALU_DEP_2)
	v_cmp_lt_f32_e32 vcc_lo, v5, v26
	v_cndmask_b32_e32 v0, v4, v27, vcc_lo
	v_cndmask_b32_e32 v4, v5, v26, vcc_lo
	s_delay_alu instid0(VALU_DEP_1) | instskip(SKIP_1) | instid1(VALU_DEP_4)
	v_cmp_lt_f32_e32 vcc_lo, v4, v28
	v_cndmask_b32_e32 v4, v4, v28, vcc_lo
	v_cndmask_b32_e32 v0, v0, v29, vcc_lo
	s_delay_alu instid0(VALU_DEP_2) | instskip(SKIP_1) | instid1(VALU_DEP_3)
	v_cmp_lt_f32_e32 vcc_lo, v4, v30
	v_cndmask_b32_e32 v1, v4, v30, vcc_lo
	v_cndmask_b32_e32 v0, v0, v31, vcc_lo
	s_delay_alu instid0(VALU_DEP_2) | instskip(NEXT) | instid1(VALU_DEP_2)
	v_cmp_lt_f32_e32 vcc_lo, v1, v32
	v_dual_cndmask_b32 v1, v1, v32 :: v_dual_cndmask_b32 v0, v0, v33
	s_delay_alu instid0(VALU_DEP_1) | instskip(NEXT) | instid1(VALU_DEP_2)
	v_cmp_lt_f32_e32 vcc_lo, v1, v34
	v_dual_cndmask_b32 v1, v1, v34 :: v_dual_cndmask_b32 v0, v0, v35
	s_delay_alu instid0(VALU_DEP_1) | instskip(NEXT) | instid1(VALU_DEP_2)
	;; [unrolled: 3-line block ×5, first 2 shown]
	v_mov_b32_dpp v2, v1 quad_perm:[1,0,3,2] row_mask:0xf bank_mask:0xf
	v_mov_b32_dpp v3, v0 quad_perm:[1,0,3,2] row_mask:0xf bank_mask:0xf
	s_delay_alu instid0(VALU_DEP_2) | instskip(NEXT) | instid1(VALU_DEP_2)
	v_cmp_eq_f32_e64 s2, v1, v2
	v_cmp_lt_i32_e32 vcc_lo, v3, v0
	v_cmp_lt_f32_e64 s3, v1, v2
	s_delay_alu instid0(VALU_DEP_3)
	s_and_b32 s2, s2, vcc_lo
	s_delay_alu instid0(VALU_DEP_1) | instid1(SALU_CYCLE_1)
	s_or_b32 vcc_lo, s3, s2
	s_waitcnt lgkmcnt(0)
	s_cmp_gt_i32 s4, 0
	v_cndmask_b32_e32 v2, v1, v2, vcc_lo
	v_cndmask_b32_e32 v0, v0, v3, vcc_lo
	v_cmp_eq_u32_e32 vcc_lo, 0, v9
	s_cselect_b32 s3, -1, 0
	s_cmp_lt_i32 s4, 1
	v_mov_b32_dpp v4, v2 quad_perm:[2,3,0,1] row_mask:0xf bank_mask:0xf
	v_mov_b32_dpp v6, v0 quad_perm:[2,3,0,1] row_mask:0xf bank_mask:0xf
	s_cbranch_scc1 .LBB170_18
; %bb.7:
	s_load_b128 s[8:11], s[0:1], 0x20
	s_delay_alu instid0(VALU_DEP_2) | instskip(NEXT) | instid1(VALU_DEP_2)
	v_cmp_eq_f32_e64 s0, v2, v4
	v_cmp_lt_i32_e64 s1, v6, v0
	v_cmp_lt_f32_e64 s2, v2, v4
	v_mul_lo_u32 v1, v8, s7
	v_mul_lo_u32 v3, v8, s14
	;; [unrolled: 1-line block ×3, first 2 shown]
	s_and_b32 s0, s0, s1
	v_mov_b32_e32 v11, 0
	s_or_b32 s0, s2, s0
	s_delay_alu instid0(SALU_CYCLE_1)
	v_cndmask_b32_e64 v0, v0, v6, s0
	v_cndmask_b32_e64 v44, v2, v4, s0
	s_and_saveexec_b32 s2, vcc_lo
	s_cbranch_execz .LBB170_9
; %bb.8:
	s_delay_alu instid0(VALU_DEP_1)
	v_sub_f32_e32 v11, v44, v44
	v_cmp_le_i32_e64 s0, s5, v0
	v_cmp_gt_i32_e64 s1, s6, v0
	v_subrev_nc_u32_e32 v51, s5, v0
	v_ashrrev_i32_e32 v6, 31, v5
	v_mul_f32_e32 v2, 0x3fb8aa3b, v11
	s_delay_alu instid0(VALU_DEP_4) | instskip(NEXT) | instid1(SALU_CYCLE_1)
	s_and_b32 s0, s0, s1
	s_and_b32 s0, s17, s0
	s_delay_alu instid0(VALU_DEP_1) | instskip(SKIP_2) | instid1(VALU_DEP_3)
	v_rndne_f32_e32 v47, v2
	v_fma_f32 v4, 0x3fb8aa3b, v11, -v2
	v_lshlrev_b64 v[49:50], 2, v[5:6]
	v_sub_f32_e32 v2, v2, v47
	s_delay_alu instid0(VALU_DEP_3) | instskip(NEXT) | instid1(VALU_DEP_1)
	v_fmamk_f32 v4, v11, 0x32a5705f, v4
	v_add_f32_e32 v4, v2, v4
	v_ashrrev_i32_e32 v2, 31, v1
	s_delay_alu instid0(VALU_DEP_2) | instskip(NEXT) | instid1(VALU_DEP_1)
	v_exp_f32_e32 v52, v4
	v_lshlrev_b64 v[45:46], 2, v[1:2]
	v_ashrrev_i32_e32 v4, 31, v3
	v_cvt_i32_f32_e32 v2, v47
	s_delay_alu instid0(VALU_DEP_2) | instskip(SKIP_2) | instid1(VALU_DEP_1)
	v_lshlrev_b64 v[47:48], 2, v[3:4]
	v_cndmask_b32_e64 v4, 64, v51, s0
	v_add_co_u32 v45, s0, s12, v45
	v_add_co_ci_u32_e64 v46, s0, s13, v46, s0
	s_delay_alu instid0(TRANS32_DEP_1) | instskip(SKIP_1) | instid1(VALU_DEP_1)
	v_ldexp_f32 v2, v52, v2
	v_cmp_ngt_f32_e64 s0, 0xc2ce8ed0, v11
	v_cndmask_b32_e64 v2, 0, v2, s0
	s_waitcnt lgkmcnt(0)
	v_add_co_u32 v47, s0, s8, v47
	s_delay_alu instid0(VALU_DEP_1) | instskip(SKIP_1) | instid1(VALU_DEP_1)
	v_add_co_ci_u32_e64 v48, s0, s9, v48, s0
	v_cmp_nlt_f32_e64 s0, 0x42b17218, v11
	v_cndmask_b32_e64 v11, 0x7f800000, v2, s0
	v_add_co_u32 v49, s0, s10, v49
	s_delay_alu instid0(VALU_DEP_1)
	v_add_co_ci_u32_e64 v50, s0, s11, v50, s0
	global_store_b32 v[47:48], v4, off
	global_store_b32 v[45:46], v11, off
	global_store_b32 v[49:50], v8, off
.LBB170_9:
	s_or_b32 exec_lo, exec_lo, s2
	v_ashrrev_i32_e32 v4, 31, v0
	s_mov_b32 s1, exec_lo
	s_delay_alu instid0(VALU_DEP_1) | instskip(NEXT) | instid1(VALU_DEP_1)
	v_lshrrev_b32_e32 v2, 28, v4
	v_add_nc_u32_e32 v2, v0, v2
	s_delay_alu instid0(VALU_DEP_1) | instskip(NEXT) | instid1(VALU_DEP_1)
	v_ashrrev_i32_e32 v2, 4, v2
	v_lshrrev_b32_e32 v6, 30, v2
	s_delay_alu instid0(VALU_DEP_1) | instskip(NEXT) | instid1(VALU_DEP_1)
	v_add_nc_u32_e32 v6, v2, v6
	v_and_b32_e32 v6, -4, v6
	s_delay_alu instid0(VALU_DEP_1) | instskip(NEXT) | instid1(VALU_DEP_1)
	v_sub_nc_u32_e32 v6, v2, v6
	v_cmpx_eq_u32_e64 v9, v6
	s_cbranch_execz .LBB170_11
; %bb.10:
	v_lshrrev_b32_e32 v4, 26, v4
	v_lshlrev_b32_e32 v2, 4, v2
	s_delay_alu instid0(VALU_DEP_2) | instskip(NEXT) | instid1(VALU_DEP_2)
	v_add_nc_u32_e32 v4, v0, v4
	v_sub_nc_u32_e32 v0, v0, v2
	s_delay_alu instid0(VALU_DEP_2) | instskip(NEXT) | instid1(VALU_DEP_1)
	v_ashrrev_i32_e32 v2, 6, v4
	v_lshl_add_u32 v0, v2, 4, v0
	s_delay_alu instid0(VALU_DEP_1) | instskip(NEXT) | instid1(VALU_DEP_1)
	v_cmp_ne_u32_e64 s0, 15, v0
	v_cndmask_b32_e64 v40, 0xff800000, v40, s0
	v_cmp_ne_u32_e64 s0, 14, v0
	s_delay_alu instid0(VALU_DEP_1) | instskip(SKIP_1) | instid1(VALU_DEP_1)
	v_cndmask_b32_e64 v38, 0xff800000, v38, s0
	v_cmp_ne_u32_e64 s0, 13, v0
	v_cndmask_b32_e64 v36, 0xff800000, v36, s0
	v_cmp_ne_u32_e64 s0, 12, v0
	s_delay_alu instid0(VALU_DEP_1) | instskip(SKIP_1) | instid1(VALU_DEP_1)
	v_cndmask_b32_e64 v34, 0xff800000, v34, s0
	;; [unrolled: 5-line block ×7, first 2 shown]
	v_cmp_ne_u32_e64 s0, 1, v0
	v_cndmask_b32_e64 v14, 0xff800000, v14, s0
	v_cmp_ne_u32_e64 s0, 0, v0
	s_delay_alu instid0(VALU_DEP_1)
	v_cndmask_b32_e64 v12, 0xff800000, v12, s0
.LBB170_11:
	s_or_b32 exec_lo, exec_lo, s1
	s_cmp_eq_u32 s4, 1
	s_cbranch_scc1 .LBB170_18
; %bb.12:
	s_add_i32 s18, s18, s16
	v_add_nc_u32_e32 v0, 1, v5
	v_add3_u32 v6, s18, v43, v42
	v_add_nc_u32_e32 v2, 1, v3
	v_add_nc_u32_e32 v4, 1, v1
	s_add_i32 s14, s4, -1
	s_branch .LBB170_14
.LBB170_13:                             ;   in Loop: Header=BB170_14 Depth=1
	s_or_b32 exec_lo, exec_lo, s1
	v_add_nc_u32_e32 v6, s16, v6
	v_add_nc_u32_e32 v0, 1, v0
	;; [unrolled: 1-line block ×4, first 2 shown]
	s_add_i32 s14, s14, -1
	s_delay_alu instid0(SALU_CYCLE_1)
	s_cmp_eq_u32 s14, 0
	s_cbranch_scc1 .LBB170_18
.LBB170_14:                             ; =>This Inner Loop Header: Depth=1
	v_cmp_gt_f32_e64 s0, v14, v12
	s_delay_alu instid0(VALU_DEP_1) | instskip(SKIP_1) | instid1(VALU_DEP_2)
	v_cndmask_b32_e64 v3, v12, v14, s0
	v_cndmask_b32_e64 v1, v10, v13, s0
	v_cmp_gt_f32_e64 s0, v15, v3
	s_delay_alu instid0(VALU_DEP_1) | instskip(NEXT) | instid1(VALU_DEP_3)
	v_cndmask_b32_e64 v3, v3, v15, s0
	v_cndmask_b32_e64 v1, v1, v16, s0
	s_delay_alu instid0(VALU_DEP_2) | instskip(NEXT) | instid1(VALU_DEP_1)
	v_cmp_gt_f32_e64 s0, v17, v3
	v_cndmask_b32_e64 v3, v3, v17, s0
	s_delay_alu instid0(VALU_DEP_3) | instskip(NEXT) | instid1(VALU_DEP_2)
	v_cndmask_b32_e64 v1, v1, v18, s0
	v_cmp_gt_f32_e64 s0, v19, v3
	s_delay_alu instid0(VALU_DEP_1) | instskip(NEXT) | instid1(VALU_DEP_3)
	v_cndmask_b32_e64 v3, v3, v19, s0
	v_cndmask_b32_e64 v1, v1, v20, s0
	s_delay_alu instid0(VALU_DEP_2) | instskip(NEXT) | instid1(VALU_DEP_1)
	v_cmp_gt_f32_e64 s0, v21, v3
	v_cndmask_b32_e64 v3, v3, v21, s0
	s_delay_alu instid0(VALU_DEP_3) | instskip(NEXT) | instid1(VALU_DEP_2)
	;; [unrolled: 9-line block ×6, first 2 shown]
	v_cndmask_b32_e64 v1, v1, v37, s0
	v_cmp_gt_f32_e64 s0, v38, v3
	s_delay_alu instid0(VALU_DEP_1) | instskip(NEXT) | instid1(VALU_DEP_3)
	v_cndmask_b32_e64 v3, v3, v38, s0
	v_cndmask_b32_e64 v1, v1, v39, s0
	s_delay_alu instid0(VALU_DEP_2) | instskip(NEXT) | instid1(VALU_DEP_1)
	v_cmp_gt_f32_e64 s0, v40, v3
	v_cndmask_b32_e64 v5, v1, v41, s0
	v_cndmask_b32_e64 v1, v3, v40, s0
	s_delay_alu instid0(VALU_DEP_2) | instskip(NEXT) | instid1(VALU_DEP_2)
	v_mov_b32_dpp v3, v5 quad_perm:[1,0,3,2] row_mask:0xf bank_mask:0xf
	v_mov_b32_dpp v42, v1 quad_perm:[1,0,3,2] row_mask:0xf bank_mask:0xf
	s_delay_alu instid0(VALU_DEP_2) | instskip(NEXT) | instid1(VALU_DEP_2)
	v_cmp_lt_i32_e64 s0, v3, v5
	v_cmp_eq_f32_e64 s1, v1, v42
	v_cmp_lt_f32_e64 s2, v1, v42
	s_delay_alu instid0(VALU_DEP_2)
	s_and_b32 s0, s1, s0
	s_delay_alu instid0(VALU_DEP_1) | instid1(SALU_CYCLE_1)
	s_or_b32 s0, s2, s0
	s_delay_alu instid0(SALU_CYCLE_1) | instskip(SKIP_1) | instid1(VALU_DEP_2)
	v_cndmask_b32_e64 v1, v1, v42, s0
	v_cndmask_b32_e64 v5, v5, v3, s0
	v_mov_b32_dpp v3, v1 quad_perm:[2,3,0,1] row_mask:0xf bank_mask:0xf
	s_delay_alu instid0(VALU_DEP_2) | instskip(NEXT) | instid1(VALU_DEP_2)
	v_mov_b32_dpp v42, v5 quad_perm:[2,3,0,1] row_mask:0xf bank_mask:0xf
	v_cmp_eq_f32_e64 s0, v1, v3
	s_delay_alu instid0(VALU_DEP_2) | instskip(SKIP_1) | instid1(VALU_DEP_2)
	v_cmp_lt_i32_e64 s1, v42, v5
	v_cmp_lt_f32_e64 s2, v1, v3
	s_and_b32 s0, s0, s1
	s_delay_alu instid0(VALU_DEP_1) | instid1(SALU_CYCLE_1)
	s_or_b32 s0, s2, s0
	s_delay_alu instid0(SALU_CYCLE_1)
	v_cndmask_b32_e64 v42, v5, v42, s0
	s_and_saveexec_b32 s2, vcc_lo
	s_cbranch_execz .LBB170_16
; %bb.15:                               ;   in Loop: Header=BB170_14 Depth=1
	v_cndmask_b32_e64 v1, v1, v3, s0
	s_delay_alu instid0(VALU_DEP_2) | instskip(SKIP_4) | instid1(VALU_DEP_4)
	v_cmp_le_i32_e64 s0, s5, v42
	v_cmp_gt_i32_e64 s1, s6, v42
	v_ashrrev_i32_e32 v5, 31, v4
	v_subrev_nc_u32_e32 v51, s5, v42
	v_sub_f32_e32 v43, v1, v44
	s_and_b32 s0, s0, s1
	s_delay_alu instid0(SALU_CYCLE_1) | instskip(NEXT) | instid1(VALU_DEP_1)
	s_and_b32 s0, s17, s0
	v_mul_f32_e32 v1, 0x3fb8aa3b, v43
	s_delay_alu instid0(VALU_DEP_1) | instskip(SKIP_1) | instid1(VALU_DEP_2)
	v_fma_f32 v3, 0x3fb8aa3b, v43, -v1
	v_rndne_f32_e32 v45, v1
	v_fmac_f32_e32 v3, 0x32a5705f, v43
	s_delay_alu instid0(VALU_DEP_2) | instskip(SKIP_2) | instid1(VALU_DEP_3)
	v_sub_f32_e32 v1, v1, v45
	v_cvt_i32_f32_e32 v50, v45
	v_lshlrev_b64 v[45:46], 2, v[4:5]
	v_add_f32_e32 v1, v1, v3
	v_ashrrev_i32_e32 v3, 31, v2
	s_delay_alu instid0(VALU_DEP_2) | instskip(SKIP_1) | instid1(VALU_DEP_2)
	v_exp_f32_e32 v49, v1
	v_ashrrev_i32_e32 v1, 31, v0
	v_lshlrev_b64 v[47:48], 2, v[2:3]
	s_waitcnt_depctr 0xfff
	v_ldexp_f32 v3, v49, v50
	v_lshlrev_b64 v[49:50], 2, v[0:1]
	v_cndmask_b32_e64 v1, 64, v51, s0
	v_cmp_ngt_f32_e64 s0, 0xc2ce8ed0, v43
	s_delay_alu instid0(VALU_DEP_1) | instskip(SKIP_1) | instid1(VALU_DEP_1)
	v_cndmask_b32_e64 v3, 0, v3, s0
	v_add_co_u32 v45, s0, s12, v45
	v_add_co_ci_u32_e64 v46, s0, s13, v46, s0
	v_cmp_nlt_f32_e64 s0, 0x42b17218, v43
	s_delay_alu instid0(VALU_DEP_1) | instskip(SKIP_2) | instid1(VALU_DEP_1)
	v_cndmask_b32_e64 v3, 0x7f800000, v3, s0
	s_waitcnt lgkmcnt(0)
	v_add_co_u32 v47, s0, s8, v47
	v_add_co_ci_u32_e64 v48, s0, s9, v48, s0
	v_add_co_u32 v49, s0, s10, v49
	v_add_f32_e32 v11, v11, v3
	v_add_co_ci_u32_e64 v50, s0, s11, v50, s0
	global_store_b32 v[45:46], v3, off
	global_store_b32 v[47:48], v1, off
	;; [unrolled: 1-line block ×3, first 2 shown]
.LBB170_16:                             ;   in Loop: Header=BB170_14 Depth=1
	s_or_b32 exec_lo, exec_lo, s2
	s_delay_alu instid0(VALU_DEP_1) | instskip(SKIP_1) | instid1(VALU_DEP_1)
	v_ashrrev_i32_e32 v3, 31, v42
	s_mov_b32 s1, exec_lo
	v_lshrrev_b32_e32 v1, 28, v3
	s_delay_alu instid0(VALU_DEP_1) | instskip(NEXT) | instid1(VALU_DEP_1)
	v_add_nc_u32_e32 v1, v42, v1
	v_ashrrev_i32_e32 v1, 4, v1
	s_delay_alu instid0(VALU_DEP_1) | instskip(NEXT) | instid1(VALU_DEP_1)
	v_lshrrev_b32_e32 v5, 30, v1
	v_add_nc_u32_e32 v5, v1, v5
	s_delay_alu instid0(VALU_DEP_1) | instskip(NEXT) | instid1(VALU_DEP_1)
	v_and_b32_e32 v5, -4, v5
	v_sub_nc_u32_e32 v5, v1, v5
	s_delay_alu instid0(VALU_DEP_1)
	v_cmpx_eq_u32_e64 v9, v5
	s_cbranch_execz .LBB170_13
; %bb.17:                               ;   in Loop: Header=BB170_14 Depth=1
	v_lshrrev_b32_e32 v3, 26, v3
	v_lshlrev_b32_e32 v1, 4, v1
	s_delay_alu instid0(VALU_DEP_2) | instskip(NEXT) | instid1(VALU_DEP_2)
	v_add_nc_u32_e32 v3, v42, v3
	v_sub_nc_u32_e32 v1, v42, v1
	s_delay_alu instid0(VALU_DEP_2) | instskip(NEXT) | instid1(VALU_DEP_1)
	v_ashrrev_i32_e32 v3, 6, v3
	v_lshl_add_u32 v1, v3, 4, v1
	s_delay_alu instid0(VALU_DEP_1) | instskip(NEXT) | instid1(VALU_DEP_1)
	v_cmp_ne_u32_e64 s0, 15, v1
	v_cndmask_b32_e64 v40, 0xff800000, v40, s0
	v_cmp_ne_u32_e64 s0, 14, v1
	s_delay_alu instid0(VALU_DEP_1) | instskip(SKIP_1) | instid1(VALU_DEP_1)
	v_cndmask_b32_e64 v38, 0xff800000, v38, s0
	v_cmp_ne_u32_e64 s0, 13, v1
	v_cndmask_b32_e64 v36, 0xff800000, v36, s0
	v_cmp_ne_u32_e64 s0, 12, v1
	s_delay_alu instid0(VALU_DEP_1) | instskip(SKIP_1) | instid1(VALU_DEP_1)
	v_cndmask_b32_e64 v34, 0xff800000, v34, s0
	;; [unrolled: 5-line block ×7, first 2 shown]
	v_cmp_ne_u32_e64 s0, 1, v1
	v_cndmask_b32_e64 v14, 0xff800000, v14, s0
	v_cmp_ne_u32_e64 s0, 0, v1
	s_delay_alu instid0(VALU_DEP_1)
	v_cndmask_b32_e64 v12, 0xff800000, v12, s0
	s_branch .LBB170_13
.LBB170_18:
	v_cmp_eq_u32_e32 vcc_lo, 0, v9
	v_cmp_neq_f32_e64 s0, 0, v11
	s_delay_alu instid0(VALU_DEP_1) | instskip(NEXT) | instid1(SALU_CYCLE_1)
	s_and_b32 s0, vcc_lo, s0
	s_and_b32 exec_lo, exec_lo, s0
	s_cbranch_execz .LBB170_22
; %bb.19:
	s_and_not1_b32 vcc_lo, exec_lo, s3
	s_cbranch_vccnz .LBB170_22
; %bb.20:
	v_div_scale_f32 v1, null, v11, v11, 1.0
	v_div_scale_f32 v3, vcc_lo, 1.0, v11, 1.0
	s_delay_alu instid0(VALU_DEP_2) | instskip(SKIP_2) | instid1(VALU_DEP_1)
	v_rcp_f32_e32 v2, v1
	s_waitcnt_depctr 0xfff
	v_fma_f32 v0, -v1, v2, 1.0
	v_fmac_f32_e32 v2, v0, v2
	v_mul_lo_u32 v0, v8, s7
	s_delay_alu instid0(VALU_DEP_2) | instskip(NEXT) | instid1(VALU_DEP_1)
	v_mul_f32_e32 v4, v3, v2
	v_fma_f32 v5, -v1, v4, v3
	s_delay_alu instid0(VALU_DEP_1) | instskip(NEXT) | instid1(VALU_DEP_1)
	v_fmac_f32_e32 v4, v5, v2
	v_fma_f32 v3, -v1, v4, v3
	v_ashrrev_i32_e32 v1, 31, v0
	s_delay_alu instid0(VALU_DEP_2) | instskip(NEXT) | instid1(VALU_DEP_2)
	v_div_fmas_f32 v2, v3, v2, v4
	v_lshlrev_b64 v[0:1], 2, v[0:1]
	s_delay_alu instid0(VALU_DEP_2) | instskip(NEXT) | instid1(VALU_DEP_2)
	v_div_fixup_f32 v2, v2, v11, 1.0
	v_add_co_u32 v0, vcc_lo, s12, v0
	s_delay_alu instid0(VALU_DEP_3)
	v_add_co_ci_u32_e32 v1, vcc_lo, s13, v1, vcc_lo
.LBB170_21:                             ; =>This Inner Loop Header: Depth=1
	global_load_b32 v3, v[0:1], off
	s_add_i32 s4, s4, -1
	s_delay_alu instid0(SALU_CYCLE_1)
	s_cmp_lg_u32 s4, 0
	s_waitcnt vmcnt(0)
	v_mul_f32_e32 v3, v2, v3
	global_store_b32 v[0:1], v3, off
	v_add_co_u32 v0, vcc_lo, v0, 4
	v_add_co_ci_u32_e32 v1, vcc_lo, 0, v1, vcc_lo
	s_cbranch_scc1 .LBB170_21
.LBB170_22:
	s_nop 0
	s_sendmsg sendmsg(MSG_DEALLOC_VGPRS)
	s_endpgm
	.section	.rodata,"a",@progbits
	.p2align	6, 0x0
	.amdhsa_kernel _ZN4vllm3moe17topkGatingSoftmaxIDF16_Li16ELi64ELi8ELi32ELb1ELi2ELNS0_23SharedExpertScoringFuncE1EEEvPKT_PKbPfiPiS9_iiiiii
		.amdhsa_group_segment_fixed_size 0
		.amdhsa_private_segment_fixed_size 0
		.amdhsa_kernarg_size 72
		.amdhsa_user_sgpr_count 15
		.amdhsa_user_sgpr_dispatch_ptr 0
		.amdhsa_user_sgpr_queue_ptr 0
		.amdhsa_user_sgpr_kernarg_segment_ptr 1
		.amdhsa_user_sgpr_dispatch_id 0
		.amdhsa_user_sgpr_private_segment_size 0
		.amdhsa_wavefront_size32 1
		.amdhsa_uses_dynamic_stack 0
		.amdhsa_enable_private_segment 0
		.amdhsa_system_sgpr_workgroup_id_x 1
		.amdhsa_system_sgpr_workgroup_id_y 0
		.amdhsa_system_sgpr_workgroup_id_z 0
		.amdhsa_system_sgpr_workgroup_info 0
		.amdhsa_system_vgpr_workitem_id 1
		.amdhsa_next_free_vgpr 53
		.amdhsa_next_free_sgpr 19
		.amdhsa_reserve_vcc 1
		.amdhsa_float_round_mode_32 0
		.amdhsa_float_round_mode_16_64 0
		.amdhsa_float_denorm_mode_32 3
		.amdhsa_float_denorm_mode_16_64 3
		.amdhsa_dx10_clamp 1
		.amdhsa_ieee_mode 1
		.amdhsa_fp16_overflow 0
		.amdhsa_workgroup_processor_mode 1
		.amdhsa_memory_ordered 1
		.amdhsa_forward_progress 0
		.amdhsa_shared_vgpr_count 0
		.amdhsa_exception_fp_ieee_invalid_op 0
		.amdhsa_exception_fp_denorm_src 0
		.amdhsa_exception_fp_ieee_div_zero 0
		.amdhsa_exception_fp_ieee_overflow 0
		.amdhsa_exception_fp_ieee_underflow 0
		.amdhsa_exception_fp_ieee_inexact 0
		.amdhsa_exception_int_div_zero 0
	.end_amdhsa_kernel
	.section	.text._ZN4vllm3moe17topkGatingSoftmaxIDF16_Li16ELi64ELi8ELi32ELb1ELi2ELNS0_23SharedExpertScoringFuncE1EEEvPKT_PKbPfiPiS9_iiiiii,"axG",@progbits,_ZN4vllm3moe17topkGatingSoftmaxIDF16_Li16ELi64ELi8ELi32ELb1ELi2ELNS0_23SharedExpertScoringFuncE1EEEvPKT_PKbPfiPiS9_iiiiii,comdat
.Lfunc_end170:
	.size	_ZN4vllm3moe17topkGatingSoftmaxIDF16_Li16ELi64ELi8ELi32ELb1ELi2ELNS0_23SharedExpertScoringFuncE1EEEvPKT_PKbPfiPiS9_iiiiii, .Lfunc_end170-_ZN4vllm3moe17topkGatingSoftmaxIDF16_Li16ELi64ELi8ELi32ELb1ELi2ELNS0_23SharedExpertScoringFuncE1EEEvPKT_PKbPfiPiS9_iiiiii
                                        ; -- End function
	.section	.AMDGPU.csdata,"",@progbits
; Kernel info:
; codeLenInByte = 3644
; NumSgprs: 21
; NumVgprs: 53
; ScratchSize: 0
; MemoryBound: 0
; FloatMode: 240
; IeeeMode: 1
; LDSByteSize: 0 bytes/workgroup (compile time only)
; SGPRBlocks: 2
; VGPRBlocks: 6
; NumSGPRsForWavesPerEU: 21
; NumVGPRsForWavesPerEU: 53
; Occupancy: 16
; WaveLimiterHint : 0
; COMPUTE_PGM_RSRC2:SCRATCH_EN: 0
; COMPUTE_PGM_RSRC2:USER_SGPR: 15
; COMPUTE_PGM_RSRC2:TRAP_HANDLER: 0
; COMPUTE_PGM_RSRC2:TGID_X_EN: 1
; COMPUTE_PGM_RSRC2:TGID_Y_EN: 0
; COMPUTE_PGM_RSRC2:TGID_Z_EN: 0
; COMPUTE_PGM_RSRC2:TIDIG_COMP_CNT: 1
	.section	.text._ZN4vllm3moe17topkGatingSoftmaxIDF16_Li16ELi64ELi8ELi32ELb0ELi2ELNS0_23SharedExpertScoringFuncE1EEEvPKT_PKbPfiPiS9_iiiiii,"axG",@progbits,_ZN4vllm3moe17topkGatingSoftmaxIDF16_Li16ELi64ELi8ELi32ELb0ELi2ELNS0_23SharedExpertScoringFuncE1EEEvPKT_PKbPfiPiS9_iiiiii,comdat
	.protected	_ZN4vllm3moe17topkGatingSoftmaxIDF16_Li16ELi64ELi8ELi32ELb0ELi2ELNS0_23SharedExpertScoringFuncE1EEEvPKT_PKbPfiPiS9_iiiiii ; -- Begin function _ZN4vllm3moe17topkGatingSoftmaxIDF16_Li16ELi64ELi8ELi32ELb0ELi2ELNS0_23SharedExpertScoringFuncE1EEEvPKT_PKbPfiPiS9_iiiiii
	.globl	_ZN4vllm3moe17topkGatingSoftmaxIDF16_Li16ELi64ELi8ELi32ELb0ELi2ELNS0_23SharedExpertScoringFuncE1EEEvPKT_PKbPfiPiS9_iiiiii
	.p2align	8
	.type	_ZN4vllm3moe17topkGatingSoftmaxIDF16_Li16ELi64ELi8ELi32ELb0ELi2ELNS0_23SharedExpertScoringFuncE1EEEvPKT_PKbPfiPiS9_iiiiii,@function
_ZN4vllm3moe17topkGatingSoftmaxIDF16_Li16ELi64ELi8ELi32ELb0ELi2ELNS0_23SharedExpertScoringFuncE1EEEvPKT_PKbPfiPiS9_iiiiii: ; @_ZN4vllm3moe17topkGatingSoftmaxIDF16_Li16ELi64ELi8ELi32ELb0ELi2ELNS0_23SharedExpertScoringFuncE1EEEvPKT_PKbPfiPiS9_iiiiii
; %bb.0:
	s_load_b32 s16, s[0:1], 0x18
	v_bfe_u32 v1, v0, 10, 10
	v_and_b32_e32 v0, 0x3ff, v0
	s_lshl_b32 s18, s15, 6
	s_mov_b32 s2, exec_lo
	s_delay_alu instid0(VALU_DEP_2) | instskip(NEXT) | instid1(VALU_DEP_2)
	v_lshlrev_b32_e32 v42, 3, v1
	v_lshrrev_b32_e32 v43, 2, v0
	s_delay_alu instid0(VALU_DEP_1) | instskip(SKIP_1) | instid1(VALU_DEP_1)
	v_add3_u32 v8, s18, v42, v43
	s_waitcnt lgkmcnt(0)
	v_cmpx_gt_i32_e64 s16, v8
	s_cbranch_execz .LBB171_23
; %bb.1:
	s_clause 0x1
	s_load_b128 s[4:7], s[0:1], 0x0
	s_load_b64 s[12:13], s[0:1], 0x10
	s_waitcnt lgkmcnt(0)
	s_cmp_eq_u64 s[6:7], 0
	s_cbranch_scc1 .LBB171_3
; %bb.2:
	v_ashrrev_i32_e32 v2, 31, v8
	v_add_co_u32 v1, vcc_lo, s6, v8
	s_delay_alu instid0(VALU_DEP_2) | instskip(SKIP_3) | instid1(VALU_DEP_1)
	v_add_co_ci_u32_e32 v2, vcc_lo, s7, v2, vcc_lo
	global_load_u8 v1, v[1:2], off
	s_waitcnt vmcnt(0)
	v_and_b32_e32 v1, 1, v1
	v_cmp_eq_u32_e32 vcc_lo, 1, v1
	s_xor_b32 s2, vcc_lo, -1
	s_delay_alu instid0(SALU_CYCLE_1)
	s_or_not1_b32 s17, s2, exec_lo
	s_branch .LBB171_4
.LBB171_3:
	s_mov_b32 s17, -1
.LBB171_4:
	s_load_b64 s[14:15], s[0:1], 0x40
	v_dual_mov_b32 v10, 0 :: v_dual_and_b32 v9, 3, v0
	s_mov_b32 s2, exec_lo
	s_delay_alu instid0(VALU_DEP_1) | instskip(SKIP_2) | instid1(VALU_DEP_1)
	v_lshlrev_b32_e32 v22, 4, v9
	s_waitcnt lgkmcnt(0)
	v_mul_lo_u32 v1, v8, s15
	v_ashrrev_i32_e32 v2, 31, v1
	s_delay_alu instid0(VALU_DEP_1) | instskip(SKIP_1) | instid1(VALU_DEP_2)
	v_lshlrev_b64 v[0:1], 1, v[1:2]
	v_lshlrev_b32_e32 v2, 5, v9
	v_add_co_u32 v11, vcc_lo, s4, v0
	s_delay_alu instid0(VALU_DEP_3) | instskip(SKIP_1) | instid1(VALU_DEP_2)
	v_add_co_ci_u32_e32 v12, vcc_lo, s5, v1, vcc_lo
	s_load_b128 s[4:7], s[0:1], 0x30
	v_add_co_u32 v4, vcc_lo, v11, v2
	s_delay_alu instid0(VALU_DEP_2)
	v_add_co_ci_u32_e32 v5, vcc_lo, 0, v12, vcc_lo
	s_clause 0x1
	global_load_b128 v[0:3], v[4:5], off offset:16
	global_load_b128 v[4:7], v[4:5], off
	v_cmpx_gt_u32_e32 2, v9
	s_cbranch_execz .LBB171_6
; %bb.5:
	v_lshlrev_b32_e32 v13, 1, v9
	s_mov_b32 s3, 0x3fb8aa3b
	s_delay_alu instid0(VALU_DEP_1) | instskip(SKIP_4) | instid1(VALU_DEP_1)
	v_add_co_u32 v11, vcc_lo, v11, v13
	v_add_co_ci_u32_e32 v12, vcc_lo, 0, v12, vcc_lo
	global_load_u16 v11, v[11:12], off offset:128
	s_waitcnt vmcnt(0)
	v_cvt_f32_f16_e64 v12, -v11
	v_mul_f32_e32 v13, 0x3fb8aa3b, v12
	v_cmp_ngt_f32_e32 vcc_lo, 0xc2ce8ed0, v12
	s_delay_alu instid0(VALU_DEP_2)
	v_fma_mix_f32 v14, -v11, s3, -v13 op_sel_hi:[1,0,0]
	v_rndne_f32_e32 v15, v13
	s_mov_b32 s3, 0x32a5705f
	s_delay_alu instid0(VALU_DEP_2) | instid1(SALU_CYCLE_1)
	v_fma_mix_f32 v11, -v11, s3, v14 op_sel_hi:[1,0,0]
	s_delay_alu instid0(VALU_DEP_2) | instskip(NEXT) | instid1(VALU_DEP_1)
	v_sub_f32_e32 v13, v13, v15
	v_add_f32_e32 v11, v13, v11
	v_cvt_i32_f32_e32 v13, v15
	s_delay_alu instid0(VALU_DEP_2) | instskip(SKIP_2) | instid1(VALU_DEP_1)
	v_exp_f32_e32 v11, v11
	s_waitcnt_depctr 0xfff
	v_ldexp_f32 v11, v11, v13
	v_cndmask_b32_e32 v11, 0, v11, vcc_lo
	v_cmp_nlt_f32_e32 vcc_lo, 0x42b17218, v12
	s_delay_alu instid0(VALU_DEP_2) | instskip(NEXT) | instid1(VALU_DEP_1)
	v_cndmask_b32_e32 v11, 0x7f800000, v11, vcc_lo
	v_add_f32_e32 v13, 1.0, v11
	s_delay_alu instid0(VALU_DEP_1) | instskip(SKIP_1) | instid1(VALU_DEP_2)
	v_div_scale_f32 v12, null, v13, v13, 1.0
	v_div_scale_f32 v15, vcc_lo, 1.0, v13, 1.0
	v_rcp_f32_e32 v14, v12
	s_waitcnt_depctr 0xfff
	v_fma_f32 v11, -v12, v14, 1.0
	s_delay_alu instid0(VALU_DEP_1) | instskip(SKIP_2) | instid1(VALU_DEP_2)
	v_fmac_f32_e32 v14, v11, v14
	s_waitcnt lgkmcnt(0)
	v_mul_lo_u32 v11, v8, s7
	v_mul_f32_e32 v16, v15, v14
	s_delay_alu instid0(VALU_DEP_2) | instskip(NEXT) | instid1(VALU_DEP_2)
	v_add3_u32 v11, v11, s4, v9
	v_fma_f32 v17, -v12, v16, v15
	s_delay_alu instid0(VALU_DEP_1) | instskip(NEXT) | instid1(VALU_DEP_1)
	v_fmac_f32_e32 v16, v17, v14
	v_fma_f32 v15, -v12, v16, v15
	s_delay_alu instid0(VALU_DEP_4) | instskip(NEXT) | instid1(VALU_DEP_2)
	v_ashrrev_i32_e32 v12, 31, v11
	v_div_fmas_f32 v14, v15, v14, v16
	s_delay_alu instid0(VALU_DEP_2) | instskip(NEXT) | instid1(VALU_DEP_2)
	v_lshlrev_b64 v[11:12], 2, v[11:12]
	v_div_fixup_f32 v13, v14, v13, 1.0
	s_delay_alu instid0(VALU_DEP_2) | instskip(NEXT) | instid1(VALU_DEP_3)
	v_add_co_u32 v11, vcc_lo, s12, v11
	v_add_co_ci_u32_e32 v12, vcc_lo, s13, v12, vcc_lo
	global_store_b32 v[11:12], v13, off
.LBB171_6:
	s_or_b32 exec_lo, exec_lo, s2
	s_waitcnt vmcnt(0)
	v_lshrrev_b32_e32 v11, 16, v4
	v_cvt_f32_f16_e32 v24, v4
	v_or_b32_e32 v28, 1, v22
	v_cvt_f32_f16_e32 v26, v5
	v_lshrrev_b32_e32 v5, 16, v5
	v_cvt_f32_f16_e32 v27, v11
	v_cmp_lt_f16_e32 vcc_lo, v4, v11
	v_or_b32_e32 v29, 2, v22
	v_or_b32_e32 v30, 3, v22
	v_cvt_f32_f16_e32 v25, v5
	v_cvt_f32_f16_e32 v23, v6
	v_dual_cndmask_b32 v4, v22, v28 :: v_dual_cndmask_b32 v11, v24, v27
	v_lshrrev_b32_e32 v6, 16, v6
	v_or_b32_e32 v31, 4, v22
	v_or_b32_e32 v32, 5, v22
	v_cvt_f32_f16_e32 v20, v7
	v_cmp_lt_f32_e32 vcc_lo, v11, v26
	v_cvt_f32_f16_e32 v21, v6
	v_lshrrev_b32_e32 v6, 16, v7
	v_or_b32_e32 v33, 6, v22
	v_or_b32_e32 v34, 7, v22
	v_dual_cndmask_b32 v4, v4, v29 :: v_dual_cndmask_b32 v5, v11, v26
	s_delay_alu instid0(VALU_DEP_4)
	v_cvt_f32_f16_e32 v19, v6
	v_cvt_f32_f16_e32 v18, v0
	v_lshrrev_b32_e32 v0, 16, v0
	v_or_b32_e32 v35, 8, v22
	v_cmp_lt_f32_e32 vcc_lo, v5, v25
	v_cvt_f32_f16_e32 v14, v2
	v_lshrrev_b32_e32 v2, 16, v2
	v_cvt_f32_f16_e32 v17, v0
	v_or_b32_e32 v36, 9, v22
	v_dual_cndmask_b32 v4, v4, v30 :: v_dual_cndmask_b32 v5, v5, v25
	v_cvt_f32_f16_e32 v16, v1
	v_lshrrev_b32_e32 v1, 16, v1
	v_cvt_f32_f16_e32 v12, v2
	v_or_b32_e32 v37, 10, v22
	v_cmp_lt_f32_e32 vcc_lo, v5, v23
	v_cvt_f32_f16_e32 v11, v3
	v_cvt_f32_f16_e32 v15, v1
	v_or_b32_e32 v38, 11, v22
	v_lshrrev_b32_e32 v2, 16, v3
	v_cndmask_b32_e32 v5, v5, v23, vcc_lo
	v_cndmask_b32_e32 v4, v4, v31, vcc_lo
	v_or_b32_e32 v39, 12, v22
	v_or_b32_e32 v40, 13, v22
	v_cvt_f32_f16_e32 v7, v2
	v_cmp_lt_f32_e32 vcc_lo, v5, v21
	v_or_b32_e32 v41, 14, v22
	v_or_b32_e32 v44, 15, v22
	v_dual_cndmask_b32 v5, v5, v21 :: v_dual_cndmask_b32 v4, v4, v32
	s_delay_alu instid0(VALU_DEP_1) | instskip(NEXT) | instid1(VALU_DEP_2)
	v_cmp_lt_f32_e32 vcc_lo, v5, v20
	v_dual_cndmask_b32 v4, v4, v33 :: v_dual_cndmask_b32 v5, v5, v20
	s_delay_alu instid0(VALU_DEP_1) | instskip(NEXT) | instid1(VALU_DEP_2)
	v_cmp_lt_f32_e32 vcc_lo, v5, v19
	;; [unrolled: 3-line block ×3, first 2 shown]
	v_cndmask_b32_e32 v0, v4, v35, vcc_lo
	v_cndmask_b32_e32 v4, v5, v18, vcc_lo
	s_delay_alu instid0(VALU_DEP_1) | instskip(SKIP_1) | instid1(VALU_DEP_4)
	v_cmp_lt_f32_e32 vcc_lo, v4, v17
	v_cndmask_b32_e32 v4, v4, v17, vcc_lo
	v_cndmask_b32_e32 v0, v0, v36, vcc_lo
	s_delay_alu instid0(VALU_DEP_2) | instskip(SKIP_1) | instid1(VALU_DEP_3)
	v_cmp_lt_f32_e32 vcc_lo, v4, v16
	v_cndmask_b32_e32 v1, v4, v16, vcc_lo
	v_cndmask_b32_e32 v0, v0, v37, vcc_lo
	s_delay_alu instid0(VALU_DEP_2) | instskip(NEXT) | instid1(VALU_DEP_2)
	v_cmp_lt_f32_e32 vcc_lo, v1, v15
	v_dual_cndmask_b32 v1, v1, v15 :: v_dual_cndmask_b32 v0, v0, v38
	s_delay_alu instid0(VALU_DEP_1) | instskip(NEXT) | instid1(VALU_DEP_2)
	v_cmp_lt_f32_e32 vcc_lo, v1, v14
	v_dual_cndmask_b32 v1, v1, v14 :: v_dual_cndmask_b32 v0, v0, v39
	s_delay_alu instid0(VALU_DEP_1) | instskip(SKIP_1) | instid1(VALU_DEP_3)
	v_cmp_lt_f32_e32 vcc_lo, v1, v12
	v_cndmask_b32_e32 v1, v1, v12, vcc_lo
	v_cndmask_b32_e32 v0, v0, v40, vcc_lo
	s_delay_alu instid0(VALU_DEP_2) | instskip(NEXT) | instid1(VALU_DEP_2)
	v_cmp_lt_f32_e32 vcc_lo, v1, v11
	v_dual_cndmask_b32 v1, v1, v11 :: v_dual_cndmask_b32 v0, v0, v41
	s_delay_alu instid0(VALU_DEP_1) | instskip(NEXT) | instid1(VALU_DEP_2)
	v_cmp_lt_f32_e32 vcc_lo, v1, v7
	v_dual_cndmask_b32 v0, v0, v44 :: v_dual_cndmask_b32 v1, v1, v7
	s_delay_alu instid0(VALU_DEP_1) | instskip(NEXT) | instid1(VALU_DEP_2)
	v_mov_b32_dpp v2, v0 quad_perm:[1,0,3,2] row_mask:0xf bank_mask:0xf
	v_mov_b32_dpp v3, v1 quad_perm:[1,0,3,2] row_mask:0xf bank_mask:0xf
	s_delay_alu instid0(VALU_DEP_2) | instskip(NEXT) | instid1(VALU_DEP_2)
	v_cmp_lt_i32_e32 vcc_lo, v2, v0
	v_cmp_eq_f32_e64 s2, v1, v3
	v_cmp_lt_f32_e64 s3, v1, v3
	s_delay_alu instid0(VALU_DEP_2)
	s_and_b32 s2, s2, vcc_lo
	s_delay_alu instid0(VALU_DEP_1) | instid1(SALU_CYCLE_1)
	s_or_b32 vcc_lo, s3, s2
	v_dual_cndmask_b32 v1, v1, v3 :: v_dual_cndmask_b32 v0, v0, v2
	s_delay_alu instid0(VALU_DEP_1) | instskip(NEXT) | instid1(VALU_DEP_2)
	v_mov_b32_dpp v3, v1 quad_perm:[2,3,0,1] row_mask:0xf bank_mask:0xf
	v_mov_b32_dpp v2, v0 quad_perm:[2,3,0,1] row_mask:0xf bank_mask:0xf
	s_delay_alu instid0(VALU_DEP_2) | instskip(NEXT) | instid1(VALU_DEP_2)
	v_cmp_eq_f32_e32 vcc_lo, v1, v3
	v_cmp_lt_i32_e64 s2, v2, v0
	v_cmp_lt_f32_e64 s3, v1, v3
	s_delay_alu instid0(VALU_DEP_2) | instskip(SKIP_1) | instid1(VALU_DEP_2)
	s_and_b32 s2, vcc_lo, s2
	v_cmp_eq_u32_e32 vcc_lo, 0, v9
	s_or_b32 s2, s3, s2
	s_waitcnt lgkmcnt(0)
	s_cmp_gt_i32 s4, 0
	v_cndmask_b32_e64 v13, v1, v3, s2
	s_cselect_b32 s3, -1, 0
	s_cmp_lt_i32 s4, 1
	s_cbranch_scc1 .LBB171_18
; %bb.7:
	s_load_b128 s[8:11], s[0:1], 0x20
	v_mul_lo_u32 v1, v8, s7
	v_mul_lo_u32 v3, v8, s14
	;; [unrolled: 1-line block ×3, first 2 shown]
	v_cndmask_b32_e64 v0, v0, v2, s2
	v_mov_b32_e32 v10, 0
	s_and_saveexec_b32 s2, vcc_lo
	s_cbranch_execz .LBB171_9
; %bb.8:
	v_sub_f32_e32 v10, v13, v13
	v_cmp_le_i32_e64 s0, s5, v0
	v_cmp_gt_i32_e64 s1, s6, v0
	v_subrev_nc_u32_e32 v51, s5, v0
	v_ashrrev_i32_e32 v6, 31, v5
	v_mul_f32_e32 v2, 0x3fb8aa3b, v10
	s_delay_alu instid0(VALU_DEP_4) | instskip(NEXT) | instid1(SALU_CYCLE_1)
	s_and_b32 s0, s0, s1
	s_and_b32 s0, s17, s0
	s_delay_alu instid0(VALU_DEP_1) | instskip(SKIP_2) | instid1(VALU_DEP_3)
	v_rndne_f32_e32 v47, v2
	v_fma_f32 v4, 0x3fb8aa3b, v10, -v2
	v_lshlrev_b64 v[49:50], 2, v[5:6]
	v_sub_f32_e32 v2, v2, v47
	s_delay_alu instid0(VALU_DEP_3) | instskip(NEXT) | instid1(VALU_DEP_1)
	v_fmamk_f32 v4, v10, 0x32a5705f, v4
	v_add_f32_e32 v4, v2, v4
	v_ashrrev_i32_e32 v2, 31, v1
	s_delay_alu instid0(VALU_DEP_2) | instskip(NEXT) | instid1(VALU_DEP_1)
	v_exp_f32_e32 v52, v4
	v_lshlrev_b64 v[45:46], 2, v[1:2]
	v_ashrrev_i32_e32 v4, 31, v3
	v_cvt_i32_f32_e32 v2, v47
	s_delay_alu instid0(VALU_DEP_2) | instskip(SKIP_2) | instid1(VALU_DEP_1)
	v_lshlrev_b64 v[47:48], 2, v[3:4]
	v_cndmask_b32_e64 v4, 64, v51, s0
	v_add_co_u32 v45, s0, s12, v45
	v_add_co_ci_u32_e64 v46, s0, s13, v46, s0
	s_delay_alu instid0(TRANS32_DEP_1) | instskip(SKIP_1) | instid1(VALU_DEP_1)
	v_ldexp_f32 v2, v52, v2
	v_cmp_ngt_f32_e64 s0, 0xc2ce8ed0, v10
	v_cndmask_b32_e64 v2, 0, v2, s0
	s_waitcnt lgkmcnt(0)
	v_add_co_u32 v47, s0, s8, v47
	s_delay_alu instid0(VALU_DEP_1) | instskip(SKIP_1) | instid1(VALU_DEP_1)
	v_add_co_ci_u32_e64 v48, s0, s9, v48, s0
	v_cmp_nlt_f32_e64 s0, 0x42b17218, v10
	v_cndmask_b32_e64 v10, 0x7f800000, v2, s0
	v_add_co_u32 v49, s0, s10, v49
	s_delay_alu instid0(VALU_DEP_1)
	v_add_co_ci_u32_e64 v50, s0, s11, v50, s0
	global_store_b32 v[47:48], v4, off
	global_store_b32 v[45:46], v10, off
	;; [unrolled: 1-line block ×3, first 2 shown]
.LBB171_9:
	s_or_b32 exec_lo, exec_lo, s2
	v_ashrrev_i32_e32 v4, 31, v0
	s_mov_b32 s1, exec_lo
	s_delay_alu instid0(VALU_DEP_1) | instskip(NEXT) | instid1(VALU_DEP_1)
	v_lshrrev_b32_e32 v2, 28, v4
	v_add_nc_u32_e32 v2, v0, v2
	s_delay_alu instid0(VALU_DEP_1) | instskip(NEXT) | instid1(VALU_DEP_1)
	v_ashrrev_i32_e32 v2, 4, v2
	v_lshrrev_b32_e32 v6, 30, v2
	s_delay_alu instid0(VALU_DEP_1) | instskip(NEXT) | instid1(VALU_DEP_1)
	v_add_nc_u32_e32 v6, v2, v6
	v_and_b32_e32 v6, -4, v6
	s_delay_alu instid0(VALU_DEP_1) | instskip(NEXT) | instid1(VALU_DEP_1)
	v_sub_nc_u32_e32 v6, v2, v6
	v_cmpx_eq_u32_e64 v9, v6
	s_cbranch_execz .LBB171_11
; %bb.10:
	v_lshrrev_b32_e32 v4, 26, v4
	v_lshlrev_b32_e32 v2, 4, v2
	s_delay_alu instid0(VALU_DEP_2) | instskip(NEXT) | instid1(VALU_DEP_2)
	v_add_nc_u32_e32 v4, v0, v4
	v_sub_nc_u32_e32 v0, v0, v2
	s_delay_alu instid0(VALU_DEP_2) | instskip(NEXT) | instid1(VALU_DEP_1)
	v_ashrrev_i32_e32 v2, 6, v4
	v_lshl_add_u32 v0, v2, 4, v0
	s_delay_alu instid0(VALU_DEP_1) | instskip(NEXT) | instid1(VALU_DEP_1)
	v_cmp_ne_u32_e64 s0, 15, v0
	v_cndmask_b32_e64 v7, 0xff800000, v7, s0
	v_cmp_ne_u32_e64 s0, 14, v0
	s_delay_alu instid0(VALU_DEP_1) | instskip(SKIP_1) | instid1(VALU_DEP_1)
	v_cndmask_b32_e64 v11, 0xff800000, v11, s0
	v_cmp_ne_u32_e64 s0, 13, v0
	v_cndmask_b32_e64 v12, 0xff800000, v12, s0
	v_cmp_ne_u32_e64 s0, 12, v0
	s_delay_alu instid0(VALU_DEP_1) | instskip(SKIP_1) | instid1(VALU_DEP_1)
	v_cndmask_b32_e64 v14, 0xff800000, v14, s0
	;; [unrolled: 5-line block ×7, first 2 shown]
	v_cmp_ne_u32_e64 s0, 1, v0
	v_cndmask_b32_e64 v27, 0xff800000, v27, s0
	v_cmp_ne_u32_e64 s0, 0, v0
	s_delay_alu instid0(VALU_DEP_1)
	v_cndmask_b32_e64 v24, 0xff800000, v24, s0
.LBB171_11:
	s_or_b32 exec_lo, exec_lo, s1
	s_cmp_eq_u32 s4, 1
	s_cbranch_scc1 .LBB171_18
; %bb.12:
	s_add_i32 s18, s18, s16
	v_add_nc_u32_e32 v0, 1, v5
	v_add3_u32 v6, s18, v43, v42
	v_add_nc_u32_e32 v2, 1, v3
	v_add_nc_u32_e32 v4, 1, v1
	s_add_i32 s14, s4, -1
	s_branch .LBB171_14
.LBB171_13:                             ;   in Loop: Header=BB171_14 Depth=1
	s_or_b32 exec_lo, exec_lo, s1
	v_add_nc_u32_e32 v6, s16, v6
	v_add_nc_u32_e32 v0, 1, v0
	;; [unrolled: 1-line block ×4, first 2 shown]
	s_add_i32 s14, s14, -1
	s_delay_alu instid0(SALU_CYCLE_1)
	s_cmp_eq_u32 s14, 0
	s_cbranch_scc1 .LBB171_18
.LBB171_14:                             ; =>This Inner Loop Header: Depth=1
	v_cmp_gt_f32_e64 s0, v27, v24
	s_delay_alu instid0(VALU_DEP_1) | instskip(SKIP_1) | instid1(VALU_DEP_2)
	v_cndmask_b32_e64 v3, v24, v27, s0
	v_cndmask_b32_e64 v1, v22, v28, s0
	v_cmp_gt_f32_e64 s0, v26, v3
	s_delay_alu instid0(VALU_DEP_1) | instskip(NEXT) | instid1(VALU_DEP_3)
	v_cndmask_b32_e64 v3, v3, v26, s0
	v_cndmask_b32_e64 v1, v1, v29, s0
	s_delay_alu instid0(VALU_DEP_2) | instskip(NEXT) | instid1(VALU_DEP_1)
	v_cmp_gt_f32_e64 s0, v25, v3
	v_cndmask_b32_e64 v3, v3, v25, s0
	s_delay_alu instid0(VALU_DEP_3) | instskip(NEXT) | instid1(VALU_DEP_2)
	v_cndmask_b32_e64 v1, v1, v30, s0
	v_cmp_gt_f32_e64 s0, v23, v3
	s_delay_alu instid0(VALU_DEP_1) | instskip(NEXT) | instid1(VALU_DEP_3)
	v_cndmask_b32_e64 v3, v3, v23, s0
	v_cndmask_b32_e64 v1, v1, v31, s0
	s_delay_alu instid0(VALU_DEP_2) | instskip(NEXT) | instid1(VALU_DEP_1)
	v_cmp_gt_f32_e64 s0, v21, v3
	v_cndmask_b32_e64 v3, v3, v21, s0
	s_delay_alu instid0(VALU_DEP_3) | instskip(NEXT) | instid1(VALU_DEP_2)
	v_cndmask_b32_e64 v1, v1, v32, s0
	v_cmp_gt_f32_e64 s0, v20, v3
	s_delay_alu instid0(VALU_DEP_1) | instskip(NEXT) | instid1(VALU_DEP_3)
	v_cndmask_b32_e64 v3, v3, v20, s0
	v_cndmask_b32_e64 v1, v1, v33, s0
	s_delay_alu instid0(VALU_DEP_2) | instskip(NEXT) | instid1(VALU_DEP_1)
	v_cmp_gt_f32_e64 s0, v19, v3
	v_cndmask_b32_e64 v3, v3, v19, s0
	s_delay_alu instid0(VALU_DEP_3) | instskip(NEXT) | instid1(VALU_DEP_2)
	v_cndmask_b32_e64 v1, v1, v34, s0
	v_cmp_gt_f32_e64 s0, v18, v3
	s_delay_alu instid0(VALU_DEP_1) | instskip(NEXT) | instid1(VALU_DEP_3)
	v_cndmask_b32_e64 v3, v3, v18, s0
	v_cndmask_b32_e64 v1, v1, v35, s0
	s_delay_alu instid0(VALU_DEP_2) | instskip(NEXT) | instid1(VALU_DEP_1)
	v_cmp_gt_f32_e64 s0, v17, v3
	v_cndmask_b32_e64 v3, v3, v17, s0
	s_delay_alu instid0(VALU_DEP_3) | instskip(NEXT) | instid1(VALU_DEP_2)
	v_cndmask_b32_e64 v1, v1, v36, s0
	v_cmp_gt_f32_e64 s0, v16, v3
	s_delay_alu instid0(VALU_DEP_1) | instskip(NEXT) | instid1(VALU_DEP_3)
	v_cndmask_b32_e64 v3, v3, v16, s0
	v_cndmask_b32_e64 v1, v1, v37, s0
	s_delay_alu instid0(VALU_DEP_2) | instskip(NEXT) | instid1(VALU_DEP_1)
	v_cmp_gt_f32_e64 s0, v15, v3
	v_cndmask_b32_e64 v3, v3, v15, s0
	s_delay_alu instid0(VALU_DEP_3) | instskip(NEXT) | instid1(VALU_DEP_2)
	v_cndmask_b32_e64 v1, v1, v38, s0
	v_cmp_gt_f32_e64 s0, v14, v3
	s_delay_alu instid0(VALU_DEP_1) | instskip(NEXT) | instid1(VALU_DEP_3)
	v_cndmask_b32_e64 v3, v3, v14, s0
	v_cndmask_b32_e64 v1, v1, v39, s0
	s_delay_alu instid0(VALU_DEP_2) | instskip(NEXT) | instid1(VALU_DEP_1)
	v_cmp_gt_f32_e64 s0, v12, v3
	v_cndmask_b32_e64 v3, v3, v12, s0
	s_delay_alu instid0(VALU_DEP_3) | instskip(NEXT) | instid1(VALU_DEP_2)
	v_cndmask_b32_e64 v1, v1, v40, s0
	v_cmp_gt_f32_e64 s0, v11, v3
	s_delay_alu instid0(VALU_DEP_1) | instskip(NEXT) | instid1(VALU_DEP_3)
	v_cndmask_b32_e64 v3, v3, v11, s0
	v_cndmask_b32_e64 v1, v1, v41, s0
	s_delay_alu instid0(VALU_DEP_2) | instskip(NEXT) | instid1(VALU_DEP_1)
	v_cmp_gt_f32_e64 s0, v7, v3
	v_cndmask_b32_e64 v5, v1, v44, s0
	v_cndmask_b32_e64 v1, v3, v7, s0
	s_delay_alu instid0(VALU_DEP_2) | instskip(NEXT) | instid1(VALU_DEP_2)
	v_mov_b32_dpp v3, v5 quad_perm:[1,0,3,2] row_mask:0xf bank_mask:0xf
	v_mov_b32_dpp v42, v1 quad_perm:[1,0,3,2] row_mask:0xf bank_mask:0xf
	s_delay_alu instid0(VALU_DEP_2) | instskip(NEXT) | instid1(VALU_DEP_2)
	v_cmp_lt_i32_e64 s0, v3, v5
	v_cmp_eq_f32_e64 s1, v1, v42
	v_cmp_lt_f32_e64 s2, v1, v42
	s_delay_alu instid0(VALU_DEP_2)
	s_and_b32 s0, s1, s0
	s_delay_alu instid0(VALU_DEP_1) | instid1(SALU_CYCLE_1)
	s_or_b32 s0, s2, s0
	s_delay_alu instid0(SALU_CYCLE_1) | instskip(SKIP_1) | instid1(VALU_DEP_2)
	v_cndmask_b32_e64 v1, v1, v42, s0
	v_cndmask_b32_e64 v5, v5, v3, s0
	v_mov_b32_dpp v3, v1 quad_perm:[2,3,0,1] row_mask:0xf bank_mask:0xf
	s_delay_alu instid0(VALU_DEP_2) | instskip(NEXT) | instid1(VALU_DEP_2)
	v_mov_b32_dpp v42, v5 quad_perm:[2,3,0,1] row_mask:0xf bank_mask:0xf
	v_cmp_eq_f32_e64 s0, v1, v3
	s_delay_alu instid0(VALU_DEP_2) | instskip(SKIP_1) | instid1(VALU_DEP_2)
	v_cmp_lt_i32_e64 s1, v42, v5
	v_cmp_lt_f32_e64 s2, v1, v3
	s_and_b32 s0, s0, s1
	s_delay_alu instid0(VALU_DEP_1) | instid1(SALU_CYCLE_1)
	s_or_b32 s0, s2, s0
	s_delay_alu instid0(SALU_CYCLE_1)
	v_cndmask_b32_e64 v42, v5, v42, s0
	s_and_saveexec_b32 s2, vcc_lo
	s_cbranch_execz .LBB171_16
; %bb.15:                               ;   in Loop: Header=BB171_14 Depth=1
	v_cndmask_b32_e64 v1, v1, v3, s0
	s_delay_alu instid0(VALU_DEP_2) | instskip(SKIP_4) | instid1(VALU_DEP_4)
	v_cmp_le_i32_e64 s0, s5, v42
	v_cmp_gt_i32_e64 s1, s6, v42
	v_ashrrev_i32_e32 v5, 31, v4
	v_subrev_nc_u32_e32 v51, s5, v42
	v_sub_f32_e32 v43, v1, v13
	s_and_b32 s0, s0, s1
	s_delay_alu instid0(SALU_CYCLE_1) | instskip(NEXT) | instid1(VALU_DEP_1)
	s_and_b32 s0, s17, s0
	v_mul_f32_e32 v1, 0x3fb8aa3b, v43
	s_delay_alu instid0(VALU_DEP_1) | instskip(SKIP_1) | instid1(VALU_DEP_2)
	v_fma_f32 v3, 0x3fb8aa3b, v43, -v1
	v_rndne_f32_e32 v45, v1
	v_fmac_f32_e32 v3, 0x32a5705f, v43
	s_delay_alu instid0(VALU_DEP_2) | instskip(SKIP_2) | instid1(VALU_DEP_3)
	v_sub_f32_e32 v1, v1, v45
	v_cvt_i32_f32_e32 v50, v45
	v_lshlrev_b64 v[45:46], 2, v[4:5]
	v_add_f32_e32 v1, v1, v3
	v_ashrrev_i32_e32 v3, 31, v2
	s_delay_alu instid0(VALU_DEP_2) | instskip(SKIP_1) | instid1(VALU_DEP_2)
	v_exp_f32_e32 v49, v1
	v_ashrrev_i32_e32 v1, 31, v0
	v_lshlrev_b64 v[47:48], 2, v[2:3]
	s_waitcnt_depctr 0xfff
	v_ldexp_f32 v3, v49, v50
	v_lshlrev_b64 v[49:50], 2, v[0:1]
	v_cndmask_b32_e64 v1, 64, v51, s0
	v_cmp_ngt_f32_e64 s0, 0xc2ce8ed0, v43
	s_delay_alu instid0(VALU_DEP_1) | instskip(SKIP_1) | instid1(VALU_DEP_1)
	v_cndmask_b32_e64 v3, 0, v3, s0
	v_add_co_u32 v45, s0, s12, v45
	v_add_co_ci_u32_e64 v46, s0, s13, v46, s0
	v_cmp_nlt_f32_e64 s0, 0x42b17218, v43
	s_delay_alu instid0(VALU_DEP_1) | instskip(SKIP_2) | instid1(VALU_DEP_1)
	v_cndmask_b32_e64 v3, 0x7f800000, v3, s0
	s_waitcnt lgkmcnt(0)
	v_add_co_u32 v47, s0, s8, v47
	v_add_co_ci_u32_e64 v48, s0, s9, v48, s0
	s_delay_alu instid0(VALU_DEP_3) | instskip(SKIP_1) | instid1(VALU_DEP_1)
	v_add_f32_e32 v10, v10, v3
	v_add_co_u32 v49, s0, s10, v49
	v_add_co_ci_u32_e64 v50, s0, s11, v50, s0
	global_store_b32 v[45:46], v3, off
	global_store_b32 v[47:48], v1, off
	;; [unrolled: 1-line block ×3, first 2 shown]
.LBB171_16:                             ;   in Loop: Header=BB171_14 Depth=1
	s_or_b32 exec_lo, exec_lo, s2
	s_delay_alu instid0(VALU_DEP_1) | instskip(SKIP_1) | instid1(VALU_DEP_1)
	v_ashrrev_i32_e32 v3, 31, v42
	s_mov_b32 s1, exec_lo
	v_lshrrev_b32_e32 v1, 28, v3
	s_delay_alu instid0(VALU_DEP_1) | instskip(NEXT) | instid1(VALU_DEP_1)
	v_add_nc_u32_e32 v1, v42, v1
	v_ashrrev_i32_e32 v1, 4, v1
	s_delay_alu instid0(VALU_DEP_1) | instskip(NEXT) | instid1(VALU_DEP_1)
	v_lshrrev_b32_e32 v5, 30, v1
	v_add_nc_u32_e32 v5, v1, v5
	s_delay_alu instid0(VALU_DEP_1) | instskip(NEXT) | instid1(VALU_DEP_1)
	v_and_b32_e32 v5, -4, v5
	v_sub_nc_u32_e32 v5, v1, v5
	s_delay_alu instid0(VALU_DEP_1)
	v_cmpx_eq_u32_e64 v9, v5
	s_cbranch_execz .LBB171_13
; %bb.17:                               ;   in Loop: Header=BB171_14 Depth=1
	v_lshrrev_b32_e32 v3, 26, v3
	v_lshlrev_b32_e32 v1, 4, v1
	s_delay_alu instid0(VALU_DEP_2) | instskip(NEXT) | instid1(VALU_DEP_2)
	v_add_nc_u32_e32 v3, v42, v3
	v_sub_nc_u32_e32 v1, v42, v1
	s_delay_alu instid0(VALU_DEP_2) | instskip(NEXT) | instid1(VALU_DEP_1)
	v_ashrrev_i32_e32 v3, 6, v3
	v_lshl_add_u32 v1, v3, 4, v1
	s_delay_alu instid0(VALU_DEP_1) | instskip(NEXT) | instid1(VALU_DEP_1)
	v_cmp_ne_u32_e64 s0, 15, v1
	v_cndmask_b32_e64 v7, 0xff800000, v7, s0
	v_cmp_ne_u32_e64 s0, 14, v1
	s_delay_alu instid0(VALU_DEP_1) | instskip(SKIP_1) | instid1(VALU_DEP_1)
	v_cndmask_b32_e64 v11, 0xff800000, v11, s0
	v_cmp_ne_u32_e64 s0, 13, v1
	v_cndmask_b32_e64 v12, 0xff800000, v12, s0
	v_cmp_ne_u32_e64 s0, 12, v1
	s_delay_alu instid0(VALU_DEP_1) | instskip(SKIP_1) | instid1(VALU_DEP_1)
	v_cndmask_b32_e64 v14, 0xff800000, v14, s0
	v_cmp_ne_u32_e64 s0, 11, v1
	v_cndmask_b32_e64 v15, 0xff800000, v15, s0
	v_cmp_ne_u32_e64 s0, 10, v1
	s_delay_alu instid0(VALU_DEP_1) | instskip(SKIP_1) | instid1(VALU_DEP_1)
	v_cndmask_b32_e64 v16, 0xff800000, v16, s0
	v_cmp_ne_u32_e64 s0, 9, v1
	v_cndmask_b32_e64 v17, 0xff800000, v17, s0
	v_cmp_ne_u32_e64 s0, 8, v1
	s_delay_alu instid0(VALU_DEP_1) | instskip(SKIP_1) | instid1(VALU_DEP_1)
	v_cndmask_b32_e64 v18, 0xff800000, v18, s0
	v_cmp_ne_u32_e64 s0, 7, v1
	v_cndmask_b32_e64 v19, 0xff800000, v19, s0
	v_cmp_ne_u32_e64 s0, 6, v1
	s_delay_alu instid0(VALU_DEP_1) | instskip(SKIP_1) | instid1(VALU_DEP_1)
	v_cndmask_b32_e64 v20, 0xff800000, v20, s0
	v_cmp_ne_u32_e64 s0, 5, v1
	v_cndmask_b32_e64 v21, 0xff800000, v21, s0
	v_cmp_ne_u32_e64 s0, 4, v1
	s_delay_alu instid0(VALU_DEP_1) | instskip(SKIP_1) | instid1(VALU_DEP_1)
	v_cndmask_b32_e64 v23, 0xff800000, v23, s0
	v_cmp_ne_u32_e64 s0, 3, v1
	v_cndmask_b32_e64 v25, 0xff800000, v25, s0
	v_cmp_ne_u32_e64 s0, 2, v1
	s_delay_alu instid0(VALU_DEP_1) | instskip(SKIP_1) | instid1(VALU_DEP_1)
	v_cndmask_b32_e64 v26, 0xff800000, v26, s0
	v_cmp_ne_u32_e64 s0, 1, v1
	v_cndmask_b32_e64 v27, 0xff800000, v27, s0
	v_cmp_ne_u32_e64 s0, 0, v1
	s_delay_alu instid0(VALU_DEP_1)
	v_cndmask_b32_e64 v24, 0xff800000, v24, s0
	s_branch .LBB171_13
.LBB171_18:
	s_delay_alu instid0(VALU_DEP_1)
	v_sub_f32_e32 v5, v25, v13
	v_sub_f32_e32 v1, v27, v13
	;; [unrolled: 1-line block ×5, first 2 shown]
	v_mul_f32_e32 v27, 0x3fb8aa3b, v5
	v_sub_f32_e32 v16, v16, v13
	v_sub_f32_e32 v21, v21, v13
	;; [unrolled: 1-line block ×4, first 2 shown]
	v_rndne_f32_e32 v30, v27
	v_sub_f32_e32 v0, v24, v13
	s_delay_alu instid0(VALU_DEP_1) | instskip(SKIP_1) | instid1(VALU_DEP_2)
	v_dual_sub_f32 v7, v7, v13 :: v_dual_mul_f32 v2, 0x3fb8aa3b, v0
	v_mul_f32_e32 v4, 0x3fb8aa3b, v1
	v_fma_f32 v22, 0x3fb8aa3b, v0, -v2
	v_sub_f32_e32 v3, v26, v13
	v_rndne_f32_e32 v23, v2
	s_delay_alu instid0(VALU_DEP_4)
	v_fma_f32 v24, 0x3fb8aa3b, v1, -v4
	v_rndne_f32_e32 v25, v4
	v_fmac_f32_e32 v22, 0x32a5705f, v0
	v_mul_f32_e32 v26, 0x3fb8aa3b, v3
	v_fma_f32 v29, 0x3fb8aa3b, v5, -v27
	v_sub_f32_e32 v2, v2, v23
	v_fmac_f32_e32 v24, 0x32a5705f, v1
	v_sub_f32_e32 v4, v4, v25
	v_cvt_i32_f32_e32 v23, v23
	s_delay_alu instid0(VALU_DEP_4) | instskip(SKIP_1) | instid1(VALU_DEP_4)
	v_dual_fmac_f32 v29, 0x32a5705f, v5 :: v_dual_add_f32 v2, v2, v22
	v_fma_f32 v22, 0x3fb8aa3b, v3, -v26
	v_add_f32_e32 v4, v4, v24
	v_rndne_f32_e32 v24, v26
	v_cvt_i32_f32_e32 v25, v25
	v_exp_f32_e32 v2, v2
	v_fmac_f32_e32 v22, 0x32a5705f, v3
	v_exp_f32_e32 v4, v4
	v_sub_f32_e32 v26, v26, v24
	v_cvt_i32_f32_e32 v24, v24
	s_delay_alu instid0(VALU_DEP_2)
	v_add_f32_e32 v22, v26, v22
	s_waitcnt_depctr 0xfff
	v_ldexp_f32 v2, v2, v23
	v_sub_f32_e32 v23, v27, v30
	v_cmp_ngt_f32_e32 vcc_lo, 0xc2ce8ed0, v0
	v_ldexp_f32 v4, v4, v25
	v_exp_f32_e32 v22, v22
	s_delay_alu instid0(VALU_DEP_3) | instskip(SKIP_1) | instid1(VALU_DEP_2)
	v_dual_add_f32 v23, v23, v29 :: v_dual_cndmask_b32 v2, 0, v2
	v_cmp_ngt_f32_e32 vcc_lo, 0xc2ce8ed0, v1
	v_exp_f32_e32 v23, v23
	v_cndmask_b32_e32 v4, 0, v4, vcc_lo
	v_cmp_nlt_f32_e32 vcc_lo, 0x42b17218, v0
	v_cndmask_b32_e32 v0, 0x7f800000, v2, vcc_lo
	v_cmp_nlt_f32_e32 vcc_lo, 0x42b17218, v1
	s_delay_alu instid0(VALU_DEP_4) | instskip(SKIP_3) | instid1(VALU_DEP_4)
	v_cndmask_b32_e32 v1, 0x7f800000, v4, vcc_lo
	v_mul_f32_e32 v28, 0x3fb8aa3b, v6
	v_ldexp_f32 v4, v22, v24
	v_cmp_ngt_f32_e32 vcc_lo, 0xc2ce8ed0, v3
	v_add_f32_e32 v0, v0, v1
	s_delay_alu instid0(VALU_DEP_4)
	v_fma_f32 v2, 0x3fb8aa3b, v6, -v28
	v_rndne_f32_e32 v22, v28
	v_cndmask_b32_e32 v1, 0, v4, vcc_lo
	v_cvt_i32_f32_e32 v4, v30
	v_cmp_nlt_f32_e32 vcc_lo, 0x42b17218, v3
	v_fmac_f32_e32 v2, 0x32a5705f, v6
	v_sub_f32_e32 v24, v28, v22
	s_delay_alu instid0(VALU_DEP_4) | instskip(SKIP_2) | instid1(VALU_DEP_4)
	v_ldexp_f32 v3, v23, v4
	v_cndmask_b32_e32 v1, 0x7f800000, v1, vcc_lo
	v_mul_f32_e32 v4, 0x3fb8aa3b, v21
	v_add_f32_e32 v2, v24, v2
	v_cmp_ngt_f32_e32 vcc_lo, 0xc2ce8ed0, v5
	s_delay_alu instid0(VALU_DEP_4) | instskip(NEXT) | instid1(VALU_DEP_4)
	v_add_f32_e32 v0, v0, v1
	v_rndne_f32_e32 v23, v4
	s_delay_alu instid0(VALU_DEP_4)
	v_exp_f32_e32 v2, v2
	v_cndmask_b32_e32 v1, 0, v3, vcc_lo
	v_fma_f32 v3, 0x3fb8aa3b, v21, -v4
	v_cmp_nlt_f32_e32 vcc_lo, 0x42b17218, v5
	v_cvt_i32_f32_e32 v5, v22
	v_sub_f32_e32 v4, v4, v23
	v_mul_f32_e32 v22, 0x3fb8aa3b, v20
	v_fmac_f32_e32 v3, 0x32a5705f, v21
	v_cndmask_b32_e32 v1, 0x7f800000, v1, vcc_lo
	v_cmp_ngt_f32_e32 vcc_lo, 0xc2ce8ed0, v6
	s_delay_alu instid0(VALU_DEP_2) | instskip(SKIP_4) | instid1(VALU_DEP_4)
	v_add_f32_e32 v0, v0, v1
	v_ldexp_f32 v1, v2, v5
	v_add_f32_e32 v2, v4, v3
	v_fma_f32 v3, 0x3fb8aa3b, v20, -v22
	v_rndne_f32_e32 v4, v22
	v_cndmask_b32_e32 v1, 0, v1, vcc_lo
	s_delay_alu instid0(VALU_DEP_4) | instskip(NEXT) | instid1(VALU_DEP_3)
	v_exp_f32_e32 v2, v2
	v_fmac_f32_e32 v3, 0x32a5705f, v20
	s_delay_alu instid0(VALU_DEP_3) | instskip(SKIP_3) | instid1(VALU_DEP_4)
	v_sub_f32_e32 v5, v22, v4
	v_cmp_nlt_f32_e32 vcc_lo, 0x42b17218, v6
	v_cvt_i32_f32_e32 v6, v23
	v_cvt_i32_f32_e32 v4, v4
	v_add_f32_e32 v3, v5, v3
	v_cndmask_b32_e32 v1, 0x7f800000, v1, vcc_lo
	v_mul_f32_e32 v5, 0x3fb8aa3b, v19
	v_cmp_ngt_f32_e32 vcc_lo, 0xc2ce8ed0, v21
	s_delay_alu instid0(VALU_DEP_3) | instskip(SKIP_4) | instid1(VALU_DEP_3)
	v_add_f32_e32 v0, v0, v1
	v_ldexp_f32 v1, v2, v6
	v_exp_f32_e32 v2, v3
	v_fma_f32 v3, 0x3fb8aa3b, v19, -v5
	v_rndne_f32_e32 v6, v5
	v_cndmask_b32_e32 v1, 0, v1, vcc_lo
	v_cmp_nlt_f32_e32 vcc_lo, 0x42b17218, v21
	s_delay_alu instid0(VALU_DEP_4) | instskip(NEXT) | instid1(VALU_DEP_4)
	v_fmac_f32_e32 v3, 0x32a5705f, v19
	v_sub_f32_e32 v5, v5, v6
	v_cvt_i32_f32_e32 v6, v6
	v_mul_f32_e32 v21, 0x3fb8aa3b, v15
	v_cndmask_b32_e32 v1, 0x7f800000, v1, vcc_lo
	v_ldexp_f32 v2, v2, v4
	v_add_f32_e32 v3, v5, v3
	v_cmp_ngt_f32_e32 vcc_lo, 0xc2ce8ed0, v20
	v_sub_f32_e32 v5, v17, v13
	s_delay_alu instid0(VALU_DEP_4) | instskip(NEXT) | instid1(VALU_DEP_4)
	v_dual_add_f32 v0, v0, v1 :: v_dual_cndmask_b32 v1, 0, v2
	v_exp_f32_e32 v2, v3
	v_cmp_nlt_f32_e32 vcc_lo, 0x42b17218, v20
	s_delay_alu instid0(VALU_DEP_3) | instskip(NEXT) | instid1(VALU_DEP_3)
	v_mul_f32_e32 v20, 0x3fb8aa3b, v5
	v_cndmask_b32_e32 v1, 0x7f800000, v1, vcc_lo
	v_cmp_ngt_f32_e32 vcc_lo, 0xc2ce8ed0, v19
	s_delay_alu instid0(VALU_DEP_2) | instskip(SKIP_4) | instid1(VALU_DEP_3)
	v_add_f32_e32 v0, v0, v1
	s_waitcnt_depctr 0xfff
	v_ldexp_f32 v1, v2, v6
	v_rndne_f32_e32 v6, v20
	v_sub_f32_e32 v4, v18, v13
	v_cndmask_b32_e32 v1, 0, v1, vcc_lo
	v_cmp_nlt_f32_e32 vcc_lo, 0x42b17218, v19
	s_delay_alu instid0(VALU_DEP_3) | instskip(NEXT) | instid1(VALU_DEP_1)
	v_mul_f32_e32 v3, 0x3fb8aa3b, v4
	v_fma_f32 v17, 0x3fb8aa3b, v4, -v3
	v_rndne_f32_e32 v18, v3
	s_delay_alu instid0(VALU_DEP_1) | instskip(SKIP_2) | instid1(VALU_DEP_3)
	v_dual_fmac_f32 v17, 0x32a5705f, v4 :: v_dual_sub_f32 v2, v3, v18
	v_fma_f32 v3, 0x3fb8aa3b, v5, -v20
	v_cvt_i32_f32_e32 v18, v18
	v_dual_add_f32 v2, v2, v17 :: v_dual_sub_f32 v17, v20, v6
	v_mul_f32_e32 v20, 0x3fb8aa3b, v16
	v_cndmask_b32_e32 v1, 0x7f800000, v1, vcc_lo
	v_cmp_ngt_f32_e32 vcc_lo, 0xc2ce8ed0, v4
	s_delay_alu instid0(VALU_DEP_4) | instskip(NEXT) | instid1(VALU_DEP_3)
	v_exp_f32_e32 v2, v2
	v_rndne_f32_e32 v19, v20
	v_fmac_f32_e32 v3, 0x32a5705f, v5
	s_delay_alu instid0(VALU_DEP_1) | instskip(SKIP_1) | instid1(VALU_DEP_4)
	v_add_f32_e32 v3, v17, v3
	v_fma_f32 v17, 0x3fb8aa3b, v16, -v20
	v_sub_f32_e32 v20, v20, v19
	s_delay_alu instid0(VALU_DEP_3) | instskip(NEXT) | instid1(VALU_DEP_2)
	v_exp_f32_e32 v3, v3
	v_dual_fmac_f32 v17, 0x32a5705f, v16 :: v_dual_add_f32 v0, v0, v1
	s_delay_alu instid0(TRANS32_DEP_2) | instskip(SKIP_2) | instid1(VALU_DEP_4)
	v_ldexp_f32 v1, v2, v18
	v_cvt_i32_f32_e32 v2, v6
	v_rndne_f32_e32 v18, v21
	v_add_f32_e32 v6, v20, v17
	s_delay_alu instid0(VALU_DEP_4) | instskip(SKIP_1) | instid1(TRANS32_DEP_1)
	v_cndmask_b32_e32 v1, 0, v1, vcc_lo
	v_cmp_nlt_f32_e32 vcc_lo, 0x42b17218, v4
	v_ldexp_f32 v2, v3, v2
	s_delay_alu instid0(VALU_DEP_4) | instskip(SKIP_4) | instid1(VALU_DEP_2)
	v_exp_f32_e32 v3, v6
	v_sub_f32_e32 v6, v21, v18
	v_cvt_i32_f32_e32 v4, v19
	v_cndmask_b32_e32 v1, 0x7f800000, v1, vcc_lo
	v_cmp_ngt_f32_e32 vcc_lo, 0xc2ce8ed0, v5
	v_add_f32_e32 v0, v0, v1
	v_cndmask_b32_e32 v2, 0, v2, vcc_lo
	v_fma_f32 v17, 0x3fb8aa3b, v15, -v21
	v_cmp_nlt_f32_e32 vcc_lo, 0x42b17218, v5
	s_delay_alu instid0(TRANS32_DEP_1)
	v_ldexp_f32 v1, v3, v4
	v_sub_f32_e32 v4, v14, v13
	v_mul_f32_e32 v14, 0x3fb8aa3b, v11
	v_fmac_f32_e32 v17, 0x32a5705f, v15
	v_cndmask_b32_e32 v2, 0x7f800000, v2, vcc_lo
	v_cmp_ngt_f32_e32 vcc_lo, 0xc2ce8ed0, v16
	s_delay_alu instid0(VALU_DEP_3) | instskip(NEXT) | instid1(VALU_DEP_3)
	v_dual_mul_f32 v5, 0x3fb8aa3b, v4 :: v_dual_add_f32 v6, v6, v17
	v_add_f32_e32 v0, v0, v2
	v_cvt_i32_f32_e32 v2, v18
	s_delay_alu instid0(VALU_DEP_3) | instskip(SKIP_2) | instid1(VALU_DEP_2)
	v_exp_f32_e32 v3, v6
	v_sub_f32_e32 v6, v12, v13
	v_fma_f32 v13, 0x3fb8aa3b, v11, -v14
	v_mul_f32_e32 v12, 0x3fb8aa3b, v6
	s_delay_alu instid0(VALU_DEP_2)
	v_fmac_f32_e32 v13, 0x32a5705f, v11
	s_waitcnt_depctr 0xfff
	v_ldexp_f32 v2, v3, v2
	v_cndmask_b32_e32 v1, 0, v1, vcc_lo
	v_cmp_nlt_f32_e32 vcc_lo, 0x42b17218, v16
	v_rndne_f32_e32 v3, v5
	s_delay_alu instid0(VALU_DEP_3) | instskip(SKIP_1) | instid1(VALU_DEP_2)
	v_cndmask_b32_e32 v1, 0x7f800000, v1, vcc_lo
	v_cmp_ngt_f32_e32 vcc_lo, 0xc2ce8ed0, v15
	v_add_f32_e32 v0, v0, v1
	v_fma_f32 v1, 0x3fb8aa3b, v4, -v5
	v_dual_cndmask_b32 v2, 0, v2 :: v_dual_sub_f32 v5, v5, v3
	v_cmp_nlt_f32_e32 vcc_lo, 0x42b17218, v15
	v_cvt_i32_f32_e32 v3, v3
	s_delay_alu instid0(VALU_DEP_4) | instskip(SKIP_3) | instid1(VALU_DEP_4)
	v_fmac_f32_e32 v1, 0x32a5705f, v4
	v_rndne_f32_e32 v15, v14
	v_cndmask_b32_e32 v2, 0x7f800000, v2, vcc_lo
	v_cmp_ngt_f32_e32 vcc_lo, 0xc2ce8ed0, v4
	v_add_f32_e32 v1, v5, v1
	v_rndne_f32_e32 v5, v12
	s_delay_alu instid0(VALU_DEP_4) | instskip(SKIP_1) | instid1(VALU_DEP_4)
	v_add_f32_e32 v0, v0, v2
	v_fma_f32 v2, 0x3fb8aa3b, v6, -v12
	v_exp_f32_e32 v1, v1
	s_delay_alu instid0(VALU_DEP_3) | instskip(SKIP_3) | instid1(VALU_DEP_1)
	v_sub_f32_e32 v12, v12, v5
	v_cvt_i32_f32_e32 v5, v5
	s_waitcnt_depctr 0xfff
	v_ldexp_f32 v1, v1, v3
	v_dual_fmac_f32 v2, 0x32a5705f, v6 :: v_dual_cndmask_b32 v1, 0, v1
	s_delay_alu instid0(VALU_DEP_1) | instskip(SKIP_3) | instid1(VALU_DEP_4)
	v_add_f32_e32 v2, v12, v2
	v_cmp_nlt_f32_e32 vcc_lo, 0x42b17218, v4
	v_sub_f32_e32 v12, v14, v15
	v_cvt_i32_f32_e32 v4, v15
	v_exp_f32_e32 v2, v2
	v_cndmask_b32_e32 v1, 0x7f800000, v1, vcc_lo
	s_delay_alu instid0(VALU_DEP_3) | instskip(SKIP_1) | instid1(VALU_DEP_3)
	v_add_f32_e32 v3, v12, v13
	v_cmp_ngt_f32_e32 vcc_lo, 0xc2ce8ed0, v6
	v_add_f32_e32 v0, v0, v1
	s_delay_alu instid0(VALU_DEP_3) | instskip(SKIP_2) | instid1(VALU_DEP_1)
	v_exp_f32_e32 v3, v3
	s_waitcnt_depctr 0xfff
	v_ldexp_f32 v2, v2, v5
	v_cndmask_b32_e32 v2, 0, v2, vcc_lo
	v_cmp_nlt_f32_e32 vcc_lo, 0x42b17218, v6
	v_ldexp_f32 v1, v3, v4
	s_delay_alu instid0(VALU_DEP_3) | instskip(SKIP_2) | instid1(VALU_DEP_3)
	v_cndmask_b32_e32 v2, 0x7f800000, v2, vcc_lo
	v_cmp_ngt_f32_e32 vcc_lo, 0xc2ce8ed0, v11
	v_mul_f32_e32 v16, 0x3fb8aa3b, v7
	v_dual_add_f32 v0, v0, v2 :: v_dual_cndmask_b32 v1, 0, v1
	s_delay_alu instid0(VALU_DEP_2) | instskip(SKIP_2) | instid1(VALU_DEP_3)
	v_fma_f32 v14, 0x3fb8aa3b, v7, -v16
	v_rndne_f32_e32 v17, v16
	v_cmp_nlt_f32_e32 vcc_lo, 0x42b17218, v11
	v_fmac_f32_e32 v14, 0x32a5705f, v7
	s_delay_alu instid0(VALU_DEP_3) | instskip(SKIP_3) | instid1(VALU_DEP_4)
	v_sub_f32_e32 v12, v16, v17
	v_cndmask_b32_e32 v1, 0x7f800000, v1, vcc_lo
	v_cvt_i32_f32_e32 v3, v17
	v_cmp_ngt_f32_e32 vcc_lo, 0xc2ce8ed0, v7
	v_add_f32_e32 v12, v12, v14
	s_delay_alu instid0(VALU_DEP_4) | instskip(NEXT) | instid1(VALU_DEP_2)
	v_add_f32_e32 v0, v0, v1
	v_exp_f32_e32 v5, v12
	s_waitcnt_depctr 0xfff
	v_ldexp_f32 v3, v5, v3
	s_delay_alu instid0(VALU_DEP_1) | instskip(SKIP_1) | instid1(VALU_DEP_2)
	v_cndmask_b32_e32 v2, 0, v3, vcc_lo
	v_cmp_nlt_f32_e32 vcc_lo, 0x42b17218, v7
	v_cndmask_b32_e32 v1, 0x7f800000, v2, vcc_lo
	v_cmp_eq_u32_e32 vcc_lo, 0, v9
	s_delay_alu instid0(VALU_DEP_2) | instskip(NEXT) | instid1(VALU_DEP_1)
	v_add_f32_e32 v0, v0, v1
	v_mov_b32_dpp v1, v0 quad_perm:[1,0,3,2] row_mask:0xf bank_mask:0xf
	s_delay_alu instid0(VALU_DEP_1) | instskip(NEXT) | instid1(VALU_DEP_1)
	v_add_f32_e32 v0, v0, v1
	v_mov_b32_dpp v1, v0 quad_perm:[2,3,0,1] row_mask:0xf bank_mask:0xf
	s_and_b32 exec_lo, exec_lo, vcc_lo
	s_cbranch_execz .LBB171_23
; %bb.19:
	s_delay_alu instid0(VALU_DEP_1) | instskip(NEXT) | instid1(VALU_DEP_1)
	v_add_f32_e32 v0, v0, v1
	v_add_f32_e32 v0, v10, v0
	s_delay_alu instid0(VALU_DEP_1)
	v_cmp_neq_f32_e32 vcc_lo, 0, v0
	s_and_b32 exec_lo, exec_lo, vcc_lo
	s_cbranch_execz .LBB171_23
; %bb.20:
	s_and_not1_b32 vcc_lo, exec_lo, s3
	s_cbranch_vccnz .LBB171_23
; %bb.21:
	v_div_scale_f32 v2, null, v0, v0, 1.0
	v_div_scale_f32 v4, vcc_lo, 1.0, v0, 1.0
	s_delay_alu instid0(VALU_DEP_2) | instskip(SKIP_2) | instid1(VALU_DEP_1)
	v_rcp_f32_e32 v3, v2
	s_waitcnt_depctr 0xfff
	v_fma_f32 v1, -v2, v3, 1.0
	v_fmac_f32_e32 v3, v1, v3
	v_mul_lo_u32 v1, v8, s7
	s_delay_alu instid0(VALU_DEP_2) | instskip(NEXT) | instid1(VALU_DEP_1)
	v_mul_f32_e32 v5, v4, v3
	v_fma_f32 v6, -v2, v5, v4
	s_delay_alu instid0(VALU_DEP_1) | instskip(NEXT) | instid1(VALU_DEP_1)
	v_fmac_f32_e32 v5, v6, v3
	v_fma_f32 v4, -v2, v5, v4
	v_ashrrev_i32_e32 v2, 31, v1
	s_delay_alu instid0(VALU_DEP_2) | instskip(NEXT) | instid1(VALU_DEP_2)
	v_div_fmas_f32 v5, v4, v3, v5
	v_lshlrev_b64 v[3:4], 2, v[1:2]
	s_delay_alu instid0(VALU_DEP_2) | instskip(NEXT) | instid1(VALU_DEP_2)
	v_div_fixup_f32 v2, v5, v0, 1.0
	v_add_co_u32 v0, vcc_lo, s12, v3
	s_delay_alu instid0(VALU_DEP_3)
	v_add_co_ci_u32_e32 v1, vcc_lo, s13, v4, vcc_lo
.LBB171_22:                             ; =>This Inner Loop Header: Depth=1
	global_load_b32 v3, v[0:1], off
	s_add_i32 s4, s4, -1
	s_delay_alu instid0(SALU_CYCLE_1)
	s_cmp_lg_u32 s4, 0
	s_waitcnt vmcnt(0)
	v_mul_f32_e32 v3, v2, v3
	global_store_b32 v[0:1], v3, off
	v_add_co_u32 v0, vcc_lo, v0, 4
	v_add_co_ci_u32_e32 v1, vcc_lo, 0, v1, vcc_lo
	s_cbranch_scc1 .LBB171_22
.LBB171_23:
	s_nop 0
	s_sendmsg sendmsg(MSG_DEALLOC_VGPRS)
	s_endpgm
	.section	.rodata,"a",@progbits
	.p2align	6, 0x0
	.amdhsa_kernel _ZN4vllm3moe17topkGatingSoftmaxIDF16_Li16ELi64ELi8ELi32ELb0ELi2ELNS0_23SharedExpertScoringFuncE1EEEvPKT_PKbPfiPiS9_iiiiii
		.amdhsa_group_segment_fixed_size 0
		.amdhsa_private_segment_fixed_size 0
		.amdhsa_kernarg_size 72
		.amdhsa_user_sgpr_count 15
		.amdhsa_user_sgpr_dispatch_ptr 0
		.amdhsa_user_sgpr_queue_ptr 0
		.amdhsa_user_sgpr_kernarg_segment_ptr 1
		.amdhsa_user_sgpr_dispatch_id 0
		.amdhsa_user_sgpr_private_segment_size 0
		.amdhsa_wavefront_size32 1
		.amdhsa_uses_dynamic_stack 0
		.amdhsa_enable_private_segment 0
		.amdhsa_system_sgpr_workgroup_id_x 1
		.amdhsa_system_sgpr_workgroup_id_y 0
		.amdhsa_system_sgpr_workgroup_id_z 0
		.amdhsa_system_sgpr_workgroup_info 0
		.amdhsa_system_vgpr_workitem_id 1
		.amdhsa_next_free_vgpr 53
		.amdhsa_next_free_sgpr 19
		.amdhsa_reserve_vcc 1
		.amdhsa_float_round_mode_32 0
		.amdhsa_float_round_mode_16_64 0
		.amdhsa_float_denorm_mode_32 3
		.amdhsa_float_denorm_mode_16_64 3
		.amdhsa_dx10_clamp 1
		.amdhsa_ieee_mode 1
		.amdhsa_fp16_overflow 0
		.amdhsa_workgroup_processor_mode 1
		.amdhsa_memory_ordered 1
		.amdhsa_forward_progress 0
		.amdhsa_shared_vgpr_count 0
		.amdhsa_exception_fp_ieee_invalid_op 0
		.amdhsa_exception_fp_denorm_src 0
		.amdhsa_exception_fp_ieee_div_zero 0
		.amdhsa_exception_fp_ieee_overflow 0
		.amdhsa_exception_fp_ieee_underflow 0
		.amdhsa_exception_fp_ieee_inexact 0
		.amdhsa_exception_int_div_zero 0
	.end_amdhsa_kernel
	.section	.text._ZN4vllm3moe17topkGatingSoftmaxIDF16_Li16ELi64ELi8ELi32ELb0ELi2ELNS0_23SharedExpertScoringFuncE1EEEvPKT_PKbPfiPiS9_iiiiii,"axG",@progbits,_ZN4vllm3moe17topkGatingSoftmaxIDF16_Li16ELi64ELi8ELi32ELb0ELi2ELNS0_23SharedExpertScoringFuncE1EEEvPKT_PKbPfiPiS9_iiiiii,comdat
.Lfunc_end171:
	.size	_ZN4vllm3moe17topkGatingSoftmaxIDF16_Li16ELi64ELi8ELi32ELb0ELi2ELNS0_23SharedExpertScoringFuncE1EEEvPKT_PKbPfiPiS9_iiiiii, .Lfunc_end171-_ZN4vllm3moe17topkGatingSoftmaxIDF16_Li16ELi64ELi8ELi32ELb0ELi2ELNS0_23SharedExpertScoringFuncE1EEEvPKT_PKbPfiPiS9_iiiiii
                                        ; -- End function
	.section	.AMDGPU.csdata,"",@progbits
; Kernel info:
; codeLenInByte = 5344
; NumSgprs: 21
; NumVgprs: 53
; ScratchSize: 0
; MemoryBound: 0
; FloatMode: 240
; IeeeMode: 1
; LDSByteSize: 0 bytes/workgroup (compile time only)
; SGPRBlocks: 2
; VGPRBlocks: 6
; NumSGPRsForWavesPerEU: 21
; NumVGPRsForWavesPerEU: 53
; Occupancy: 16
; WaveLimiterHint : 0
; COMPUTE_PGM_RSRC2:SCRATCH_EN: 0
; COMPUTE_PGM_RSRC2:USER_SGPR: 15
; COMPUTE_PGM_RSRC2:TRAP_HANDLER: 0
; COMPUTE_PGM_RSRC2:TGID_X_EN: 1
; COMPUTE_PGM_RSRC2:TGID_Y_EN: 0
; COMPUTE_PGM_RSRC2:TGID_Z_EN: 0
; COMPUTE_PGM_RSRC2:TIDIG_COMP_CNT: 1
	.section	.text._ZN4vllm3moe17topkGatingSoftmaxIDF16_Li16ELi64ELi8ELi32ELb1ELi4ELNS0_23SharedExpertScoringFuncE1EEEvPKT_PKbPfiPiS9_iiiiii,"axG",@progbits,_ZN4vllm3moe17topkGatingSoftmaxIDF16_Li16ELi64ELi8ELi32ELb1ELi4ELNS0_23SharedExpertScoringFuncE1EEEvPKT_PKbPfiPiS9_iiiiii,comdat
	.protected	_ZN4vllm3moe17topkGatingSoftmaxIDF16_Li16ELi64ELi8ELi32ELb1ELi4ELNS0_23SharedExpertScoringFuncE1EEEvPKT_PKbPfiPiS9_iiiiii ; -- Begin function _ZN4vllm3moe17topkGatingSoftmaxIDF16_Li16ELi64ELi8ELi32ELb1ELi4ELNS0_23SharedExpertScoringFuncE1EEEvPKT_PKbPfiPiS9_iiiiii
	.globl	_ZN4vllm3moe17topkGatingSoftmaxIDF16_Li16ELi64ELi8ELi32ELb1ELi4ELNS0_23SharedExpertScoringFuncE1EEEvPKT_PKbPfiPiS9_iiiiii
	.p2align	8
	.type	_ZN4vllm3moe17topkGatingSoftmaxIDF16_Li16ELi64ELi8ELi32ELb1ELi4ELNS0_23SharedExpertScoringFuncE1EEEvPKT_PKbPfiPiS9_iiiiii,@function
_ZN4vllm3moe17topkGatingSoftmaxIDF16_Li16ELi64ELi8ELi32ELb1ELi4ELNS0_23SharedExpertScoringFuncE1EEEvPKT_PKbPfiPiS9_iiiiii: ; @_ZN4vllm3moe17topkGatingSoftmaxIDF16_Li16ELi64ELi8ELi32ELb1ELi4ELNS0_23SharedExpertScoringFuncE1EEEvPKT_PKbPfiPiS9_iiiiii
; %bb.0:
	s_load_b32 s16, s[0:1], 0x18
	v_bfe_u32 v1, v0, 10, 10
	v_and_b32_e32 v0, 0x3ff, v0
	s_lshl_b32 s18, s15, 6
	s_mov_b32 s2, exec_lo
	s_delay_alu instid0(VALU_DEP_2) | instskip(NEXT) | instid1(VALU_DEP_2)
	v_lshlrev_b32_e32 v6, 3, v1
	v_lshrrev_b32_e32 v40, 2, v0
	s_delay_alu instid0(VALU_DEP_1) | instskip(SKIP_1) | instid1(VALU_DEP_1)
	v_add3_u32 v43, s18, v6, v40
	s_waitcnt lgkmcnt(0)
	v_cmpx_gt_i32_e64 s16, v43
	s_cbranch_execz .LBB172_20
; %bb.1:
	s_clause 0x1
	s_load_b128 s[4:7], s[0:1], 0x0
	s_load_b64 s[12:13], s[0:1], 0x10
	s_waitcnt lgkmcnt(0)
	s_cmp_eq_u64 s[6:7], 0
	s_cbranch_scc1 .LBB172_3
; %bb.2:
	v_ashrrev_i32_e32 v2, 31, v43
	v_add_co_u32 v1, vcc_lo, s6, v43
	s_delay_alu instid0(VALU_DEP_2) | instskip(SKIP_3) | instid1(VALU_DEP_1)
	v_add_co_ci_u32_e32 v2, vcc_lo, s7, v2, vcc_lo
	global_load_u8 v1, v[1:2], off
	s_waitcnt vmcnt(0)
	v_and_b32_e32 v1, 1, v1
	v_cmp_eq_u32_e32 vcc_lo, 1, v1
	s_xor_b32 s2, vcc_lo, -1
	s_delay_alu instid0(SALU_CYCLE_1)
	s_or_not1_b32 s17, s2, exec_lo
	s_branch .LBB172_4
.LBB172_3:
	s_mov_b32 s17, -1
.LBB172_4:
	s_clause 0x1
	s_load_b64 s[14:15], s[0:1], 0x40
	s_load_b128 s[8:11], s[0:1], 0x30
	v_and_b32_e32 v7, 3, v0
	s_mov_b32 s2, 0x3fb8aa3b
	s_mov_b32 s3, 0x32a5705f
	v_mov_b32_e32 v41, 0
	s_waitcnt lgkmcnt(0)
	v_mul_lo_u32 v1, v43, s15
	s_delay_alu instid0(VALU_DEP_1) | instskip(NEXT) | instid1(VALU_DEP_1)
	v_ashrrev_i32_e32 v2, 31, v1
	v_lshlrev_b64 v[0:1], 1, v[1:2]
	v_lshlrev_b32_e32 v2, 5, v7
	s_delay_alu instid0(VALU_DEP_2) | instskip(NEXT) | instid1(VALU_DEP_3)
	v_add_co_u32 v8, vcc_lo, s4, v0
	v_add_co_ci_u32_e32 v9, vcc_lo, s5, v1, vcc_lo
	s_delay_alu instid0(VALU_DEP_2) | instskip(NEXT) | instid1(VALU_DEP_2)
	v_add_co_u32 v4, vcc_lo, v8, v2
	v_add_co_ci_u32_e32 v5, vcc_lo, 0, v9, vcc_lo
	global_load_b128 v[0:3], v[4:5], off
	s_waitcnt vmcnt(0)
	v_cvt_f32_f16_e32 v12, v1
	v_lshrrev_b32_e32 v1, 16, v1
	v_cvt_f32_f16_e32 v16, v2
	v_lshrrev_b32_e32 v2, 16, v2
	v_cvt_f32_f16_e32 v20, v3
	s_delay_alu instid0(VALU_DEP_4) | instskip(SKIP_1) | instid1(VALU_DEP_4)
	v_cvt_f32_f16_e32 v14, v1
	v_lshlrev_b32_e32 v10, 1, v7
	v_cvt_f32_f16_e32 v18, v2
	v_lshrrev_b32_e32 v2, 16, v3
	s_delay_alu instid0(VALU_DEP_3)
	v_add_co_u32 v8, vcc_lo, v8, v10
	v_add_co_ci_u32_e32 v9, vcc_lo, 0, v9, vcc_lo
	s_clause 0x1
	global_load_u16 v27, v[8:9], off offset:128
	global_load_b128 v[34:37], v[4:5], off offset:16
	v_lshrrev_b32_e32 v4, 16, v0
	v_lshlrev_b32_e32 v8, 4, v7
	v_cvt_f32_f16_e32 v10, v0
	v_cvt_f32_f16_e32 v22, v2
	s_delay_alu instid0(VALU_DEP_4)
	v_cvt_f32_f16_e32 v11, v4
	v_cmp_lt_f16_e32 vcc_lo, v0, v4
	v_or_b32_e32 v9, 1, v8
	v_or_b32_e32 v13, 2, v8
	v_or_b32_e32 v15, 3, v8
	v_cndmask_b32_e32 v4, v10, v11, vcc_lo
	s_delay_alu instid0(VALU_DEP_4) | instskip(NEXT) | instid1(VALU_DEP_2)
	v_cndmask_b32_e32 v0, v8, v9, vcc_lo
	v_cmp_lt_f32_e32 vcc_lo, v4, v12
	v_cndmask_b32_e32 v1, v4, v12, vcc_lo
	s_delay_alu instid0(VALU_DEP_3) | instskip(NEXT) | instid1(VALU_DEP_2)
	v_cndmask_b32_e32 v0, v0, v13, vcc_lo
	v_cmp_lt_f32_e32 vcc_lo, v1, v14
	s_delay_alu instid0(VALU_DEP_2) | instskip(NEXT) | instid1(VALU_DEP_1)
	v_dual_cndmask_b32 v1, v1, v14 :: v_dual_cndmask_b32 v0, v0, v15
	v_cmp_lt_f32_e32 vcc_lo, v1, v16
	v_cndmask_b32_e32 v1, v1, v16, vcc_lo
	v_or_b32_e32 v17, 4, v8
	v_or_b32_e32 v19, 5, v8
	;; [unrolled: 1-line block ×9, first 2 shown]
	s_waitcnt vmcnt(1)
	v_cvt_f32_f16_e64 v2, -v27
	s_waitcnt vmcnt(0)
	v_cvt_f32_f16_e32 v24, v34
	v_cndmask_b32_e32 v0, v0, v17, vcc_lo
	v_cmp_lt_f32_e32 vcc_lo, v1, v18
	v_lshrrev_b32_e32 v3, 16, v34
	v_cvt_f32_f16_e32 v32, v36
	v_mul_f32_e32 v4, 0x3fb8aa3b, v2
	v_cvt_f32_f16_e32 v28, v35
	v_cndmask_b32_e32 v1, v1, v18, vcc_lo
	v_cvt_f32_f16_e32 v26, v3
	v_cndmask_b32_e32 v0, v0, v19, vcc_lo
	v_fma_mix_f32 v3, -v27, s2, -v4 op_sel_hi:[1,0,0]
	v_rndne_f32_e32 v5, v4
	v_cmp_lt_f32_e32 vcc_lo, v1, v20
	v_cmp_ngt_f32_e64 s2, 0xc2ce8ed0, v2
	s_delay_alu instid0(VALU_DEP_4) | instskip(NEXT) | instid1(VALU_DEP_4)
	v_fma_mix_f32 v3, -v27, s3, v3 op_sel_hi:[1,0,0]
	v_dual_sub_f32 v4, v4, v5 :: v_dual_cndmask_b32 v1, v1, v20
	v_cndmask_b32_e32 v0, v0, v21, vcc_lo
	v_or_b32_e32 v27, 9, v8
	s_delay_alu instid0(VALU_DEP_3) | instskip(NEXT) | instid1(VALU_DEP_4)
	v_add_f32_e32 v3, v4, v3
	v_cmp_lt_f32_e32 vcc_lo, v1, v22
	v_lshrrev_b32_e32 v4, 16, v35
	v_or_b32_e32 v35, 13, v8
	s_delay_alu instid0(VALU_DEP_4) | instskip(SKIP_1) | instid1(VALU_DEP_3)
	v_exp_f32_e32 v3, v3
	v_cndmask_b32_e32 v1, v1, v22, vcc_lo
	v_cvt_f32_f16_e32 v30, v4
	v_cndmask_b32_e32 v0, v0, v23, vcc_lo
	v_cvt_i32_f32_e32 v4, v5
	s_delay_alu instid0(VALU_DEP_4)
	v_cmp_lt_f32_e32 vcc_lo, v1, v24
	s_waitcnt_depctr 0xfff
	v_ldexp_f32 v3, v3, v4
	v_cndmask_b32_e32 v1, v1, v24, vcc_lo
	v_lshrrev_b32_e32 v4, 16, v36
	v_cvt_f32_f16_e32 v36, v37
	s_delay_alu instid0(VALU_DEP_4) | instskip(NEXT) | instid1(VALU_DEP_3)
	v_cndmask_b32_e64 v3, 0, v3, s2
	v_cvt_f32_f16_e32 v34, v4
	v_cndmask_b32_e32 v0, v0, v25, vcc_lo
	v_cmp_lt_f32_e32 vcc_lo, v1, v26
	s_delay_alu instid0(VALU_DEP_2) | instskip(NEXT) | instid1(VALU_DEP_1)
	v_dual_cndmask_b32 v1, v1, v26 :: v_dual_cndmask_b32 v0, v0, v27
	v_cmp_lt_f32_e32 vcc_lo, v1, v28
	s_delay_alu instid0(VALU_DEP_2) | instskip(NEXT) | instid1(VALU_DEP_1)
	v_dual_cndmask_b32 v1, v1, v28 :: v_dual_cndmask_b32 v0, v0, v29
	v_cmp_lt_f32_e32 vcc_lo, v1, v30
	s_delay_alu instid0(VALU_DEP_2) | instskip(SKIP_2) | instid1(VALU_DEP_3)
	v_dual_cndmask_b32 v0, v0, v31 :: v_dual_cndmask_b32 v1, v1, v30
	v_cmp_nlt_f32_e32 vcc_lo, 0x42b17218, v2
	v_cndmask_b32_e32 v2, 0x7f800000, v3, vcc_lo
	v_cmp_lt_f32_e32 vcc_lo, v1, v32
	s_delay_alu instid0(VALU_DEP_2) | instskip(SKIP_3) | instid1(VALU_DEP_4)
	v_dual_add_f32 v42, 1.0, v2 :: v_dual_cndmask_b32 v1, v1, v32
	v_cndmask_b32_e32 v0, v0, v33, vcc_lo
	v_lshrrev_b32_e32 v2, 16, v37
	v_or_b32_e32 v37, 14, v8
	v_div_scale_f32 v3, null, v42, v42, 1.0
	v_cmp_lt_f32_e32 vcc_lo, v1, v34
	s_delay_alu instid0(VALU_DEP_4) | instskip(NEXT) | instid1(VALU_DEP_3)
	v_cvt_f32_f16_e32 v39, v2
	v_rcp_f32_e32 v44, v3
	v_dual_cndmask_b32 v1, v1, v34 :: v_dual_cndmask_b32 v0, v0, v35
	s_delay_alu instid0(VALU_DEP_1)
	v_cmp_lt_f32_e32 vcc_lo, v1, v36
	s_waitcnt_depctr 0xfff
	v_fma_f32 v2, -v3, v44, 1.0
	v_dual_cndmask_b32 v1, v1, v36 :: v_dual_cndmask_b32 v4, v0, v37
	v_div_scale_f32 v45, vcc_lo, 1.0, v42, 1.0
	v_mul_lo_u32 v0, v43, s11
	s_delay_alu instid0(VALU_DEP_3) | instskip(NEXT) | instid1(VALU_DEP_1)
	v_cmp_lt_f32_e64 s2, v1, v39
	v_cndmask_b32_e64 v48, v1, v39, s2
	v_cndmask_b32_e64 v47, v4, v38, s2
	s_delay_alu instid0(VALU_DEP_4) | instskip(NEXT) | instid1(VALU_DEP_3)
	v_add3_u32 v1, v0, s8, v7
	v_mov_b32_dpp v50, v48 quad_perm:[1,0,3,2] row_mask:0xf bank_mask:0xf
	v_fmac_f32_e32 v44, v2, v44
	s_delay_alu instid0(VALU_DEP_4) | instskip(NEXT) | instid1(VALU_DEP_4)
	v_mov_b32_dpp v49, v47 quad_perm:[1,0,3,2] row_mask:0xf bank_mask:0xf
	v_ashrrev_i32_e32 v2, 31, v1
	s_delay_alu instid0(VALU_DEP_4) | instskip(NEXT) | instid1(VALU_DEP_4)
	v_cmp_eq_f32_e64 s3, v48, v50
	v_mul_f32_e32 v46, v45, v44
	s_delay_alu instid0(VALU_DEP_4) | instskip(SKIP_1) | instid1(VALU_DEP_3)
	v_cmp_lt_i32_e64 s2, v49, v47
	v_cmp_lt_f32_e64 s4, v48, v50
	v_fma_f32 v4, -v3, v46, v45
	s_delay_alu instid0(VALU_DEP_3) | instskip(NEXT) | instid1(VALU_DEP_1)
	s_and_b32 s2, s3, s2
	v_fmac_f32_e32 v46, v4, v44
	v_lshlrev_b64 v[4:5], 2, v[1:2]
	s_delay_alu instid0(VALU_DEP_2) | instskip(NEXT) | instid1(VALU_DEP_1)
	v_fma_f32 v1, -v3, v46, v45
	v_div_fmas_f32 v2, v1, v44, v46
	s_or_b32 vcc_lo, s4, s2
	s_cmp_gt_i32 s8, 0
	v_cndmask_b32_e32 v1, v48, v50, vcc_lo
	v_cndmask_b32_e32 v3, v47, v49, vcc_lo
	v_add_co_u32 v44, vcc_lo, s12, v4
	v_add_co_ci_u32_e32 v45, vcc_lo, s13, v5, vcc_lo
	v_div_fixup_f32 v2, v2, v42, 1.0
	v_mov_b32_dpp v5, v1 quad_perm:[2,3,0,1] row_mask:0xf bank_mask:0xf
	v_mov_b32_dpp v42, v3 quad_perm:[2,3,0,1] row_mask:0xf bank_mask:0xf
	v_cmp_eq_u32_e32 vcc_lo, 0, v7
	s_cselect_b32 s3, -1, 0
	s_cmp_lt_i32 s8, 1
	global_store_b32 v[44:45], v2, off
	s_cbranch_scc1 .LBB172_16
; %bb.5:
	s_load_b128 s[4:7], s[0:1], 0x20
	v_cmp_eq_f32_e64 s0, v1, v5
	v_cmp_lt_i32_e64 s1, v42, v3
	v_cmp_lt_f32_e64 s2, v1, v5
	v_mul_lo_u32 v2, v43, s14
	v_mul_lo_u32 v4, v43, s8
	v_mov_b32_e32 v41, 0
	s_and_b32 s0, s0, s1
	s_delay_alu instid0(SALU_CYCLE_1) | instskip(NEXT) | instid1(SALU_CYCLE_1)
	s_or_b32 s0, s2, s0
	v_cndmask_b32_e64 v44, v3, v42, s0
	v_cndmask_b32_e64 v42, v1, v5, s0
	s_and_saveexec_b32 s2, vcc_lo
	s_cbranch_execz .LBB172_7
; %bb.6:
	s_delay_alu instid0(VALU_DEP_1)
	v_sub_f32_e32 v41, v42, v42
	v_cmp_le_i32_e64 s0, s9, v44
	v_cmp_gt_i32_e64 s1, s10, v44
	v_subrev_nc_u32_e32 v51, s9, v44
	v_ashrrev_i32_e32 v5, 31, v4
	v_mul_f32_e32 v1, 0x3fb8aa3b, v41
	s_delay_alu instid0(VALU_DEP_4) | instskip(NEXT) | instid1(SALU_CYCLE_1)
	s_and_b32 s0, s0, s1
	s_and_b32 s0, s17, s0
	s_delay_alu instid0(VALU_DEP_1) | instskip(SKIP_2) | instid1(VALU_DEP_3)
	v_rndne_f32_e32 v47, v1
	v_fma_f32 v3, 0x3fb8aa3b, v41, -v1
	v_lshlrev_b64 v[49:50], 2, v[4:5]
	v_sub_f32_e32 v1, v1, v47
	s_delay_alu instid0(VALU_DEP_3) | instskip(NEXT) | instid1(VALU_DEP_1)
	v_fmamk_f32 v3, v41, 0x32a5705f, v3
	v_add_f32_e32 v3, v1, v3
	v_ashrrev_i32_e32 v1, 31, v0
	s_delay_alu instid0(VALU_DEP_2) | instskip(NEXT) | instid1(VALU_DEP_1)
	v_exp_f32_e32 v52, v3
	v_lshlrev_b64 v[45:46], 2, v[0:1]
	v_ashrrev_i32_e32 v3, 31, v2
	v_cvt_i32_f32_e32 v1, v47
	s_delay_alu instid0(VALU_DEP_2) | instskip(SKIP_2) | instid1(VALU_DEP_1)
	v_lshlrev_b64 v[47:48], 2, v[2:3]
	v_cndmask_b32_e64 v3, 64, v51, s0
	v_add_co_u32 v45, s0, s12, v45
	v_add_co_ci_u32_e64 v46, s0, s13, v46, s0
	s_delay_alu instid0(TRANS32_DEP_1) | instskip(SKIP_1) | instid1(VALU_DEP_1)
	v_ldexp_f32 v1, v52, v1
	v_cmp_ngt_f32_e64 s0, 0xc2ce8ed0, v41
	v_cndmask_b32_e64 v1, 0, v1, s0
	s_waitcnt lgkmcnt(0)
	v_add_co_u32 v47, s0, s4, v47
	s_delay_alu instid0(VALU_DEP_1) | instskip(SKIP_1) | instid1(VALU_DEP_1)
	v_add_co_ci_u32_e64 v48, s0, s5, v48, s0
	v_cmp_nlt_f32_e64 s0, 0x42b17218, v41
	v_cndmask_b32_e64 v41, 0x7f800000, v1, s0
	v_add_co_u32 v49, s0, s6, v49
	s_delay_alu instid0(VALU_DEP_1)
	v_add_co_ci_u32_e64 v50, s0, s7, v50, s0
	global_store_b32 v[47:48], v3, off
	global_store_b32 v[45:46], v41, off
	;; [unrolled: 1-line block ×3, first 2 shown]
.LBB172_7:
	s_or_b32 exec_lo, exec_lo, s2
	v_ashrrev_i32_e32 v3, 31, v44
	s_mov_b32 s1, exec_lo
	s_delay_alu instid0(VALU_DEP_1) | instskip(NEXT) | instid1(VALU_DEP_1)
	v_lshrrev_b32_e32 v1, 28, v3
	v_add_nc_u32_e32 v1, v44, v1
	s_delay_alu instid0(VALU_DEP_1) | instskip(NEXT) | instid1(VALU_DEP_1)
	v_ashrrev_i32_e32 v1, 4, v1
	v_lshrrev_b32_e32 v5, 30, v1
	s_delay_alu instid0(VALU_DEP_1) | instskip(NEXT) | instid1(VALU_DEP_1)
	v_add_nc_u32_e32 v5, v1, v5
	v_and_b32_e32 v5, -4, v5
	s_delay_alu instid0(VALU_DEP_1) | instskip(NEXT) | instid1(VALU_DEP_1)
	v_sub_nc_u32_e32 v5, v1, v5
	v_cmpx_eq_u32_e64 v7, v5
	s_cbranch_execz .LBB172_9
; %bb.8:
	v_lshrrev_b32_e32 v3, 26, v3
	v_lshlrev_b32_e32 v1, 4, v1
	s_delay_alu instid0(VALU_DEP_2) | instskip(NEXT) | instid1(VALU_DEP_2)
	v_add_nc_u32_e32 v3, v44, v3
	v_sub_nc_u32_e32 v1, v44, v1
	s_delay_alu instid0(VALU_DEP_2) | instskip(NEXT) | instid1(VALU_DEP_1)
	v_ashrrev_i32_e32 v3, 6, v3
	v_lshl_add_u32 v1, v3, 4, v1
	s_delay_alu instid0(VALU_DEP_1) | instskip(NEXT) | instid1(VALU_DEP_1)
	v_cmp_ne_u32_e64 s0, 15, v1
	v_cndmask_b32_e64 v39, 0xff800000, v39, s0
	v_cmp_ne_u32_e64 s0, 14, v1
	s_delay_alu instid0(VALU_DEP_1) | instskip(SKIP_1) | instid1(VALU_DEP_1)
	v_cndmask_b32_e64 v36, 0xff800000, v36, s0
	v_cmp_ne_u32_e64 s0, 13, v1
	v_cndmask_b32_e64 v34, 0xff800000, v34, s0
	v_cmp_ne_u32_e64 s0, 12, v1
	s_delay_alu instid0(VALU_DEP_1) | instskip(SKIP_1) | instid1(VALU_DEP_1)
	v_cndmask_b32_e64 v32, 0xff800000, v32, s0
	;; [unrolled: 5-line block ×7, first 2 shown]
	v_cmp_ne_u32_e64 s0, 1, v1
	v_cndmask_b32_e64 v11, 0xff800000, v11, s0
	v_cmp_ne_u32_e64 s0, 0, v1
	s_delay_alu instid0(VALU_DEP_1)
	v_cndmask_b32_e64 v10, 0xff800000, v10, s0
.LBB172_9:
	s_or_b32 exec_lo, exec_lo, s1
	s_cmp_eq_u32 s8, 1
	s_cbranch_scc1 .LBB172_16
; %bb.10:
	s_add_i32 s18, s18, s16
	v_add_nc_u32_e32 v1, 1, v4
	v_add3_u32 v40, s18, v40, v6
	v_add_nc_u32_e32 v3, 1, v2
	v_add_nc_u32_e32 v5, 1, v0
	s_add_i32 s11, s8, -1
	s_branch .LBB172_12
.LBB172_11:                             ;   in Loop: Header=BB172_12 Depth=1
	s_or_b32 exec_lo, exec_lo, s1
	v_add_nc_u32_e32 v40, s16, v40
	v_add_nc_u32_e32 v1, 1, v1
	v_add_nc_u32_e32 v3, 1, v3
	v_add_nc_u32_e32 v5, 1, v5
	s_add_i32 s11, s11, -1
	s_delay_alu instid0(SALU_CYCLE_1)
	s_cmp_eq_u32 s11, 0
	s_cbranch_scc1 .LBB172_16
.LBB172_12:                             ; =>This Inner Loop Header: Depth=1
	v_cmp_gt_f32_e64 s0, v11, v10
	s_delay_alu instid0(VALU_DEP_1) | instskip(SKIP_1) | instid1(VALU_DEP_2)
	v_cndmask_b32_e64 v4, v10, v11, s0
	v_cndmask_b32_e64 v2, v8, v9, s0
	v_cmp_gt_f32_e64 s0, v12, v4
	s_delay_alu instid0(VALU_DEP_1) | instskip(NEXT) | instid1(VALU_DEP_3)
	v_cndmask_b32_e64 v4, v4, v12, s0
	v_cndmask_b32_e64 v2, v2, v13, s0
	s_delay_alu instid0(VALU_DEP_2) | instskip(NEXT) | instid1(VALU_DEP_1)
	v_cmp_gt_f32_e64 s0, v14, v4
	v_cndmask_b32_e64 v4, v4, v14, s0
	s_delay_alu instid0(VALU_DEP_3) | instskip(NEXT) | instid1(VALU_DEP_2)
	v_cndmask_b32_e64 v2, v2, v15, s0
	v_cmp_gt_f32_e64 s0, v16, v4
	s_delay_alu instid0(VALU_DEP_1) | instskip(NEXT) | instid1(VALU_DEP_3)
	v_cndmask_b32_e64 v4, v4, v16, s0
	v_cndmask_b32_e64 v2, v2, v17, s0
	s_delay_alu instid0(VALU_DEP_2) | instskip(NEXT) | instid1(VALU_DEP_1)
	v_cmp_gt_f32_e64 s0, v18, v4
	v_cndmask_b32_e64 v4, v4, v18, s0
	s_delay_alu instid0(VALU_DEP_3) | instskip(NEXT) | instid1(VALU_DEP_2)
	;; [unrolled: 9-line block ×6, first 2 shown]
	v_cndmask_b32_e64 v2, v2, v35, s0
	v_cmp_gt_f32_e64 s0, v36, v4
	s_delay_alu instid0(VALU_DEP_1) | instskip(NEXT) | instid1(VALU_DEP_3)
	v_cndmask_b32_e64 v4, v4, v36, s0
	v_cndmask_b32_e64 v2, v2, v37, s0
	s_delay_alu instid0(VALU_DEP_2) | instskip(NEXT) | instid1(VALU_DEP_1)
	v_cmp_gt_f32_e64 s0, v39, v4
	v_cndmask_b32_e64 v6, v2, v38, s0
	v_cndmask_b32_e64 v2, v4, v39, s0
	s_delay_alu instid0(VALU_DEP_2) | instskip(NEXT) | instid1(VALU_DEP_2)
	v_mov_b32_dpp v4, v6 quad_perm:[1,0,3,2] row_mask:0xf bank_mask:0xf
	v_mov_b32_dpp v43, v2 quad_perm:[1,0,3,2] row_mask:0xf bank_mask:0xf
	s_delay_alu instid0(VALU_DEP_2) | instskip(NEXT) | instid1(VALU_DEP_2)
	v_cmp_lt_i32_e64 s0, v4, v6
	v_cmp_eq_f32_e64 s1, v2, v43
	v_cmp_lt_f32_e64 s2, v2, v43
	s_delay_alu instid0(VALU_DEP_2)
	s_and_b32 s0, s1, s0
	s_delay_alu instid0(VALU_DEP_1) | instid1(SALU_CYCLE_1)
	s_or_b32 s0, s2, s0
	s_delay_alu instid0(SALU_CYCLE_1) | instskip(SKIP_1) | instid1(VALU_DEP_2)
	v_cndmask_b32_e64 v2, v2, v43, s0
	v_cndmask_b32_e64 v6, v6, v4, s0
	v_mov_b32_dpp v4, v2 quad_perm:[2,3,0,1] row_mask:0xf bank_mask:0xf
	s_delay_alu instid0(VALU_DEP_2) | instskip(NEXT) | instid1(VALU_DEP_2)
	v_mov_b32_dpp v43, v6 quad_perm:[2,3,0,1] row_mask:0xf bank_mask:0xf
	v_cmp_eq_f32_e64 s0, v2, v4
	s_delay_alu instid0(VALU_DEP_2) | instskip(SKIP_1) | instid1(VALU_DEP_2)
	v_cmp_lt_i32_e64 s1, v43, v6
	v_cmp_lt_f32_e64 s2, v2, v4
	s_and_b32 s0, s0, s1
	s_delay_alu instid0(VALU_DEP_1) | instid1(SALU_CYCLE_1)
	s_or_b32 s0, s2, s0
	s_delay_alu instid0(SALU_CYCLE_1)
	v_cndmask_b32_e64 v43, v6, v43, s0
	s_and_saveexec_b32 s2, vcc_lo
	s_cbranch_execz .LBB172_14
; %bb.13:                               ;   in Loop: Header=BB172_12 Depth=1
	v_cndmask_b32_e64 v2, v2, v4, s0
	s_delay_alu instid0(VALU_DEP_2) | instskip(SKIP_4) | instid1(VALU_DEP_4)
	v_cmp_le_i32_e64 s0, s9, v43
	v_cmp_gt_i32_e64 s1, s10, v43
	v_ashrrev_i32_e32 v6, 31, v5
	v_subrev_nc_u32_e32 v51, s9, v43
	v_sub_f32_e32 v50, v2, v42
	s_and_b32 s0, s0, s1
	s_delay_alu instid0(SALU_CYCLE_1) | instskip(NEXT) | instid1(VALU_DEP_1)
	s_and_b32 s0, s17, s0
	v_mul_f32_e32 v2, 0x3fb8aa3b, v50
	s_delay_alu instid0(VALU_DEP_1) | instskip(SKIP_1) | instid1(VALU_DEP_2)
	v_fma_f32 v4, 0x3fb8aa3b, v50, -v2
	v_rndne_f32_e32 v44, v2
	v_fmac_f32_e32 v4, 0x32a5705f, v50
	s_delay_alu instid0(VALU_DEP_2) | instskip(SKIP_2) | instid1(VALU_DEP_3)
	v_sub_f32_e32 v2, v2, v44
	v_cvt_i32_f32_e32 v49, v44
	v_lshlrev_b64 v[44:45], 2, v[5:6]
	v_add_f32_e32 v2, v2, v4
	v_ashrrev_i32_e32 v4, 31, v3
	s_delay_alu instid0(VALU_DEP_2) | instskip(SKIP_1) | instid1(VALU_DEP_2)
	v_exp_f32_e32 v48, v2
	v_ashrrev_i32_e32 v2, 31, v1
	v_lshlrev_b64 v[46:47], 2, v[3:4]
	s_waitcnt_depctr 0xfff
	v_ldexp_f32 v4, v48, v49
	v_lshlrev_b64 v[48:49], 2, v[1:2]
	v_cndmask_b32_e64 v2, 64, v51, s0
	v_cmp_ngt_f32_e64 s0, 0xc2ce8ed0, v50
	s_delay_alu instid0(VALU_DEP_1) | instskip(SKIP_1) | instid1(VALU_DEP_1)
	v_cndmask_b32_e64 v4, 0, v4, s0
	v_add_co_u32 v44, s0, s12, v44
	v_add_co_ci_u32_e64 v45, s0, s13, v45, s0
	v_cmp_nlt_f32_e64 s0, 0x42b17218, v50
	s_delay_alu instid0(VALU_DEP_1) | instskip(SKIP_2) | instid1(VALU_DEP_1)
	v_cndmask_b32_e64 v4, 0x7f800000, v4, s0
	s_waitcnt lgkmcnt(0)
	v_add_co_u32 v46, s0, s4, v46
	v_add_co_ci_u32_e64 v47, s0, s5, v47, s0
	s_delay_alu instid0(VALU_DEP_3) | instskip(SKIP_1) | instid1(VALU_DEP_1)
	v_add_f32_e32 v41, v41, v4
	v_add_co_u32 v48, s0, s6, v48
	v_add_co_ci_u32_e64 v49, s0, s7, v49, s0
	global_store_b32 v[44:45], v4, off
	global_store_b32 v[46:47], v2, off
	;; [unrolled: 1-line block ×3, first 2 shown]
.LBB172_14:                             ;   in Loop: Header=BB172_12 Depth=1
	s_or_b32 exec_lo, exec_lo, s2
	s_delay_alu instid0(VALU_DEP_1) | instskip(SKIP_1) | instid1(VALU_DEP_1)
	v_ashrrev_i32_e32 v4, 31, v43
	s_mov_b32 s1, exec_lo
	v_lshrrev_b32_e32 v2, 28, v4
	s_delay_alu instid0(VALU_DEP_1) | instskip(NEXT) | instid1(VALU_DEP_1)
	v_add_nc_u32_e32 v2, v43, v2
	v_ashrrev_i32_e32 v2, 4, v2
	s_delay_alu instid0(VALU_DEP_1) | instskip(NEXT) | instid1(VALU_DEP_1)
	v_lshrrev_b32_e32 v6, 30, v2
	v_add_nc_u32_e32 v6, v2, v6
	s_delay_alu instid0(VALU_DEP_1) | instskip(NEXT) | instid1(VALU_DEP_1)
	v_and_b32_e32 v6, -4, v6
	v_sub_nc_u32_e32 v6, v2, v6
	s_delay_alu instid0(VALU_DEP_1)
	v_cmpx_eq_u32_e64 v7, v6
	s_cbranch_execz .LBB172_11
; %bb.15:                               ;   in Loop: Header=BB172_12 Depth=1
	v_lshrrev_b32_e32 v4, 26, v4
	v_lshlrev_b32_e32 v2, 4, v2
	s_delay_alu instid0(VALU_DEP_2) | instskip(NEXT) | instid1(VALU_DEP_2)
	v_add_nc_u32_e32 v4, v43, v4
	v_sub_nc_u32_e32 v2, v43, v2
	s_delay_alu instid0(VALU_DEP_2) | instskip(NEXT) | instid1(VALU_DEP_1)
	v_ashrrev_i32_e32 v4, 6, v4
	v_lshl_add_u32 v2, v4, 4, v2
	s_delay_alu instid0(VALU_DEP_1) | instskip(NEXT) | instid1(VALU_DEP_1)
	v_cmp_ne_u32_e64 s0, 15, v2
	v_cndmask_b32_e64 v39, 0xff800000, v39, s0
	v_cmp_ne_u32_e64 s0, 14, v2
	s_delay_alu instid0(VALU_DEP_1) | instskip(SKIP_1) | instid1(VALU_DEP_1)
	v_cndmask_b32_e64 v36, 0xff800000, v36, s0
	v_cmp_ne_u32_e64 s0, 13, v2
	v_cndmask_b32_e64 v34, 0xff800000, v34, s0
	v_cmp_ne_u32_e64 s0, 12, v2
	s_delay_alu instid0(VALU_DEP_1) | instskip(SKIP_1) | instid1(VALU_DEP_1)
	v_cndmask_b32_e64 v32, 0xff800000, v32, s0
	;; [unrolled: 5-line block ×7, first 2 shown]
	v_cmp_ne_u32_e64 s0, 1, v2
	v_cndmask_b32_e64 v11, 0xff800000, v11, s0
	v_cmp_ne_u32_e64 s0, 0, v2
	s_delay_alu instid0(VALU_DEP_1)
	v_cndmask_b32_e64 v10, 0xff800000, v10, s0
	s_branch .LBB172_11
.LBB172_16:
	v_cmp_eq_u32_e32 vcc_lo, 0, v7
	v_cmp_neq_f32_e64 s0, 0, v41
	s_delay_alu instid0(VALU_DEP_1) | instskip(NEXT) | instid1(SALU_CYCLE_1)
	s_and_b32 s0, vcc_lo, s0
	s_and_b32 exec_lo, exec_lo, s0
	s_cbranch_execz .LBB172_20
; %bb.17:
	s_and_not1_b32 vcc_lo, exec_lo, s3
	s_cbranch_vccnz .LBB172_20
; %bb.18:
	v_div_scale_f32 v1, null, v41, v41, 1.0
	v_div_scale_f32 v4, vcc_lo, 1.0, v41, 1.0
	s_delay_alu instid0(VALU_DEP_2) | instskip(SKIP_2) | instid1(VALU_DEP_1)
	v_rcp_f32_e32 v2, v1
	s_waitcnt_depctr 0xfff
	v_fma_f32 v3, -v1, v2, 1.0
	v_fmac_f32_e32 v2, v3, v2
	s_delay_alu instid0(VALU_DEP_1) | instskip(NEXT) | instid1(VALU_DEP_1)
	v_mul_f32_e32 v3, v4, v2
	v_fma_f32 v5, -v1, v3, v4
	s_delay_alu instid0(VALU_DEP_1) | instskip(NEXT) | instid1(VALU_DEP_1)
	v_fmac_f32_e32 v3, v5, v2
	v_fma_f32 v4, -v1, v3, v4
	v_ashrrev_i32_e32 v1, 31, v0
	s_delay_alu instid0(VALU_DEP_2) | instskip(NEXT) | instid1(VALU_DEP_2)
	v_div_fmas_f32 v2, v4, v2, v3
	v_lshlrev_b64 v[0:1], 2, v[0:1]
	s_delay_alu instid0(VALU_DEP_2) | instskip(NEXT) | instid1(VALU_DEP_2)
	v_div_fixup_f32 v2, v2, v41, 1.0
	v_add_co_u32 v0, vcc_lo, s12, v0
	s_delay_alu instid0(VALU_DEP_3)
	v_add_co_ci_u32_e32 v1, vcc_lo, s13, v1, vcc_lo
.LBB172_19:                             ; =>This Inner Loop Header: Depth=1
	global_load_b32 v3, v[0:1], off
	s_add_i32 s8, s8, -1
	s_delay_alu instid0(SALU_CYCLE_1)
	s_cmp_lg_u32 s8, 0
	s_waitcnt vmcnt(0)
	v_mul_f32_e32 v3, v2, v3
	global_store_b32 v[0:1], v3, off
	v_add_co_u32 v0, vcc_lo, v0, 4
	v_add_co_ci_u32_e32 v1, vcc_lo, 0, v1, vcc_lo
	s_cbranch_scc1 .LBB172_19
.LBB172_20:
	s_nop 0
	s_sendmsg sendmsg(MSG_DEALLOC_VGPRS)
	s_endpgm
	.section	.rodata,"a",@progbits
	.p2align	6, 0x0
	.amdhsa_kernel _ZN4vllm3moe17topkGatingSoftmaxIDF16_Li16ELi64ELi8ELi32ELb1ELi4ELNS0_23SharedExpertScoringFuncE1EEEvPKT_PKbPfiPiS9_iiiiii
		.amdhsa_group_segment_fixed_size 0
		.amdhsa_private_segment_fixed_size 0
		.amdhsa_kernarg_size 72
		.amdhsa_user_sgpr_count 15
		.amdhsa_user_sgpr_dispatch_ptr 0
		.amdhsa_user_sgpr_queue_ptr 0
		.amdhsa_user_sgpr_kernarg_segment_ptr 1
		.amdhsa_user_sgpr_dispatch_id 0
		.amdhsa_user_sgpr_private_segment_size 0
		.amdhsa_wavefront_size32 1
		.amdhsa_uses_dynamic_stack 0
		.amdhsa_enable_private_segment 0
		.amdhsa_system_sgpr_workgroup_id_x 1
		.amdhsa_system_sgpr_workgroup_id_y 0
		.amdhsa_system_sgpr_workgroup_id_z 0
		.amdhsa_system_sgpr_workgroup_info 0
		.amdhsa_system_vgpr_workitem_id 1
		.amdhsa_next_free_vgpr 53
		.amdhsa_next_free_sgpr 19
		.amdhsa_reserve_vcc 1
		.amdhsa_float_round_mode_32 0
		.amdhsa_float_round_mode_16_64 0
		.amdhsa_float_denorm_mode_32 3
		.amdhsa_float_denorm_mode_16_64 3
		.amdhsa_dx10_clamp 1
		.amdhsa_ieee_mode 1
		.amdhsa_fp16_overflow 0
		.amdhsa_workgroup_processor_mode 1
		.amdhsa_memory_ordered 1
		.amdhsa_forward_progress 0
		.amdhsa_shared_vgpr_count 0
		.amdhsa_exception_fp_ieee_invalid_op 0
		.amdhsa_exception_fp_denorm_src 0
		.amdhsa_exception_fp_ieee_div_zero 0
		.amdhsa_exception_fp_ieee_overflow 0
		.amdhsa_exception_fp_ieee_underflow 0
		.amdhsa_exception_fp_ieee_inexact 0
		.amdhsa_exception_int_div_zero 0
	.end_amdhsa_kernel
	.section	.text._ZN4vllm3moe17topkGatingSoftmaxIDF16_Li16ELi64ELi8ELi32ELb1ELi4ELNS0_23SharedExpertScoringFuncE1EEEvPKT_PKbPfiPiS9_iiiiii,"axG",@progbits,_ZN4vllm3moe17topkGatingSoftmaxIDF16_Li16ELi64ELi8ELi32ELb1ELi4ELNS0_23SharedExpertScoringFuncE1EEEvPKT_PKbPfiPiS9_iiiiii,comdat
.Lfunc_end172:
	.size	_ZN4vllm3moe17topkGatingSoftmaxIDF16_Li16ELi64ELi8ELi32ELb1ELi4ELNS0_23SharedExpertScoringFuncE1EEEvPKT_PKbPfiPiS9_iiiiii, .Lfunc_end172-_ZN4vllm3moe17topkGatingSoftmaxIDF16_Li16ELi64ELi8ELi32ELb1ELi4ELNS0_23SharedExpertScoringFuncE1EEEvPKT_PKbPfiPiS9_iiiiii
                                        ; -- End function
	.section	.AMDGPU.csdata,"",@progbits
; Kernel info:
; codeLenInByte = 3612
; NumSgprs: 21
; NumVgprs: 53
; ScratchSize: 0
; MemoryBound: 0
; FloatMode: 240
; IeeeMode: 1
; LDSByteSize: 0 bytes/workgroup (compile time only)
; SGPRBlocks: 2
; VGPRBlocks: 6
; NumSGPRsForWavesPerEU: 21
; NumVGPRsForWavesPerEU: 53
; Occupancy: 16
; WaveLimiterHint : 0
; COMPUTE_PGM_RSRC2:SCRATCH_EN: 0
; COMPUTE_PGM_RSRC2:USER_SGPR: 15
; COMPUTE_PGM_RSRC2:TRAP_HANDLER: 0
; COMPUTE_PGM_RSRC2:TGID_X_EN: 1
; COMPUTE_PGM_RSRC2:TGID_Y_EN: 0
; COMPUTE_PGM_RSRC2:TGID_Z_EN: 0
; COMPUTE_PGM_RSRC2:TIDIG_COMP_CNT: 1
	.section	.text._ZN4vllm3moe17topkGatingSoftmaxIDF16_Li16ELi64ELi8ELi32ELb0ELi4ELNS0_23SharedExpertScoringFuncE1EEEvPKT_PKbPfiPiS9_iiiiii,"axG",@progbits,_ZN4vllm3moe17topkGatingSoftmaxIDF16_Li16ELi64ELi8ELi32ELb0ELi4ELNS0_23SharedExpertScoringFuncE1EEEvPKT_PKbPfiPiS9_iiiiii,comdat
	.protected	_ZN4vllm3moe17topkGatingSoftmaxIDF16_Li16ELi64ELi8ELi32ELb0ELi4ELNS0_23SharedExpertScoringFuncE1EEEvPKT_PKbPfiPiS9_iiiiii ; -- Begin function _ZN4vllm3moe17topkGatingSoftmaxIDF16_Li16ELi64ELi8ELi32ELb0ELi4ELNS0_23SharedExpertScoringFuncE1EEEvPKT_PKbPfiPiS9_iiiiii
	.globl	_ZN4vllm3moe17topkGatingSoftmaxIDF16_Li16ELi64ELi8ELi32ELb0ELi4ELNS0_23SharedExpertScoringFuncE1EEEvPKT_PKbPfiPiS9_iiiiii
	.p2align	8
	.type	_ZN4vllm3moe17topkGatingSoftmaxIDF16_Li16ELi64ELi8ELi32ELb0ELi4ELNS0_23SharedExpertScoringFuncE1EEEvPKT_PKbPfiPiS9_iiiiii,@function
_ZN4vllm3moe17topkGatingSoftmaxIDF16_Li16ELi64ELi8ELi32ELb0ELi4ELNS0_23SharedExpertScoringFuncE1EEEvPKT_PKbPfiPiS9_iiiiii: ; @_ZN4vllm3moe17topkGatingSoftmaxIDF16_Li16ELi64ELi8ELi32ELb0ELi4ELNS0_23SharedExpertScoringFuncE1EEEvPKT_PKbPfiPiS9_iiiiii
; %bb.0:
	s_load_b32 s16, s[0:1], 0x18
	v_bfe_u32 v1, v0, 10, 10
	v_and_b32_e32 v0, 0x3ff, v0
	s_lshl_b32 s18, s15, 6
	s_mov_b32 s2, exec_lo
	s_delay_alu instid0(VALU_DEP_2) | instskip(NEXT) | instid1(VALU_DEP_2)
	v_lshlrev_b32_e32 v6, 3, v1
	v_lshrrev_b32_e32 v41, 2, v0
	s_delay_alu instid0(VALU_DEP_1) | instskip(SKIP_1) | instid1(VALU_DEP_1)
	v_add3_u32 v43, s18, v6, v41
	s_waitcnt lgkmcnt(0)
	v_cmpx_gt_i32_e64 s16, v43
	s_cbranch_execz .LBB173_21
; %bb.1:
	s_clause 0x1
	s_load_b128 s[4:7], s[0:1], 0x0
	s_load_b64 s[12:13], s[0:1], 0x10
	s_waitcnt lgkmcnt(0)
	s_cmp_eq_u64 s[6:7], 0
	s_cbranch_scc1 .LBB173_3
; %bb.2:
	v_ashrrev_i32_e32 v2, 31, v43
	v_add_co_u32 v1, vcc_lo, s6, v43
	s_delay_alu instid0(VALU_DEP_2) | instskip(SKIP_3) | instid1(VALU_DEP_1)
	v_add_co_ci_u32_e32 v2, vcc_lo, s7, v2, vcc_lo
	global_load_u8 v1, v[1:2], off
	s_waitcnt vmcnt(0)
	v_and_b32_e32 v1, 1, v1
	v_cmp_eq_u32_e32 vcc_lo, 1, v1
	s_xor_b32 s2, vcc_lo, -1
	s_delay_alu instid0(SALU_CYCLE_1)
	s_or_not1_b32 s17, s2, exec_lo
	s_branch .LBB173_4
.LBB173_3:
	s_mov_b32 s17, -1
.LBB173_4:
	s_clause 0x1
	s_load_b64 s[14:15], s[0:1], 0x40
	s_load_b128 s[8:11], s[0:1], 0x30
	v_and_b32_e32 v7, 3, v0
	s_mov_b32 s2, 0x3fb8aa3b
	s_mov_b32 s3, 0x32a5705f
	s_delay_alu instid0(VALU_DEP_1) | instskip(NEXT) | instid1(VALU_DEP_1)
	v_lshlrev_b32_e32 v23, 4, v7
	v_or_b32_e32 v27, 1, v23
	v_or_b32_e32 v28, 2, v23
	s_waitcnt lgkmcnt(0)
	v_mul_lo_u32 v1, v43, s15
	s_delay_alu instid0(VALU_DEP_1) | instskip(NEXT) | instid1(VALU_DEP_1)
	v_ashrrev_i32_e32 v2, 31, v1
	v_lshlrev_b64 v[0:1], 1, v[1:2]
	v_lshlrev_b32_e32 v2, 5, v7
	s_delay_alu instid0(VALU_DEP_2) | instskip(NEXT) | instid1(VALU_DEP_3)
	v_add_co_u32 v12, vcc_lo, s4, v0
	v_add_co_ci_u32_e32 v13, vcc_lo, s5, v1, vcc_lo
	s_delay_alu instid0(VALU_DEP_2) | instskip(NEXT) | instid1(VALU_DEP_2)
	v_add_co_u32 v4, vcc_lo, v12, v2
	v_add_co_ci_u32_e32 v5, vcc_lo, 0, v13, vcc_lo
	s_clause 0x1
	global_load_b128 v[0:3], v[4:5], off
	global_load_b128 v[8:11], v[4:5], off offset:16
	s_waitcnt vmcnt(1)
	v_cvt_f32_f16_e32 v24, v1
	v_lshlrev_b32_e32 v14, 1, v7
	v_cvt_f32_f16_e32 v26, v0
	v_lshrrev_b32_e32 v1, 16, v1
	v_cvt_f32_f16_e32 v21, v2
	v_lshrrev_b32_e32 v2, 16, v2
	v_add_co_u32 v4, vcc_lo, v12, v14
	v_add_co_ci_u32_e32 v5, vcc_lo, 0, v13, vcc_lo
	v_cvt_f32_f16_e32 v22, v1
	s_delay_alu instid0(VALU_DEP_4)
	v_cvt_f32_f16_e32 v20, v2
	v_cvt_f32_f16_e32 v19, v3
	global_load_u16 v4, v[4:5], off offset:128
	v_lshrrev_b32_e32 v5, 16, v0
	v_lshrrev_b32_e32 v2, 16, v3
	s_waitcnt vmcnt(1)
	v_cvt_f32_f16_e32 v17, v8
	v_cvt_f32_f16_e32 v15, v9
	;; [unrolled: 1-line block ×4, first 2 shown]
	v_cmp_lt_f16_e32 vcc_lo, v0, v5
	v_cvt_f32_f16_e32 v18, v2
	v_lshrrev_b32_e32 v2, 16, v8
	s_delay_alu instid0(VALU_DEP_4) | instskip(NEXT) | instid1(VALU_DEP_2)
	v_dual_cndmask_b32 v5, v26, v25 :: v_dual_cndmask_b32 v0, v23, v27
	v_cvt_f32_f16_e32 v16, v2
	s_delay_alu instid0(VALU_DEP_2) | instskip(SKIP_1) | instid1(VALU_DEP_4)
	v_cmp_lt_f32_e32 vcc_lo, v5, v24
	v_cndmask_b32_e32 v1, v5, v24, vcc_lo
	v_cndmask_b32_e32 v0, v0, v28, vcc_lo
	v_or_b32_e32 v29, 3, v23
	v_or_b32_e32 v30, 4, v23
	;; [unrolled: 1-line block ×3, first 2 shown]
	v_cmp_lt_f32_e32 vcc_lo, v1, v22
	v_or_b32_e32 v32, 6, v23
	v_or_b32_e32 v33, 7, v23
	;; [unrolled: 1-line block ×4, first 2 shown]
	v_dual_cndmask_b32 v0, v0, v29 :: v_dual_cndmask_b32 v1, v1, v22
	v_or_b32_e32 v36, 10, v23
	v_or_b32_e32 v37, 11, v23
	;; [unrolled: 1-line block ×4, first 2 shown]
	v_cmp_lt_f32_e32 vcc_lo, v1, v21
	v_or_b32_e32 v40, 14, v23
	v_or_b32_e32 v42, 15, v23
	v_dual_cndmask_b32 v0, v0, v30 :: v_dual_cndmask_b32 v1, v1, v21
	s_delay_alu instid0(VALU_DEP_1) | instskip(NEXT) | instid1(VALU_DEP_2)
	v_cmp_lt_f32_e32 vcc_lo, v1, v20
	v_dual_cndmask_b32 v0, v0, v31 :: v_dual_cndmask_b32 v1, v1, v20
	s_delay_alu instid0(VALU_DEP_1) | instskip(NEXT) | instid1(VALU_DEP_2)
	v_cmp_lt_f32_e32 vcc_lo, v1, v19
	;; [unrolled: 3-line block ×4, first 2 shown]
	v_dual_cndmask_b32 v0, v0, v34 :: v_dual_cndmask_b32 v1, v1, v17
	s_delay_alu instid0(VALU_DEP_1) | instskip(SKIP_3) | instid1(VALU_DEP_1)
	v_cmp_lt_f32_e32 vcc_lo, v1, v16
	v_cndmask_b32_e32 v1, v1, v16, vcc_lo
	s_waitcnt vmcnt(0)
	v_cvt_f32_f16_e64 v3, -v4
	v_mul_f32_e32 v2, 0x3fb8aa3b, v3
	s_delay_alu instid0(VALU_DEP_1) | instskip(SKIP_2) | instid1(VALU_DEP_3)
	v_fma_mix_f32 v5, -v4, s2, -v2 op_sel_hi:[1,0,0]
	v_rndne_f32_e32 v8, v2
	v_cmp_ngt_f32_e64 s2, 0xc2ce8ed0, v3
	v_fma_mix_f32 v4, -v4, s3, v5 op_sel_hi:[1,0,0]
	v_lshrrev_b32_e32 v5, 16, v9
	v_cvt_f32_f16_e32 v9, v11
	s_delay_alu instid0(VALU_DEP_2) | instskip(SKIP_3) | instid1(VALU_DEP_3)
	v_cvt_f32_f16_e32 v14, v5
	v_cndmask_b32_e32 v0, v0, v35, vcc_lo
	v_cmp_lt_f32_e32 vcc_lo, v1, v15
	v_dual_sub_f32 v2, v2, v8 :: v_dual_cndmask_b32 v1, v1, v15
	v_cndmask_b32_e32 v0, v0, v36, vcc_lo
	s_delay_alu instid0(VALU_DEP_2) | instskip(NEXT) | instid1(VALU_DEP_2)
	v_cmp_lt_f32_e32 vcc_lo, v1, v14
	v_dual_cndmask_b32 v1, v1, v14 :: v_dual_cndmask_b32 v0, v0, v37
	s_delay_alu instid0(VALU_DEP_1)
	v_cmp_lt_f32_e32 vcc_lo, v1, v12
	v_cndmask_b32_e32 v1, v1, v12, vcc_lo
	v_add_f32_e32 v2, v2, v4
	v_cvt_i32_f32_e32 v4, v8
	v_cndmask_b32_e32 v0, v0, v38, vcc_lo
	v_cmp_nlt_f32_e32 vcc_lo, 0x42b17218, v3
	s_delay_alu instid0(VALU_DEP_4) | instskip(SKIP_3) | instid1(VALU_DEP_2)
	v_exp_f32_e32 v2, v2
	s_waitcnt_depctr 0xfff
	v_ldexp_f32 v2, v2, v4
	v_lshrrev_b32_e32 v4, 16, v10
	v_cndmask_b32_e64 v2, 0, v2, s2
	s_delay_alu instid0(VALU_DEP_2) | instskip(NEXT) | instid1(VALU_DEP_2)
	v_cvt_f32_f16_e32 v10, v4
	v_cndmask_b32_e32 v2, 0x7f800000, v2, vcc_lo
	s_delay_alu instid0(VALU_DEP_2) | instskip(NEXT) | instid1(VALU_DEP_2)
	v_cmp_lt_f32_e32 vcc_lo, v1, v10
	v_add_f32_e32 v13, 1.0, v2
	v_cndmask_b32_e32 v1, v1, v10, vcc_lo
	v_lshrrev_b32_e32 v2, 16, v11
	v_mov_b32_e32 v11, 0
	s_delay_alu instid0(VALU_DEP_4) | instskip(NEXT) | instid1(VALU_DEP_3)
	v_div_scale_f32 v44, null, v13, v13, 1.0
	v_cvt_f32_f16_e32 v8, v2
	v_cndmask_b32_e32 v0, v0, v39, vcc_lo
	v_cmp_lt_f32_e32 vcc_lo, v1, v9
	s_delay_alu instid0(VALU_DEP_4) | instskip(SKIP_1) | instid1(VALU_DEP_3)
	v_rcp_f32_e32 v45, v44
	v_div_scale_f32 v46, s3, 1.0, v13, 1.0
	v_dual_cndmask_b32 v1, v1, v9 :: v_dual_cndmask_b32 v2, v0, v40
	v_mul_lo_u32 v0, v43, s11
	s_delay_alu instid0(VALU_DEP_2) | instskip(SKIP_3) | instid1(VALU_DEP_2)
	v_cmp_lt_f32_e32 vcc_lo, v1, v8
	s_waitcnt_depctr 0xfff
	v_fma_f32 v3, -v44, v45, 1.0
	v_cndmask_b32_e32 v1, v1, v8, vcc_lo
	v_fmac_f32_e32 v45, v3, v45
	s_delay_alu instid0(VALU_DEP_2) | instskip(SKIP_2) | instid1(VALU_DEP_3)
	v_mov_b32_dpp v47, v1 quad_perm:[1,0,3,2] row_mask:0xf bank_mask:0xf
	v_cndmask_b32_e32 v4, v2, v42, vcc_lo
	v_add3_u32 v2, v0, s8, v7
	v_cmp_eq_f32_e64 s2, v1, v47
	s_delay_alu instid0(VALU_DEP_3) | instskip(SKIP_1) | instid1(VALU_DEP_4)
	v_mov_b32_dpp v5, v4 quad_perm:[1,0,3,2] row_mask:0xf bank_mask:0xf
	v_cmp_lt_f32_e64 s4, v1, v47
	v_ashrrev_i32_e32 v3, 31, v2
	s_delay_alu instid0(VALU_DEP_3)
	v_cmp_lt_i32_e32 vcc_lo, v5, v4
	s_and_b32 s2, s2, vcc_lo
	s_delay_alu instid0(VALU_DEP_3) | instid1(SALU_CYCLE_1)
	s_or_b32 vcc_lo, s4, s2
	v_cmp_eq_u32_e64 s2, 0, v7
	v_dual_cndmask_b32 v47, v1, v47 :: v_dual_mul_f32 v48, v46, v45
	v_cndmask_b32_e32 v1, v4, v5, vcc_lo
	v_lshlrev_b64 v[4:5], 2, v[2:3]
	s_mov_b32 vcc_lo, s3
	s_delay_alu instid0(VALU_DEP_3) | instskip(NEXT) | instid1(VALU_DEP_3)
	v_fma_f32 v49, -v44, v48, v46
	v_mov_b32_dpp v3, v1 quad_perm:[2,3,0,1] row_mask:0xf bank_mask:0xf
	s_delay_alu instid0(VALU_DEP_3) | instskip(NEXT) | instid1(VALU_DEP_3)
	v_add_co_u32 v4, s5, s12, v4
	v_fmac_f32_e32 v48, v49, v45
	s_delay_alu instid0(VALU_DEP_3) | instskip(SKIP_1) | instid1(VALU_DEP_3)
	v_cmp_lt_i32_e64 s4, v3, v1
	v_add_co_ci_u32_e64 v5, s5, s13, v5, s5
	v_fma_f32 v2, -v44, v48, v46
	v_mov_b32_dpp v44, v47 quad_perm:[2,3,0,1] row_mask:0xf bank_mask:0xf
	s_delay_alu instid0(VALU_DEP_2) | instskip(NEXT) | instid1(VALU_DEP_2)
	v_div_fmas_f32 v2, v2, v45, v48
	v_cmp_eq_f32_e64 s3, v47, v44
	v_cmp_lt_f32_e32 vcc_lo, v47, v44
	s_delay_alu instid0(VALU_DEP_3) | instskip(NEXT) | instid1(VALU_DEP_3)
	v_div_fixup_f32 v2, v2, v13, 1.0
	s_and_b32 s3, s3, s4
	s_delay_alu instid0(SALU_CYCLE_1)
	s_or_b32 vcc_lo, vcc_lo, s3
	s_cmp_gt_i32 s8, 0
	v_cndmask_b32_e32 v13, v47, v44, vcc_lo
	s_cselect_b32 s3, -1, 0
	s_cmp_lt_i32 s8, 1
	global_store_b32 v[4:5], v2, off
	s_cbranch_scc1 .LBB173_16
; %bb.5:
	s_load_b128 s[4:7], s[0:1], 0x20
	v_mul_lo_u32 v2, v43, s14
	v_mul_lo_u32 v4, v43, s8
	v_dual_cndmask_b32 v44, v1, v3 :: v_dual_mov_b32 v11, 0
	s_and_saveexec_b32 s1, s2
	s_cbranch_execz .LBB173_7
; %bb.6:
	v_sub_f32_e32 v11, v13, v13
	s_delay_alu instid0(VALU_DEP_2) | instskip(SKIP_4) | instid1(VALU_DEP_4)
	v_cmp_le_i32_e32 vcc_lo, s9, v44
	v_cmp_gt_i32_e64 s0, s10, v44
	v_subrev_nc_u32_e32 v51, s9, v44
	v_ashrrev_i32_e32 v5, 31, v4
	v_mul_f32_e32 v1, 0x3fb8aa3b, v11
	s_and_b32 s0, vcc_lo, s0
	s_delay_alu instid0(SALU_CYCLE_1) | instskip(NEXT) | instid1(VALU_DEP_1)
	s_and_b32 vcc_lo, s17, s0
	v_rndne_f32_e32 v47, v1
	v_fma_f32 v3, 0x3fb8aa3b, v11, -v1
	v_lshlrev_b64 v[49:50], 2, v[4:5]
	s_delay_alu instid0(VALU_DEP_3) | instskip(NEXT) | instid1(VALU_DEP_3)
	v_sub_f32_e32 v1, v1, v47
	v_fmamk_f32 v3, v11, 0x32a5705f, v3
	s_delay_alu instid0(VALU_DEP_1) | instskip(SKIP_1) | instid1(VALU_DEP_2)
	v_add_f32_e32 v3, v1, v3
	v_ashrrev_i32_e32 v1, 31, v0
	v_exp_f32_e32 v52, v3
	s_delay_alu instid0(VALU_DEP_1) | instskip(SKIP_2) | instid1(VALU_DEP_2)
	v_lshlrev_b64 v[45:46], 2, v[0:1]
	v_ashrrev_i32_e32 v3, 31, v2
	v_cvt_i32_f32_e32 v1, v47
	v_lshlrev_b64 v[47:48], 2, v[2:3]
	v_cndmask_b32_e32 v3, 64, v51, vcc_lo
	v_add_co_u32 v45, vcc_lo, s12, v45
	v_add_co_ci_u32_e32 v46, vcc_lo, s13, v46, vcc_lo
	s_delay_alu instid0(TRANS32_DEP_1) | instskip(SKIP_1) | instid1(VALU_DEP_2)
	v_ldexp_f32 v1, v52, v1
	v_cmp_ngt_f32_e32 vcc_lo, 0xc2ce8ed0, v11
	v_cndmask_b32_e32 v1, 0, v1, vcc_lo
	s_waitcnt lgkmcnt(0)
	v_add_co_u32 v47, vcc_lo, s4, v47
	v_add_co_ci_u32_e32 v48, vcc_lo, s5, v48, vcc_lo
	v_cmp_nlt_f32_e32 vcc_lo, 0x42b17218, v11
	v_cndmask_b32_e32 v11, 0x7f800000, v1, vcc_lo
	v_add_co_u32 v49, vcc_lo, s6, v49
	v_add_co_ci_u32_e32 v50, vcc_lo, s7, v50, vcc_lo
	global_store_b32 v[47:48], v3, off
	global_store_b32 v[45:46], v11, off
	;; [unrolled: 1-line block ×3, first 2 shown]
.LBB173_7:
	s_or_b32 exec_lo, exec_lo, s1
	s_delay_alu instid0(VALU_DEP_1) | instskip(SKIP_1) | instid1(VALU_DEP_1)
	v_ashrrev_i32_e32 v3, 31, v44
	s_mov_b32 s0, exec_lo
	v_lshrrev_b32_e32 v1, 28, v3
	s_delay_alu instid0(VALU_DEP_1) | instskip(NEXT) | instid1(VALU_DEP_1)
	v_add_nc_u32_e32 v1, v44, v1
	v_ashrrev_i32_e32 v1, 4, v1
	s_delay_alu instid0(VALU_DEP_1) | instskip(NEXT) | instid1(VALU_DEP_1)
	v_lshrrev_b32_e32 v5, 30, v1
	v_add_nc_u32_e32 v5, v1, v5
	s_delay_alu instid0(VALU_DEP_1) | instskip(NEXT) | instid1(VALU_DEP_1)
	v_and_b32_e32 v5, -4, v5
	v_sub_nc_u32_e32 v5, v1, v5
	s_delay_alu instid0(VALU_DEP_1)
	v_cmpx_eq_u32_e64 v7, v5
	s_cbranch_execz .LBB173_9
; %bb.8:
	v_lshrrev_b32_e32 v3, 26, v3
	v_lshlrev_b32_e32 v1, 4, v1
	s_delay_alu instid0(VALU_DEP_2) | instskip(NEXT) | instid1(VALU_DEP_2)
	v_add_nc_u32_e32 v3, v44, v3
	v_sub_nc_u32_e32 v1, v44, v1
	s_delay_alu instid0(VALU_DEP_2) | instskip(NEXT) | instid1(VALU_DEP_1)
	v_ashrrev_i32_e32 v3, 6, v3
	v_lshl_add_u32 v1, v3, 4, v1
	s_delay_alu instid0(VALU_DEP_1)
	v_cmp_ne_u32_e32 vcc_lo, 15, v1
	v_cndmask_b32_e32 v8, 0xff800000, v8, vcc_lo
	v_cmp_ne_u32_e32 vcc_lo, 14, v1
	v_cndmask_b32_e32 v9, 0xff800000, v9, vcc_lo
	;; [unrolled: 2-line block ×16, first 2 shown]
.LBB173_9:
	s_or_b32 exec_lo, exec_lo, s0
	s_cmp_eq_u32 s8, 1
	s_cbranch_scc1 .LBB173_16
; %bb.10:
	s_add_i32 s18, s18, s16
	v_add_nc_u32_e32 v1, 1, v4
	v_add3_u32 v41, s18, v41, v6
	v_add_nc_u32_e32 v3, 1, v2
	v_add_nc_u32_e32 v5, 1, v0
	s_add_i32 s11, s8, -1
	s_branch .LBB173_12
.LBB173_11:                             ;   in Loop: Header=BB173_12 Depth=1
	s_or_b32 exec_lo, exec_lo, s0
	v_add_nc_u32_e32 v41, s16, v41
	v_add_nc_u32_e32 v1, 1, v1
	;; [unrolled: 1-line block ×4, first 2 shown]
	s_add_i32 s11, s11, -1
	s_delay_alu instid0(SALU_CYCLE_1)
	s_cmp_eq_u32 s11, 0
	s_cbranch_scc1 .LBB173_16
.LBB173_12:                             ; =>This Inner Loop Header: Depth=1
	v_cmp_gt_f32_e32 vcc_lo, v25, v26
	v_cndmask_b32_e32 v4, v26, v25, vcc_lo
	v_cndmask_b32_e32 v2, v23, v27, vcc_lo
	s_delay_alu instid0(VALU_DEP_2) | instskip(SKIP_1) | instid1(VALU_DEP_3)
	v_cmp_gt_f32_e32 vcc_lo, v24, v4
	v_cndmask_b32_e32 v4, v4, v24, vcc_lo
	v_cndmask_b32_e32 v2, v2, v28, vcc_lo
	s_delay_alu instid0(VALU_DEP_2) | instskip(SKIP_1) | instid1(VALU_DEP_3)
	;; [unrolled: 4-line block ×13, first 2 shown]
	v_cmp_gt_f32_e32 vcc_lo, v9, v4
	v_cndmask_b32_e32 v4, v4, v9, vcc_lo
	v_cndmask_b32_e32 v2, v2, v40, vcc_lo
	s_delay_alu instid0(VALU_DEP_2) | instskip(NEXT) | instid1(VALU_DEP_2)
	v_cmp_gt_f32_e32 vcc_lo, v8, v4
	v_cndmask_b32_e32 v6, v2, v42, vcc_lo
	v_cndmask_b32_e32 v2, v4, v8, vcc_lo
	s_delay_alu instid0(VALU_DEP_2) | instskip(NEXT) | instid1(VALU_DEP_2)
	v_mov_b32_dpp v4, v6 quad_perm:[1,0,3,2] row_mask:0xf bank_mask:0xf
	v_mov_b32_dpp v43, v2 quad_perm:[1,0,3,2] row_mask:0xf bank_mask:0xf
	s_delay_alu instid0(VALU_DEP_2) | instskip(NEXT) | instid1(VALU_DEP_2)
	v_cmp_lt_i32_e32 vcc_lo, v4, v6
	v_cmp_eq_f32_e64 s0, v2, v43
	v_cmp_lt_f32_e64 s1, v2, v43
	s_delay_alu instid0(VALU_DEP_2)
	s_and_b32 s0, s0, vcc_lo
	s_delay_alu instid0(VALU_DEP_1) | instid1(SALU_CYCLE_1)
	s_or_b32 vcc_lo, s1, s0
	v_cndmask_b32_e32 v2, v2, v43, vcc_lo
	v_cndmask_b32_e32 v6, v6, v4, vcc_lo
	s_delay_alu instid0(VALU_DEP_2) | instskip(NEXT) | instid1(VALU_DEP_2)
	v_mov_b32_dpp v4, v2 quad_perm:[2,3,0,1] row_mask:0xf bank_mask:0xf
	v_mov_b32_dpp v43, v6 quad_perm:[2,3,0,1] row_mask:0xf bank_mask:0xf
	s_delay_alu instid0(VALU_DEP_2) | instskip(NEXT) | instid1(VALU_DEP_2)
	v_cmp_eq_f32_e32 vcc_lo, v2, v4
	v_cmp_lt_i32_e64 s0, v43, v6
	v_cmp_lt_f32_e64 s1, v2, v4
	s_delay_alu instid0(VALU_DEP_2)
	s_and_b32 s0, vcc_lo, s0
	s_delay_alu instid0(VALU_DEP_1) | instid1(SALU_CYCLE_1)
	s_or_b32 vcc_lo, s1, s0
	v_cndmask_b32_e32 v43, v6, v43, vcc_lo
	s_and_saveexec_b32 s1, s2
	s_cbranch_execz .LBB173_14
; %bb.13:                               ;   in Loop: Header=BB173_12 Depth=1
	v_cndmask_b32_e32 v2, v2, v4, vcc_lo
	s_delay_alu instid0(VALU_DEP_2) | instskip(SKIP_4) | instid1(VALU_DEP_4)
	v_cmp_le_i32_e32 vcc_lo, s9, v43
	v_cmp_gt_i32_e64 s0, s10, v43
	v_ashrrev_i32_e32 v6, 31, v5
	v_subrev_nc_u32_e32 v51, s9, v43
	v_sub_f32_e32 v50, v2, v13
	s_and_b32 s0, vcc_lo, s0
	s_delay_alu instid0(SALU_CYCLE_1) | instskip(NEXT) | instid1(VALU_DEP_1)
	s_and_b32 vcc_lo, s17, s0
	v_mul_f32_e32 v2, 0x3fb8aa3b, v50
	s_delay_alu instid0(VALU_DEP_1) | instskip(SKIP_1) | instid1(VALU_DEP_2)
	v_fma_f32 v4, 0x3fb8aa3b, v50, -v2
	v_rndne_f32_e32 v44, v2
	v_fmac_f32_e32 v4, 0x32a5705f, v50
	s_delay_alu instid0(VALU_DEP_2) | instskip(SKIP_2) | instid1(VALU_DEP_3)
	v_sub_f32_e32 v2, v2, v44
	v_cvt_i32_f32_e32 v49, v44
	v_lshlrev_b64 v[44:45], 2, v[5:6]
	v_add_f32_e32 v2, v2, v4
	v_ashrrev_i32_e32 v4, 31, v3
	s_delay_alu instid0(VALU_DEP_2) | instskip(SKIP_1) | instid1(VALU_DEP_2)
	v_exp_f32_e32 v48, v2
	v_ashrrev_i32_e32 v2, 31, v1
	v_lshlrev_b64 v[46:47], 2, v[3:4]
	s_waitcnt_depctr 0xfff
	v_ldexp_f32 v4, v48, v49
	v_lshlrev_b64 v[48:49], 2, v[1:2]
	v_cndmask_b32_e32 v2, 64, v51, vcc_lo
	v_cmp_ngt_f32_e32 vcc_lo, 0xc2ce8ed0, v50
	s_delay_alu instid0(VALU_DEP_4) | instskip(SKIP_3) | instid1(VALU_DEP_4)
	v_cndmask_b32_e32 v4, 0, v4, vcc_lo
	v_add_co_u32 v44, vcc_lo, s12, v44
	v_add_co_ci_u32_e32 v45, vcc_lo, s13, v45, vcc_lo
	v_cmp_nlt_f32_e32 vcc_lo, 0x42b17218, v50
	v_cndmask_b32_e32 v4, 0x7f800000, v4, vcc_lo
	s_waitcnt lgkmcnt(0)
	v_add_co_u32 v46, vcc_lo, s4, v46
	v_add_co_ci_u32_e32 v47, vcc_lo, s5, v47, vcc_lo
	s_delay_alu instid0(VALU_DEP_3)
	v_add_f32_e32 v11, v11, v4
	v_add_co_u32 v48, vcc_lo, s6, v48
	v_add_co_ci_u32_e32 v49, vcc_lo, s7, v49, vcc_lo
	global_store_b32 v[44:45], v4, off
	global_store_b32 v[46:47], v2, off
	;; [unrolled: 1-line block ×3, first 2 shown]
.LBB173_14:                             ;   in Loop: Header=BB173_12 Depth=1
	s_or_b32 exec_lo, exec_lo, s1
	s_delay_alu instid0(VALU_DEP_1) | instskip(SKIP_1) | instid1(VALU_DEP_1)
	v_ashrrev_i32_e32 v4, 31, v43
	s_mov_b32 s0, exec_lo
	v_lshrrev_b32_e32 v2, 28, v4
	s_delay_alu instid0(VALU_DEP_1) | instskip(NEXT) | instid1(VALU_DEP_1)
	v_add_nc_u32_e32 v2, v43, v2
	v_ashrrev_i32_e32 v2, 4, v2
	s_delay_alu instid0(VALU_DEP_1) | instskip(NEXT) | instid1(VALU_DEP_1)
	v_lshrrev_b32_e32 v6, 30, v2
	v_add_nc_u32_e32 v6, v2, v6
	s_delay_alu instid0(VALU_DEP_1) | instskip(NEXT) | instid1(VALU_DEP_1)
	v_and_b32_e32 v6, -4, v6
	v_sub_nc_u32_e32 v6, v2, v6
	s_delay_alu instid0(VALU_DEP_1)
	v_cmpx_eq_u32_e64 v7, v6
	s_cbranch_execz .LBB173_11
; %bb.15:                               ;   in Loop: Header=BB173_12 Depth=1
	v_lshrrev_b32_e32 v4, 26, v4
	v_lshlrev_b32_e32 v2, 4, v2
	s_delay_alu instid0(VALU_DEP_2) | instskip(NEXT) | instid1(VALU_DEP_2)
	v_add_nc_u32_e32 v4, v43, v4
	v_sub_nc_u32_e32 v2, v43, v2
	s_delay_alu instid0(VALU_DEP_2) | instskip(NEXT) | instid1(VALU_DEP_1)
	v_ashrrev_i32_e32 v4, 6, v4
	v_lshl_add_u32 v2, v4, 4, v2
	s_delay_alu instid0(VALU_DEP_1)
	v_cmp_ne_u32_e32 vcc_lo, 15, v2
	v_cndmask_b32_e32 v8, 0xff800000, v8, vcc_lo
	v_cmp_ne_u32_e32 vcc_lo, 14, v2
	v_cndmask_b32_e32 v9, 0xff800000, v9, vcc_lo
	;; [unrolled: 2-line block ×16, first 2 shown]
	s_branch .LBB173_11
.LBB173_16:
	v_sub_f32_e32 v4, v24, v13
	v_sub_f32_e32 v1, v26, v13
	;; [unrolled: 1-line block ×5, first 2 shown]
	s_delay_alu instid0(VALU_DEP_4)
	v_dual_mul_f32 v26, 0x3fb8aa3b, v4 :: v_dual_mul_f32 v3, 0x3fb8aa3b, v1
	v_cmp_ngt_f32_e32 vcc_lo, 0xc2ce8ed0, v1
	v_sub_f32_e32 v8, v8, v13
	v_sub_f32_e32 v20, v20, v13
	;; [unrolled: 1-line block ×3, first 2 shown]
	v_rndne_f32_e32 v23, v3
	v_sub_f32_e32 v2, v25, v13
	v_fma_f32 v22, 0x3fb8aa3b, v1, -v3
	v_sub_f32_e32 v15, v15, v13
	v_sub_f32_e32 v9, v9, v13
	;; [unrolled: 1-line block ×3, first 2 shown]
	v_mul_f32_e32 v5, 0x3fb8aa3b, v2
	v_cvt_i32_f32_e32 v23, v23
	s_delay_alu instid0(VALU_DEP_2) | instskip(SKIP_1) | instid1(VALU_DEP_2)
	v_fma_f32 v24, 0x3fb8aa3b, v2, -v5
	v_rndne_f32_e32 v25, v5
	v_dual_sub_f32 v21, v21, v13 :: v_dual_fmac_f32 v24, 0x32a5705f, v2
	s_delay_alu instid0(VALU_DEP_2) | instskip(SKIP_2) | instid1(VALU_DEP_3)
	v_sub_f32_e32 v5, v5, v25
	v_fmac_f32_e32 v22, 0x32a5705f, v1
	v_cvt_i32_f32_e32 v25, v25
	v_dual_mul_f32 v28, 0x3fb8aa3b, v21 :: v_dual_add_f32 v5, v5, v24
	s_delay_alu instid0(VALU_DEP_3)
	v_add_f32_e32 v3, v3, v22
	v_fma_f32 v22, 0x3fb8aa3b, v4, -v26
	v_rndne_f32_e32 v24, v26
	v_mul_f32_e32 v27, 0x3fb8aa3b, v6
	v_exp_f32_e32 v5, v5
	v_exp_f32_e32 v3, v3
	v_fmac_f32_e32 v22, 0x32a5705f, v4
	v_sub_f32_e32 v26, v26, v24
	v_fma_f32 v29, 0x3fb8aa3b, v6, -v27
	v_rndne_f32_e32 v30, v27
	v_cvt_i32_f32_e32 v24, v24
	s_delay_alu instid0(TRANS32_DEP_2) | instskip(NEXT) | instid1(TRANS32_DEP_1)
	v_ldexp_f32 v5, v5, v25
	v_ldexp_f32 v3, v3, v23
	s_delay_alu instid0(VALU_DEP_1) | instskip(SKIP_1) | instid1(VALU_DEP_2)
	v_dual_add_f32 v22, v26, v22 :: v_dual_cndmask_b32 v3, 0, v3
	v_cmp_ngt_f32_e32 vcc_lo, 0xc2ce8ed0, v2
	v_exp_f32_e32 v22, v22
	v_cndmask_b32_e32 v5, 0, v5, vcc_lo
	v_cmp_nlt_f32_e32 vcc_lo, 0x42b17218, v1
	v_cndmask_b32_e32 v1, 0x7f800000, v3, vcc_lo
	v_cmp_nlt_f32_e32 vcc_lo, 0x42b17218, v2
	v_sub_f32_e32 v23, v27, v30
	v_fma_f32 v3, 0x3fb8aa3b, v21, -v28
	v_cndmask_b32_e32 v2, 0x7f800000, v5, vcc_lo
	s_delay_alu instid0(TRANS32_DEP_1) | instskip(SKIP_3) | instid1(VALU_DEP_4)
	v_ldexp_f32 v5, v22, v24
	v_cmp_ngt_f32_e32 vcc_lo, 0xc2ce8ed0, v4
	v_fmac_f32_e32 v29, 0x32a5705f, v6
	v_rndne_f32_e32 v22, v28
	v_dual_add_f32 v1, v1, v2 :: v_dual_cndmask_b32 v2, 0, v5
	v_cmp_nlt_f32_e32 vcc_lo, 0x42b17218, v4
	s_delay_alu instid0(VALU_DEP_4) | instskip(SKIP_3) | instid1(VALU_DEP_4)
	v_add_f32_e32 v23, v23, v29
	v_cvt_i32_f32_e32 v5, v30
	v_sub_f32_e32 v24, v28, v22
	v_cndmask_b32_e32 v2, 0x7f800000, v2, vcc_lo
	v_exp_f32_e32 v23, v23
	v_cmp_ngt_f32_e32 vcc_lo, 0xc2ce8ed0, v6
	s_delay_alu instid0(VALU_DEP_2) | instskip(SKIP_3) | instid1(VALU_DEP_2)
	v_add_f32_e32 v1, v1, v2
	s_waitcnt_depctr 0xfff
	v_ldexp_f32 v4, v23, v5
	v_mul_f32_e32 v5, 0x3fb8aa3b, v20
	v_cndmask_b32_e32 v2, 0, v4, vcc_lo
	v_cmp_nlt_f32_e32 vcc_lo, 0x42b17218, v6
	v_cvt_i32_f32_e32 v6, v22
	v_mul_f32_e32 v22, 0x3fb8aa3b, v19
	v_fma_f32 v4, 0x3fb8aa3b, v20, -v5
	v_fmac_f32_e32 v3, 0x32a5705f, v21
	v_cndmask_b32_e32 v2, 0x7f800000, v2, vcc_lo
	v_rndne_f32_e32 v23, v5
	v_cmp_ngt_f32_e32 vcc_lo, 0xc2ce8ed0, v21
	s_delay_alu instid0(VALU_DEP_4) | instskip(NEXT) | instid1(VALU_DEP_4)
	v_dual_fmac_f32 v4, 0x32a5705f, v20 :: v_dual_add_f32 v3, v24, v3
	v_add_f32_e32 v1, v1, v2
	s_delay_alu instid0(VALU_DEP_4) | instskip(NEXT) | instid1(VALU_DEP_3)
	v_sub_f32_e32 v5, v5, v23
	v_exp_f32_e32 v3, v3
	s_waitcnt_depctr 0xfff
	v_ldexp_f32 v2, v3, v6
	s_delay_alu instid0(VALU_DEP_1)
	v_cndmask_b32_e32 v2, 0, v2, vcc_lo
	v_cmp_nlt_f32_e32 vcc_lo, 0x42b17218, v21
	v_add_f32_e32 v3, v5, v4
	v_fma_f32 v4, 0x3fb8aa3b, v19, -v22
	v_rndne_f32_e32 v5, v22
	v_cvt_i32_f32_e32 v21, v23
	v_cndmask_b32_e32 v2, 0x7f800000, v2, vcc_lo
	v_exp_f32_e32 v3, v3
	v_fmac_f32_e32 v4, 0x32a5705f, v19
	v_sub_f32_e32 v6, v22, v5
	v_cmp_ngt_f32_e32 vcc_lo, 0xc2ce8ed0, v20
	v_add_f32_e32 v1, v1, v2
	v_cvt_i32_f32_e32 v5, v5
	s_delay_alu instid0(VALU_DEP_4) | instskip(SKIP_1) | instid1(TRANS32_DEP_1)
	v_add_f32_e32 v4, v6, v4
	v_mul_f32_e32 v6, 0x3fb8aa3b, v18
	v_ldexp_f32 v2, v3, v21
	s_delay_alu instid0(VALU_DEP_3)
	v_exp_f32_e32 v3, v4
	s_waitcnt_depctr 0xfff
	v_ldexp_f32 v3, v3, v5
	v_dual_sub_f32 v5, v17, v13 :: v_dual_cndmask_b32 v2, 0, v2
	v_cmp_nlt_f32_e32 vcc_lo, 0x42b17218, v20
	v_fma_f32 v4, 0x3fb8aa3b, v18, -v6
	v_rndne_f32_e32 v21, v6
	s_delay_alu instid0(VALU_DEP_4) | instskip(SKIP_1) | instid1(VALU_DEP_4)
	v_cndmask_b32_e32 v2, 0x7f800000, v2, vcc_lo
	v_cmp_ngt_f32_e32 vcc_lo, 0xc2ce8ed0, v19
	v_fmac_f32_e32 v4, 0x32a5705f, v18
	s_delay_alu instid0(VALU_DEP_3) | instskip(SKIP_2) | instid1(VALU_DEP_2)
	v_dual_sub_f32 v6, v6, v21 :: v_dual_add_f32 v1, v1, v2
	v_cndmask_b32_e32 v2, 0, v3, vcc_lo
	v_cmp_nlt_f32_e32 vcc_lo, 0x42b17218, v19
	v_cndmask_b32_e32 v2, 0x7f800000, v2, vcc_lo
	s_delay_alu instid0(VALU_DEP_4)
	v_add_f32_e32 v4, v6, v4
	v_sub_f32_e32 v6, v16, v13
	v_cvt_i32_f32_e32 v16, v21
	v_cmp_ngt_f32_e32 vcc_lo, 0xc2ce8ed0, v18
	v_add_f32_e32 v1, v1, v2
	v_exp_f32_e32 v3, v4
	v_mul_f32_e32 v20, 0x3fb8aa3b, v6
	s_waitcnt_depctr 0xfff
	v_ldexp_f32 v2, v3, v16
	v_rndne_f32_e32 v16, v20
	v_mul_f32_e32 v4, 0x3fb8aa3b, v5
	s_delay_alu instid0(VALU_DEP_3) | instskip(SKIP_1) | instid1(VALU_DEP_3)
	v_cndmask_b32_e32 v2, 0, v2, vcc_lo
	v_cmp_nlt_f32_e32 vcc_lo, 0x42b17218, v18
	v_fma_f32 v17, 0x3fb8aa3b, v5, -v4
	v_rndne_f32_e32 v19, v4
	s_delay_alu instid0(VALU_DEP_4) | instskip(NEXT) | instid1(VALU_DEP_3)
	v_cndmask_b32_e32 v2, 0x7f800000, v2, vcc_lo
	v_fmac_f32_e32 v17, 0x32a5705f, v5
	s_delay_alu instid0(VALU_DEP_3) | instskip(SKIP_1) | instid1(VALU_DEP_4)
	v_sub_f32_e32 v3, v4, v19
	v_fma_f32 v4, 0x3fb8aa3b, v6, -v20
	v_dual_sub_f32 v14, v14, v13 :: v_dual_add_f32 v1, v1, v2
	v_cvt_i32_f32_e32 v19, v19
	s_delay_alu instid0(VALU_DEP_3) | instskip(SKIP_1) | instid1(VALU_DEP_4)
	v_dual_add_f32 v3, v3, v17 :: v_dual_fmac_f32 v4, 0x32a5705f, v6
	v_dual_sub_f32 v17, v20, v16 :: v_dual_mul_f32 v20, 0x3fb8aa3b, v15
	v_mul_f32_e32 v21, 0x3fb8aa3b, v14
	s_delay_alu instid0(VALU_DEP_3) | instskip(SKIP_1) | instid1(VALU_DEP_3)
	v_exp_f32_e32 v3, v3
	v_cmp_ngt_f32_e32 vcc_lo, 0xc2ce8ed0, v5
	v_add_f32_e32 v4, v17, v4
	v_fma_f32 v17, 0x3fb8aa3b, v15, -v20
	v_rndne_f32_e32 v18, v20
	s_delay_alu instid0(VALU_DEP_1) | instskip(SKIP_4) | instid1(VALU_DEP_3)
	v_dual_fmac_f32 v17, 0x32a5705f, v15 :: v_dual_sub_f32 v20, v20, v18
	s_waitcnt_depctr 0xfff
	v_ldexp_f32 v2, v3, v19
	v_cvt_i32_f32_e32 v3, v16
	v_rndne_f32_e32 v19, v21
	v_cndmask_b32_e32 v2, 0, v2, vcc_lo
	v_cmp_nlt_f32_e32 vcc_lo, 0x42b17218, v5
	v_cvt_i32_f32_e32 v5, v18
	s_delay_alu instid0(VALU_DEP_3) | instskip(SKIP_3) | instid1(VALU_DEP_4)
	v_cndmask_b32_e32 v2, 0x7f800000, v2, vcc_lo
	v_add_f32_e32 v16, v20, v17
	v_fma_f32 v17, 0x3fb8aa3b, v14, -v21
	v_cmp_ngt_f32_e32 vcc_lo, 0xc2ce8ed0, v6
	v_add_f32_e32 v1, v1, v2
	s_delay_alu instid0(VALU_DEP_3)
	v_fmac_f32_e32 v17, 0x32a5705f, v14
	v_exp_f32_e32 v4, v4
	s_waitcnt_depctr 0xfff
	v_ldexp_f32 v3, v4, v3
	v_exp_f32_e32 v4, v16
	v_sub_f32_e32 v16, v21, v19
	s_delay_alu instid0(VALU_DEP_2)
	v_cndmask_b32_e32 v3, 0, v3, vcc_lo
	v_cmp_nlt_f32_e32 vcc_lo, 0x42b17218, v6
	s_waitcnt_depctr 0xfff
	v_ldexp_f32 v2, v4, v5
	v_cndmask_b32_e32 v3, 0x7f800000, v3, vcc_lo
	v_cmp_ngt_f32_e32 vcc_lo, 0xc2ce8ed0, v15
	v_sub_f32_e32 v5, v12, v13
	s_delay_alu instid0(VALU_DEP_3) | instskip(SKIP_2) | instid1(VALU_DEP_4)
	v_dual_add_f32 v1, v1, v3 :: v_dual_cndmask_b32 v2, 0, v2
	v_cmp_nlt_f32_e32 vcc_lo, 0x42b17218, v15
	v_cvt_i32_f32_e32 v3, v19
	v_mul_f32_e32 v6, 0x3fb8aa3b, v5
	s_delay_alu instid0(VALU_DEP_4) | instskip(SKIP_2) | instid1(VALU_DEP_3)
	v_cndmask_b32_e32 v2, 0x7f800000, v2, vcc_lo
	v_add_f32_e32 v16, v16, v17
	v_cmp_ngt_f32_e32 vcc_lo, 0xc2ce8ed0, v14
	v_add_f32_e32 v1, v1, v2
	s_delay_alu instid0(VALU_DEP_3) | instskip(SKIP_2) | instid1(VALU_DEP_2)
	v_exp_f32_e32 v4, v16
	v_fma_f32 v2, 0x3fb8aa3b, v5, -v6
	v_mul_f32_e32 v16, 0x3fb8aa3b, v8
	v_fmac_f32_e32 v2, 0x32a5705f, v5
	s_delay_alu instid0(VALU_DEP_2) | instskip(SKIP_3) | instid1(VALU_DEP_2)
	v_rndne_f32_e32 v17, v16
	s_waitcnt_depctr 0xfff
	v_ldexp_f32 v3, v4, v3
	v_rndne_f32_e32 v4, v6
	v_cndmask_b32_e32 v3, 0, v3, vcc_lo
	v_cmp_nlt_f32_e32 vcc_lo, 0x42b17218, v14
	s_delay_alu instid0(VALU_DEP_2) | instskip(SKIP_2) | instid1(VALU_DEP_3)
	v_cndmask_b32_e32 v3, 0x7f800000, v3, vcc_lo
	v_mul_f32_e32 v12, 0x3fb8aa3b, v10
	v_cmp_ngt_f32_e32 vcc_lo, 0xc2ce8ed0, v5
	v_dual_add_f32 v1, v1, v3 :: v_dual_sub_f32 v6, v6, v4
	s_delay_alu instid0(VALU_DEP_3) | instskip(SKIP_1) | instid1(VALU_DEP_3)
	v_fma_f32 v3, 0x3fb8aa3b, v10, -v12
	v_cvt_i32_f32_e32 v4, v4
	v_add_f32_e32 v2, v6, v2
	v_rndne_f32_e32 v6, v12
	s_delay_alu instid0(VALU_DEP_4) | instskip(NEXT) | instid1(VALU_DEP_3)
	v_fmac_f32_e32 v3, 0x32a5705f, v10
	v_exp_f32_e32 v2, v2
	s_delay_alu instid0(VALU_DEP_2) | instskip(SKIP_1) | instid1(VALU_DEP_2)
	v_sub_f32_e32 v12, v12, v6
	v_cvt_i32_f32_e32 v6, v6
	v_add_f32_e32 v3, v12, v3
	s_waitcnt_depctr 0xfff
	v_ldexp_f32 v2, v2, v4
	v_exp_f32_e32 v3, v3
	s_delay_alu instid0(VALU_DEP_1)
	v_cndmask_b32_e32 v2, 0, v2, vcc_lo
	v_cmp_nlt_f32_e32 vcc_lo, 0x42b17218, v5
	s_waitcnt_depctr 0xfff
	v_ldexp_f32 v3, v3, v6
	v_cndmask_b32_e32 v2, 0x7f800000, v2, vcc_lo
	v_cmp_ngt_f32_e32 vcc_lo, 0xc2ce8ed0, v10
	s_delay_alu instid0(VALU_DEP_2) | instskip(NEXT) | instid1(VALU_DEP_4)
	v_add_f32_e32 v1, v1, v2
	v_cndmask_b32_e32 v3, 0, v3, vcc_lo
	v_cmp_nlt_f32_e32 vcc_lo, 0x42b17218, v10
	s_delay_alu instid0(VALU_DEP_2) | instskip(SKIP_1) | instid1(VALU_DEP_2)
	v_cndmask_b32_e32 v3, 0x7f800000, v3, vcc_lo
	v_cmp_ngt_f32_e32 vcc_lo, 0xc2ce8ed0, v9
	v_dual_add_f32 v1, v1, v3 :: v_dual_mul_f32 v14, 0x3fb8aa3b, v9
	s_delay_alu instid0(VALU_DEP_1) | instskip(SKIP_1) | instid1(VALU_DEP_1)
	v_fma_f32 v13, 0x3fb8aa3b, v9, -v14
	v_rndne_f32_e32 v15, v14
	v_dual_fmac_f32 v13, 0x32a5705f, v9 :: v_dual_sub_f32 v12, v14, v15
	v_fma_f32 v14, 0x3fb8aa3b, v8, -v16
	v_cvt_i32_f32_e32 v5, v15
	s_delay_alu instid0(VALU_DEP_3) | instskip(NEXT) | instid1(VALU_DEP_3)
	v_add_f32_e32 v4, v12, v13
	v_fmac_f32_e32 v14, 0x32a5705f, v8
	v_sub_f32_e32 v12, v16, v17
	s_delay_alu instid0(VALU_DEP_3) | instskip(NEXT) | instid1(VALU_DEP_1)
	v_exp_f32_e32 v4, v4
	v_add_f32_e32 v12, v12, v14
	s_delay_alu instid0(VALU_DEP_1) | instskip(SKIP_3) | instid1(VALU_DEP_2)
	v_exp_f32_e32 v6, v12
	s_waitcnt_depctr 0xfff
	v_ldexp_f32 v2, v4, v5
	v_cvt_i32_f32_e32 v4, v17
	v_cndmask_b32_e32 v2, 0, v2, vcc_lo
	v_cmp_nlt_f32_e32 vcc_lo, 0x42b17218, v9
	s_delay_alu instid0(VALU_DEP_3) | instskip(NEXT) | instid1(VALU_DEP_3)
	v_ldexp_f32 v4, v6, v4
	v_cndmask_b32_e32 v2, 0x7f800000, v2, vcc_lo
	v_cmp_ngt_f32_e32 vcc_lo, 0xc2ce8ed0, v8
	s_delay_alu instid0(VALU_DEP_2) | instskip(NEXT) | instid1(VALU_DEP_4)
	v_add_f32_e32 v1, v1, v2
	v_cndmask_b32_e32 v3, 0, v4, vcc_lo
	v_cmp_nlt_f32_e32 vcc_lo, 0x42b17218, v8
	s_delay_alu instid0(VALU_DEP_2) | instskip(SKIP_1) | instid1(VALU_DEP_2)
	v_cndmask_b32_e32 v2, 0x7f800000, v3, vcc_lo
	v_cmp_eq_u32_e32 vcc_lo, 0, v7
	v_add_f32_e32 v1, v1, v2
	s_delay_alu instid0(VALU_DEP_1) | instskip(NEXT) | instid1(VALU_DEP_1)
	v_mov_b32_dpp v2, v1 quad_perm:[1,0,3,2] row_mask:0xf bank_mask:0xf
	v_add_f32_e32 v1, v1, v2
	s_delay_alu instid0(VALU_DEP_1)
	v_mov_b32_dpp v2, v1 quad_perm:[2,3,0,1] row_mask:0xf bank_mask:0xf
	s_and_b32 exec_lo, exec_lo, vcc_lo
	s_cbranch_execz .LBB173_21
; %bb.17:
	s_delay_alu instid0(VALU_DEP_1) | instskip(NEXT) | instid1(VALU_DEP_1)
	v_add_f32_e32 v1, v1, v2
	v_add_f32_e32 v2, v11, v1
	s_delay_alu instid0(VALU_DEP_1)
	v_cmp_neq_f32_e32 vcc_lo, 0, v2
	s_and_b32 exec_lo, exec_lo, vcc_lo
	s_cbranch_execz .LBB173_21
; %bb.18:
	s_and_not1_b32 vcc_lo, exec_lo, s3
	s_cbranch_vccnz .LBB173_21
; %bb.19:
	v_div_scale_f32 v1, null, v2, v2, 1.0
	v_div_scale_f32 v5, vcc_lo, 1.0, v2, 1.0
	s_delay_alu instid0(VALU_DEP_2) | instskip(SKIP_2) | instid1(VALU_DEP_1)
	v_rcp_f32_e32 v3, v1
	s_waitcnt_depctr 0xfff
	v_fma_f32 v4, -v1, v3, 1.0
	v_fmac_f32_e32 v3, v4, v3
	s_delay_alu instid0(VALU_DEP_1) | instskip(NEXT) | instid1(VALU_DEP_1)
	v_mul_f32_e32 v4, v5, v3
	v_fma_f32 v6, -v1, v4, v5
	s_delay_alu instid0(VALU_DEP_1) | instskip(NEXT) | instid1(VALU_DEP_1)
	v_fmac_f32_e32 v4, v6, v3
	v_fma_f32 v5, -v1, v4, v5
	v_ashrrev_i32_e32 v1, 31, v0
	s_delay_alu instid0(VALU_DEP_2) | instskip(NEXT) | instid1(VALU_DEP_2)
	v_div_fmas_f32 v3, v5, v3, v4
	v_lshlrev_b64 v[0:1], 2, v[0:1]
	s_delay_alu instid0(VALU_DEP_2) | instskip(NEXT) | instid1(VALU_DEP_2)
	v_div_fixup_f32 v2, v3, v2, 1.0
	v_add_co_u32 v0, vcc_lo, s12, v0
	s_delay_alu instid0(VALU_DEP_3)
	v_add_co_ci_u32_e32 v1, vcc_lo, s13, v1, vcc_lo
.LBB173_20:                             ; =>This Inner Loop Header: Depth=1
	global_load_b32 v3, v[0:1], off
	s_add_i32 s8, s8, -1
	s_delay_alu instid0(SALU_CYCLE_1)
	s_cmp_lg_u32 s8, 0
	s_waitcnt vmcnt(0)
	v_mul_f32_e32 v3, v2, v3
	global_store_b32 v[0:1], v3, off
	v_add_co_u32 v0, vcc_lo, v0, 4
	v_add_co_ci_u32_e32 v1, vcc_lo, 0, v1, vcc_lo
	s_cbranch_scc1 .LBB173_20
.LBB173_21:
	s_nop 0
	s_sendmsg sendmsg(MSG_DEALLOC_VGPRS)
	s_endpgm
	.section	.rodata,"a",@progbits
	.p2align	6, 0x0
	.amdhsa_kernel _ZN4vllm3moe17topkGatingSoftmaxIDF16_Li16ELi64ELi8ELi32ELb0ELi4ELNS0_23SharedExpertScoringFuncE1EEEvPKT_PKbPfiPiS9_iiiiii
		.amdhsa_group_segment_fixed_size 0
		.amdhsa_private_segment_fixed_size 0
		.amdhsa_kernarg_size 72
		.amdhsa_user_sgpr_count 15
		.amdhsa_user_sgpr_dispatch_ptr 0
		.amdhsa_user_sgpr_queue_ptr 0
		.amdhsa_user_sgpr_kernarg_segment_ptr 1
		.amdhsa_user_sgpr_dispatch_id 0
		.amdhsa_user_sgpr_private_segment_size 0
		.amdhsa_wavefront_size32 1
		.amdhsa_uses_dynamic_stack 0
		.amdhsa_enable_private_segment 0
		.amdhsa_system_sgpr_workgroup_id_x 1
		.amdhsa_system_sgpr_workgroup_id_y 0
		.amdhsa_system_sgpr_workgroup_id_z 0
		.amdhsa_system_sgpr_workgroup_info 0
		.amdhsa_system_vgpr_workitem_id 1
		.amdhsa_next_free_vgpr 53
		.amdhsa_next_free_sgpr 19
		.amdhsa_reserve_vcc 1
		.amdhsa_float_round_mode_32 0
		.amdhsa_float_round_mode_16_64 0
		.amdhsa_float_denorm_mode_32 3
		.amdhsa_float_denorm_mode_16_64 3
		.amdhsa_dx10_clamp 1
		.amdhsa_ieee_mode 1
		.amdhsa_fp16_overflow 0
		.amdhsa_workgroup_processor_mode 1
		.amdhsa_memory_ordered 1
		.amdhsa_forward_progress 0
		.amdhsa_shared_vgpr_count 0
		.amdhsa_exception_fp_ieee_invalid_op 0
		.amdhsa_exception_fp_denorm_src 0
		.amdhsa_exception_fp_ieee_div_zero 0
		.amdhsa_exception_fp_ieee_overflow 0
		.amdhsa_exception_fp_ieee_underflow 0
		.amdhsa_exception_fp_ieee_inexact 0
		.amdhsa_exception_int_div_zero 0
	.end_amdhsa_kernel
	.section	.text._ZN4vllm3moe17topkGatingSoftmaxIDF16_Li16ELi64ELi8ELi32ELb0ELi4ELNS0_23SharedExpertScoringFuncE1EEEvPKT_PKbPfiPiS9_iiiiii,"axG",@progbits,_ZN4vllm3moe17topkGatingSoftmaxIDF16_Li16ELi64ELi8ELi32ELb0ELi4ELNS0_23SharedExpertScoringFuncE1EEEvPKT_PKbPfiPiS9_iiiiii,comdat
.Lfunc_end173:
	.size	_ZN4vllm3moe17topkGatingSoftmaxIDF16_Li16ELi64ELi8ELi32ELb0ELi4ELNS0_23SharedExpertScoringFuncE1EEEvPKT_PKbPfiPiS9_iiiiii, .Lfunc_end173-_ZN4vllm3moe17topkGatingSoftmaxIDF16_Li16ELi64ELi8ELi32ELb0ELi4ELNS0_23SharedExpertScoringFuncE1EEEvPKT_PKbPfiPiS9_iiiiii
                                        ; -- End function
	.section	.AMDGPU.csdata,"",@progbits
; Kernel info:
; codeLenInByte = 4696
; NumSgprs: 21
; NumVgprs: 53
; ScratchSize: 0
; MemoryBound: 0
; FloatMode: 240
; IeeeMode: 1
; LDSByteSize: 0 bytes/workgroup (compile time only)
; SGPRBlocks: 2
; VGPRBlocks: 6
; NumSGPRsForWavesPerEU: 21
; NumVGPRsForWavesPerEU: 53
; Occupancy: 16
; WaveLimiterHint : 0
; COMPUTE_PGM_RSRC2:SCRATCH_EN: 0
; COMPUTE_PGM_RSRC2:USER_SGPR: 15
; COMPUTE_PGM_RSRC2:TRAP_HANDLER: 0
; COMPUTE_PGM_RSRC2:TGID_X_EN: 1
; COMPUTE_PGM_RSRC2:TGID_Y_EN: 0
; COMPUTE_PGM_RSRC2:TGID_Z_EN: 0
; COMPUTE_PGM_RSRC2:TIDIG_COMP_CNT: 1
	.section	.text._ZN4vllm3moe17topkGatingSoftmaxIDF16_Li16ELi64ELi8ELi32ELb1ELi8ELNS0_23SharedExpertScoringFuncE1EEEvPKT_PKbPfiPiS9_iiiiii,"axG",@progbits,_ZN4vllm3moe17topkGatingSoftmaxIDF16_Li16ELi64ELi8ELi32ELb1ELi8ELNS0_23SharedExpertScoringFuncE1EEEvPKT_PKbPfiPiS9_iiiiii,comdat
	.protected	_ZN4vllm3moe17topkGatingSoftmaxIDF16_Li16ELi64ELi8ELi32ELb1ELi8ELNS0_23SharedExpertScoringFuncE1EEEvPKT_PKbPfiPiS9_iiiiii ; -- Begin function _ZN4vllm3moe17topkGatingSoftmaxIDF16_Li16ELi64ELi8ELi32ELb1ELi8ELNS0_23SharedExpertScoringFuncE1EEEvPKT_PKbPfiPiS9_iiiiii
	.globl	_ZN4vllm3moe17topkGatingSoftmaxIDF16_Li16ELi64ELi8ELi32ELb1ELi8ELNS0_23SharedExpertScoringFuncE1EEEvPKT_PKbPfiPiS9_iiiiii
	.p2align	8
	.type	_ZN4vllm3moe17topkGatingSoftmaxIDF16_Li16ELi64ELi8ELi32ELb1ELi8ELNS0_23SharedExpertScoringFuncE1EEEvPKT_PKbPfiPiS9_iiiiii,@function
_ZN4vllm3moe17topkGatingSoftmaxIDF16_Li16ELi64ELi8ELi32ELb1ELi8ELNS0_23SharedExpertScoringFuncE1EEEvPKT_PKbPfiPiS9_iiiiii: ; @_ZN4vllm3moe17topkGatingSoftmaxIDF16_Li16ELi64ELi8ELi32ELb1ELi8ELNS0_23SharedExpertScoringFuncE1EEEvPKT_PKbPfiPiS9_iiiiii
; %bb.0:
	s_load_b32 s16, s[0:1], 0x18
	v_bfe_u32 v1, v0, 10, 10
	v_and_b32_e32 v0, 0x3ff, v0
	s_lshl_b32 s18, s15, 6
	s_mov_b32 s2, exec_lo
	s_delay_alu instid0(VALU_DEP_2) | instskip(NEXT) | instid1(VALU_DEP_2)
	v_lshlrev_b32_e32 v28, 3, v1
	v_lshrrev_b32_e32 v30, 2, v0
	s_delay_alu instid0(VALU_DEP_1) | instskip(SKIP_1) | instid1(VALU_DEP_1)
	v_add3_u32 v45, s18, v28, v30
	s_waitcnt lgkmcnt(0)
	v_cmpx_gt_i32_e64 s16, v45
	s_cbranch_execz .LBB174_23
; %bb.1:
	s_clause 0x1
	s_load_b128 s[8:11], s[0:1], 0x0
	s_load_b64 s[12:13], s[0:1], 0x10
	s_waitcnt lgkmcnt(0)
	s_cmp_eq_u64 s[10:11], 0
	s_cbranch_scc1 .LBB174_3
; %bb.2:
	v_ashrrev_i32_e32 v2, 31, v45
	v_add_co_u32 v1, vcc_lo, s10, v45
	s_delay_alu instid0(VALU_DEP_2) | instskip(SKIP_3) | instid1(VALU_DEP_1)
	v_add_co_ci_u32_e32 v2, vcc_lo, s11, v2, vcc_lo
	global_load_u8 v1, v[1:2], off
	s_waitcnt vmcnt(0)
	v_and_b32_e32 v1, 1, v1
	v_cmp_eq_u32_e32 vcc_lo, 1, v1
	s_xor_b32 s2, vcc_lo, -1
	s_delay_alu instid0(SALU_CYCLE_1)
	s_or_not1_b32 s17, s2, exec_lo
	s_branch .LBB174_4
.LBB174_3:
	s_mov_b32 s17, -1
.LBB174_4:
	s_clause 0x1
	s_load_b64 s[14:15], s[0:1], 0x40
	s_load_b128 s[4:7], s[0:1], 0x30
	v_and_b32_e32 v11, 3, v0
	s_mov_b32 s3, 0
	s_delay_alu instid0(VALU_DEP_1)
	v_lshlrev_b32_e32 v0, 5, v11
	v_lshlrev_b32_e32 v12, 1, v11
	v_mov_b32_e32 v14, v11
	s_waitcnt lgkmcnt(0)
	v_mul_lo_u32 v1, v45, s15
	v_mul_lo_u32 v8, v45, s7
	s_mov_b32 s7, 0x3fb8aa3b
	s_delay_alu instid0(VALU_DEP_2) | instskip(NEXT) | instid1(VALU_DEP_2)
	v_ashrrev_i32_e32 v2, 31, v1
	v_add_nc_u32_e32 v13, s4, v8
	s_delay_alu instid0(VALU_DEP_2) | instskip(NEXT) | instid1(VALU_DEP_1)
	v_lshlrev_b64 v[9:10], 1, v[1:2]
	v_add_co_u32 v1, vcc_lo, s8, v9
	s_delay_alu instid0(VALU_DEP_2) | instskip(NEXT) | instid1(VALU_DEP_2)
	v_add_co_ci_u32_e32 v2, vcc_lo, s9, v10, vcc_lo
	v_add_co_u32 v4, vcc_lo, v1, v0
	s_delay_alu instid0(VALU_DEP_2)
	v_add_co_ci_u32_e32 v5, vcc_lo, 0, v2, vcc_lo
	v_add_co_u32 v9, vcc_lo, v9, v12
	v_add_co_ci_u32_e32 v10, vcc_lo, 0, v10, vcc_lo
	s_clause 0x1
	global_load_b128 v[0:3], v[4:5], off offset:16
	global_load_b128 v[4:7], v[4:5], off
	v_add_co_u32 v9, vcc_lo, v9, s8
	v_add_co_ci_u32_e32 v10, vcc_lo, s9, v10, vcc_lo
	v_lshlrev_b32_e32 v12, 4, v11
	s_delay_alu instid0(VALU_DEP_3) | instskip(NEXT) | instid1(VALU_DEP_3)
	v_add_co_u32 v9, vcc_lo, 0x80, v9
	v_add_co_ci_u32_e32 v10, vcc_lo, 0, v10, vcc_lo
	s_mov_b32 s8, 0x32a5705f
.LBB174_5:                              ; =>This Inner Loop Header: Depth=1
	global_load_u16 v15, v[9:10], off
	v_add_nc_u32_e32 v22, 4, v14
	v_add_co_u32 v9, s2, v9, 8
	s_delay_alu instid0(VALU_DEP_1) | instskip(SKIP_1) | instid1(VALU_DEP_1)
	v_add_co_ci_u32_e64 v10, s2, 0, v10, s2
	v_cmp_lt_u32_e64 s2, 3, v14
	s_or_b32 s3, s2, s3
	s_waitcnt vmcnt(0)
	v_cvt_f32_f16_e64 v16, -v15
	s_delay_alu instid0(VALU_DEP_1) | instskip(SKIP_1) | instid1(VALU_DEP_2)
	v_mul_f32_e32 v17, 0x3fb8aa3b, v16
	v_cmp_ngt_f32_e32 vcc_lo, 0xc2ce8ed0, v16
	v_rndne_f32_e32 v18, v17
	v_fma_mix_f32 v19, -v15, s7, -v17 op_sel_hi:[1,0,0]
	s_delay_alu instid0(VALU_DEP_2) | instskip(NEXT) | instid1(VALU_DEP_2)
	v_sub_f32_e32 v17, v17, v18
	v_fma_mix_f32 v15, -v15, s8, v19 op_sel_hi:[1,0,0]
	s_delay_alu instid0(VALU_DEP_1) | instskip(SKIP_1) | instid1(VALU_DEP_2)
	v_add_f32_e32 v15, v17, v15
	v_cvt_i32_f32_e32 v17, v18
	v_exp_f32_e32 v15, v15
	s_waitcnt_depctr 0xfff
	v_ldexp_f32 v15, v15, v17
	s_delay_alu instid0(VALU_DEP_1) | instskip(SKIP_1) | instid1(VALU_DEP_2)
	v_cndmask_b32_e32 v15, 0, v15, vcc_lo
	v_cmp_nlt_f32_e32 vcc_lo, 0x42b17218, v16
	v_cndmask_b32_e32 v15, 0x7f800000, v15, vcc_lo
	s_delay_alu instid0(VALU_DEP_1) | instskip(NEXT) | instid1(VALU_DEP_1)
	v_add_f32_e32 v18, 1.0, v15
	v_div_scale_f32 v17, null, v18, v18, 1.0
	v_div_scale_f32 v20, vcc_lo, 1.0, v18, 1.0
	s_delay_alu instid0(VALU_DEP_2) | instskip(SKIP_2) | instid1(VALU_DEP_1)
	v_rcp_f32_e32 v19, v17
	s_waitcnt_depctr 0xfff
	v_fma_f32 v15, -v17, v19, 1.0
	v_fmac_f32_e32 v19, v15, v19
	v_add_nc_u32_e32 v15, v13, v14
	s_delay_alu instid0(VALU_DEP_2) | instskip(NEXT) | instid1(VALU_DEP_1)
	v_mul_f32_e32 v21, v20, v19
	v_fma_f32 v16, -v17, v21, v20
	s_delay_alu instid0(VALU_DEP_1) | instskip(NEXT) | instid1(VALU_DEP_4)
	v_fmac_f32_e32 v21, v16, v19
	v_ashrrev_i32_e32 v16, 31, v15
	s_delay_alu instid0(VALU_DEP_2) | instskip(NEXT) | instid1(VALU_DEP_2)
	v_fma_f32 v17, -v17, v21, v20
	v_lshlrev_b64 v[14:15], 2, v[15:16]
	s_delay_alu instid0(VALU_DEP_2) | instskip(NEXT) | instid1(VALU_DEP_2)
	v_div_fmas_f32 v19, v17, v19, v21
	v_add_co_u32 v16, vcc_lo, s12, v14
	v_mov_b32_e32 v14, v22
	s_delay_alu instid0(VALU_DEP_4) | instskip(NEXT) | instid1(VALU_DEP_4)
	v_add_co_ci_u32_e32 v17, vcc_lo, s13, v15, vcc_lo
	v_div_fixup_f32 v15, v19, v18, 1.0
	global_store_b32 v[16:17], v15, off
	s_and_not1_b32 exec_lo, exec_lo, s3
	s_cbranch_execnz .LBB174_5
; %bb.6:
	s_or_b32 exec_lo, exec_lo, s3
	v_lshrrev_b32_e32 v9, 16, v4
	v_cvt_f32_f16_e32 v10, v4
	v_or_b32_e32 v13, 1, v12
	v_cvt_f32_f16_e32 v15, v5
	v_lshrrev_b32_e32 v5, 16, v5
	v_cvt_f32_f16_e32 v14, v9
	v_cmp_lt_f16_e32 vcc_lo, v4, v9
	v_or_b32_e32 v16, 2, v12
	v_or_b32_e32 v18, 3, v12
	v_cvt_f32_f16_e32 v17, v5
	v_cvt_f32_f16_e32 v19, v6
	v_dual_cndmask_b32 v4, v12, v13 :: v_dual_cndmask_b32 v9, v10, v14
	v_or_b32_e32 v21, 5, v12
	v_cvt_f32_f16_e32 v22, v7
	v_or_b32_e32 v24, 7, v12
	v_cvt_f32_f16_e32 v25, v0
	v_cmp_lt_f32_e32 vcc_lo, v9, v15
	v_lshrrev_b32_e32 v0, 16, v0
	v_or_b32_e32 v26, 8, v12
	v_cvt_f32_f16_e32 v31, v1
	v_lshrrev_b32_e32 v1, 16, v1
	v_dual_cndmask_b32 v4, v4, v16 :: v_dual_cndmask_b32 v5, v9, v15
	v_lshrrev_b32_e32 v9, 16, v6
	v_or_b32_e32 v6, 4, v12
	v_cvt_f32_f16_e32 v27, v0
	v_cvt_f32_f16_e32 v33, v1
	v_cmp_lt_f32_e32 vcc_lo, v5, v17
	v_cvt_f32_f16_e32 v20, v9
	v_lshrrev_b32_e32 v9, 16, v7
	v_or_b32_e32 v7, 6, v12
	v_cvt_f32_f16_e32 v35, v2
	v_dual_cndmask_b32 v4, v4, v18 :: v_dual_cndmask_b32 v5, v5, v17
	s_delay_alu instid0(VALU_DEP_4)
	v_cvt_f32_f16_e32 v23, v9
	v_lshrrev_b32_e32 v2, 16, v2
	v_or_b32_e32 v29, 9, v12
	v_or_b32_e32 v32, 10, v12
	v_cmp_lt_f32_e32 vcc_lo, v5, v19
	v_cvt_f32_f16_e32 v39, v3
	v_cvt_f32_f16_e32 v37, v2
	v_or_b32_e32 v34, 11, v12
	v_lshrrev_b32_e32 v2, 16, v3
	v_dual_cndmask_b32 v4, v4, v6 :: v_dual_cndmask_b32 v5, v5, v19
	v_or_b32_e32 v36, 12, v12
	v_or_b32_e32 v38, 13, v12
	s_delay_alu instid0(VALU_DEP_4) | instskip(SKIP_4) | instid1(VALU_DEP_1)
	v_cvt_f32_f16_e32 v41, v2
	v_or_b32_e32 v40, 14, v12
	v_cmp_lt_f32_e32 vcc_lo, v5, v20
	v_or_b32_e32 v42, 15, v12
	v_dual_cndmask_b32 v4, v4, v21 :: v_dual_cndmask_b32 v5, v5, v20
	v_cmp_lt_f32_e32 vcc_lo, v5, v22
	s_delay_alu instid0(VALU_DEP_2) | instskip(NEXT) | instid1(VALU_DEP_1)
	v_dual_cndmask_b32 v4, v4, v7 :: v_dual_cndmask_b32 v5, v5, v22
	v_cmp_lt_f32_e32 vcc_lo, v5, v23
	s_delay_alu instid0(VALU_DEP_2) | instskip(NEXT) | instid1(VALU_DEP_1)
	v_dual_cndmask_b32 v4, v4, v24 :: v_dual_cndmask_b32 v5, v5, v23
	v_cmp_lt_f32_e32 vcc_lo, v5, v25
	s_delay_alu instid0(VALU_DEP_2) | instskip(SKIP_1) | instid1(VALU_DEP_1)
	v_cndmask_b32_e32 v0, v4, v26, vcc_lo
	v_cndmask_b32_e32 v4, v5, v25, vcc_lo
	v_cmp_lt_f32_e32 vcc_lo, v4, v27
	v_cndmask_b32_e32 v4, v4, v27, vcc_lo
	s_delay_alu instid0(VALU_DEP_4) | instskip(NEXT) | instid1(VALU_DEP_2)
	v_cndmask_b32_e32 v0, v0, v29, vcc_lo
	v_cmp_lt_f32_e32 vcc_lo, v4, v31
	v_cndmask_b32_e32 v1, v4, v31, vcc_lo
	s_delay_alu instid0(VALU_DEP_3) | instskip(NEXT) | instid1(VALU_DEP_2)
	v_cndmask_b32_e32 v0, v0, v32, vcc_lo
	v_cmp_lt_f32_e32 vcc_lo, v1, v33
	s_delay_alu instid0(VALU_DEP_2) | instskip(NEXT) | instid1(VALU_DEP_1)
	v_dual_cndmask_b32 v1, v1, v33 :: v_dual_cndmask_b32 v0, v0, v34
	v_cmp_lt_f32_e32 vcc_lo, v1, v35
	s_delay_alu instid0(VALU_DEP_2) | instskip(NEXT) | instid1(VALU_DEP_1)
	v_dual_cndmask_b32 v1, v1, v35 :: v_dual_cndmask_b32 v0, v0, v36
	v_cmp_lt_f32_e32 vcc_lo, v1, v37
	s_delay_alu instid0(VALU_DEP_2) | instskip(NEXT) | instid1(VALU_DEP_1)
	v_dual_cndmask_b32 v1, v1, v37 :: v_dual_cndmask_b32 v0, v0, v38
	v_cmp_lt_f32_e32 vcc_lo, v1, v39
	s_delay_alu instid0(VALU_DEP_2) | instskip(NEXT) | instid1(VALU_DEP_1)
	v_dual_cndmask_b32 v1, v1, v39 :: v_dual_cndmask_b32 v0, v0, v40
	v_cmp_lt_f32_e32 vcc_lo, v1, v41
	s_delay_alu instid0(VALU_DEP_2) | instskip(NEXT) | instid1(VALU_DEP_1)
	v_dual_cndmask_b32 v1, v1, v41 :: v_dual_cndmask_b32 v0, v0, v42
	v_mov_b32_dpp v2, v1 quad_perm:[1,0,3,2] row_mask:0xf bank_mask:0xf
	s_delay_alu instid0(VALU_DEP_2) | instskip(NEXT) | instid1(VALU_DEP_2)
	v_mov_b32_dpp v3, v0 quad_perm:[1,0,3,2] row_mask:0xf bank_mask:0xf
	v_cmp_eq_f32_e64 s2, v1, v2
	s_delay_alu instid0(VALU_DEP_2) | instskip(SKIP_1) | instid1(VALU_DEP_3)
	v_cmp_lt_i32_e32 vcc_lo, v3, v0
	v_cmp_lt_f32_e64 s3, v1, v2
	s_and_b32 s2, s2, vcc_lo
	s_delay_alu instid0(VALU_DEP_1) | instid1(SALU_CYCLE_1)
	s_or_b32 vcc_lo, s3, s2
	s_cmp_gt_i32 s4, 0
	v_cndmask_b32_e32 v2, v1, v2, vcc_lo
	v_cndmask_b32_e32 v0, v0, v3, vcc_lo
	v_cmp_eq_u32_e64 s2, 0, v11
	s_cselect_b32 s3, -1, 0
	s_delay_alu instid0(VALU_DEP_3) | instskip(NEXT) | instid1(VALU_DEP_3)
	v_mov_b32_dpp v4, v2 quad_perm:[2,3,0,1] row_mask:0xf bank_mask:0xf
	v_mov_b32_dpp v5, v0 quad_perm:[2,3,0,1] row_mask:0xf bank_mask:0xf
	s_and_b32 vcc_lo, exec_lo, s3
	s_cbranch_vccz .LBB174_18
; %bb.7:
	s_load_b128 s[8:11], s[0:1], 0x20
	v_cmp_eq_f32_e32 vcc_lo, v2, v4
	v_cmp_lt_i32_e64 s0, v5, v0
	v_cmp_lt_f32_e64 s1, v2, v4
	v_mul_lo_u32 v1, v45, s14
	v_mul_lo_u32 v3, v45, s4
	v_mov_b32_e32 v44, 0
	s_and_b32 s0, vcc_lo, s0
	s_delay_alu instid0(SALU_CYCLE_1)
	s_or_b32 vcc_lo, s1, s0
	v_dual_cndmask_b32 v0, v0, v5 :: v_dual_cndmask_b32 v43, v2, v4
	s_and_saveexec_b32 s1, s2
	s_cbranch_execz .LBB174_9
; %bb.8:
	s_delay_alu instid0(VALU_DEP_1)
	v_sub_f32_e32 v44, v43, v43
	v_ashrrev_i32_e32 v9, 31, v8
	v_cmp_le_i32_e32 vcc_lo, s5, v0
	v_cmp_gt_i32_e64 s0, s6, v0
	v_subrev_nc_u32_e32 v50, s5, v0
	v_mul_f32_e32 v2, 0x3fb8aa3b, v44
	v_lshlrev_b64 v[46:47], 2, v[8:9]
	s_delay_alu instid0(VALU_DEP_4) | instskip(NEXT) | instid1(SALU_CYCLE_1)
	s_and_b32 s0, vcc_lo, s0
	s_and_b32 vcc_lo, s17, s0
	s_delay_alu instid0(VALU_DEP_2) | instskip(SKIP_1) | instid1(VALU_DEP_2)
	v_rndne_f32_e32 v5, v2
	v_fma_f32 v4, 0x3fb8aa3b, v44, -v2
	v_sub_f32_e32 v2, v2, v5
	s_delay_alu instid0(VALU_DEP_2) | instskip(SKIP_1) | instid1(VALU_DEP_2)
	v_fmamk_f32 v4, v44, 0x32a5705f, v4
	v_cvt_i32_f32_e32 v9, v5
	v_add_f32_e32 v2, v2, v4
	v_ashrrev_i32_e32 v4, 31, v3
	s_delay_alu instid0(VALU_DEP_2) | instskip(SKIP_1) | instid1(VALU_DEP_2)
	v_exp_f32_e32 v51, v2
	v_ashrrev_i32_e32 v2, 31, v1
	v_lshlrev_b64 v[4:5], 2, v[3:4]
	s_delay_alu instid0(VALU_DEP_2) | instskip(SKIP_3) | instid1(TRANS32_DEP_1)
	v_lshlrev_b64 v[48:49], 2, v[1:2]
	v_cndmask_b32_e32 v2, 64, v50, vcc_lo
	v_add_co_u32 v46, vcc_lo, s12, v46
	v_add_co_ci_u32_e32 v47, vcc_lo, s13, v47, vcc_lo
	v_ldexp_f32 v9, v51, v9
	v_cmp_ngt_f32_e32 vcc_lo, 0xc2ce8ed0, v44
	s_delay_alu instid0(VALU_DEP_2)
	v_cndmask_b32_e32 v9, 0, v9, vcc_lo
	s_waitcnt lgkmcnt(0)
	v_add_co_u32 v48, vcc_lo, s8, v48
	v_add_co_ci_u32_e32 v49, vcc_lo, s9, v49, vcc_lo
	v_cmp_nlt_f32_e32 vcc_lo, 0x42b17218, v44
	v_cndmask_b32_e32 v44, 0x7f800000, v9, vcc_lo
	v_add_co_u32 v4, vcc_lo, s10, v4
	v_add_co_ci_u32_e32 v5, vcc_lo, s11, v5, vcc_lo
	global_store_b32 v[48:49], v2, off
	global_store_b32 v[46:47], v44, off
	;; [unrolled: 1-line block ×3, first 2 shown]
.LBB174_9:
	s_or_b32 exec_lo, exec_lo, s1
	s_delay_alu instid0(VALU_DEP_1) | instskip(SKIP_1) | instid1(VALU_DEP_1)
	v_ashrrev_i32_e32 v4, 31, v0
	s_mov_b32 s0, exec_lo
	v_lshrrev_b32_e32 v2, 28, v4
	s_delay_alu instid0(VALU_DEP_1) | instskip(NEXT) | instid1(VALU_DEP_1)
	v_add_nc_u32_e32 v2, v0, v2
	v_ashrrev_i32_e32 v2, 4, v2
	s_delay_alu instid0(VALU_DEP_1) | instskip(NEXT) | instid1(VALU_DEP_1)
	v_lshrrev_b32_e32 v5, 30, v2
	v_add_nc_u32_e32 v5, v2, v5
	s_delay_alu instid0(VALU_DEP_1) | instskip(NEXT) | instid1(VALU_DEP_1)
	v_and_b32_e32 v5, -4, v5
	v_sub_nc_u32_e32 v5, v2, v5
	s_delay_alu instid0(VALU_DEP_1)
	v_cmpx_eq_u32_e64 v11, v5
	s_cbranch_execz .LBB174_11
; %bb.10:
	v_lshrrev_b32_e32 v4, 26, v4
	v_lshlrev_b32_e32 v2, 4, v2
	s_delay_alu instid0(VALU_DEP_2) | instskip(NEXT) | instid1(VALU_DEP_2)
	v_add_nc_u32_e32 v4, v0, v4
	v_sub_nc_u32_e32 v0, v0, v2
	s_delay_alu instid0(VALU_DEP_2) | instskip(NEXT) | instid1(VALU_DEP_1)
	v_ashrrev_i32_e32 v2, 6, v4
	v_lshl_add_u32 v0, v2, 4, v0
	s_delay_alu instid0(VALU_DEP_1)
	v_cmp_ne_u32_e32 vcc_lo, 15, v0
	v_cndmask_b32_e32 v41, 0xff800000, v41, vcc_lo
	v_cmp_ne_u32_e32 vcc_lo, 14, v0
	v_cndmask_b32_e32 v39, 0xff800000, v39, vcc_lo
	;; [unrolled: 2-line block ×16, first 2 shown]
.LBB174_11:
	s_or_b32 exec_lo, exec_lo, s0
	s_cmp_eq_u32 s4, 1
	s_cbranch_scc1 .LBB174_19
; %bb.12:
	s_add_i32 s18, s18, s16
	v_add_nc_u32_e32 v0, 1, v3
	v_add3_u32 v9, s18, v30, v28
	v_add_nc_u32_e32 v2, 1, v1
	v_add_nc_u32_e32 v4, 1, v8
	s_add_i32 s7, s4, -1
	s_branch .LBB174_14
.LBB174_13:                             ;   in Loop: Header=BB174_14 Depth=1
	s_or_b32 exec_lo, exec_lo, s0
	v_add_nc_u32_e32 v9, s16, v9
	v_add_nc_u32_e32 v0, 1, v0
	;; [unrolled: 1-line block ×4, first 2 shown]
	s_add_i32 s7, s7, -1
	s_delay_alu instid0(SALU_CYCLE_1)
	s_cmp_eq_u32 s7, 0
	s_cbranch_scc1 .LBB174_19
.LBB174_14:                             ; =>This Inner Loop Header: Depth=1
	v_cmp_gt_f32_e32 vcc_lo, v14, v10
	v_cndmask_b32_e32 v3, v10, v14, vcc_lo
	v_cndmask_b32_e32 v1, v12, v13, vcc_lo
	s_delay_alu instid0(VALU_DEP_2) | instskip(SKIP_1) | instid1(VALU_DEP_3)
	v_cmp_gt_f32_e32 vcc_lo, v15, v3
	v_cndmask_b32_e32 v3, v3, v15, vcc_lo
	v_cndmask_b32_e32 v1, v1, v16, vcc_lo
	s_delay_alu instid0(VALU_DEP_2) | instskip(SKIP_1) | instid1(VALU_DEP_3)
	;; [unrolled: 4-line block ×13, first 2 shown]
	v_cmp_gt_f32_e32 vcc_lo, v39, v3
	v_cndmask_b32_e32 v3, v3, v39, vcc_lo
	v_cndmask_b32_e32 v1, v1, v40, vcc_lo
	s_delay_alu instid0(VALU_DEP_2) | instskip(NEXT) | instid1(VALU_DEP_2)
	v_cmp_gt_f32_e32 vcc_lo, v41, v3
	v_cndmask_b32_e32 v5, v1, v42, vcc_lo
	v_cndmask_b32_e32 v1, v3, v41, vcc_lo
	s_delay_alu instid0(VALU_DEP_2) | instskip(NEXT) | instid1(VALU_DEP_2)
	v_mov_b32_dpp v3, v5 quad_perm:[1,0,3,2] row_mask:0xf bank_mask:0xf
	v_mov_b32_dpp v28, v1 quad_perm:[1,0,3,2] row_mask:0xf bank_mask:0xf
	s_delay_alu instid0(VALU_DEP_2) | instskip(NEXT) | instid1(VALU_DEP_2)
	v_cmp_lt_i32_e32 vcc_lo, v3, v5
	v_cmp_eq_f32_e64 s0, v1, v28
	v_cmp_lt_f32_e64 s1, v1, v28
	s_delay_alu instid0(VALU_DEP_2)
	s_and_b32 s0, s0, vcc_lo
	s_delay_alu instid0(VALU_DEP_1) | instid1(SALU_CYCLE_1)
	s_or_b32 vcc_lo, s1, s0
	v_cndmask_b32_e32 v1, v1, v28, vcc_lo
	v_cndmask_b32_e32 v5, v5, v3, vcc_lo
	s_delay_alu instid0(VALU_DEP_2) | instskip(NEXT) | instid1(VALU_DEP_2)
	v_mov_b32_dpp v3, v1 quad_perm:[2,3,0,1] row_mask:0xf bank_mask:0xf
	v_mov_b32_dpp v28, v5 quad_perm:[2,3,0,1] row_mask:0xf bank_mask:0xf
	s_delay_alu instid0(VALU_DEP_2) | instskip(NEXT) | instid1(VALU_DEP_2)
	v_cmp_eq_f32_e32 vcc_lo, v1, v3
	v_cmp_lt_i32_e64 s0, v28, v5
	v_cmp_lt_f32_e64 s1, v1, v3
	s_delay_alu instid0(VALU_DEP_2)
	s_and_b32 s0, vcc_lo, s0
	s_delay_alu instid0(VALU_DEP_1) | instid1(SALU_CYCLE_1)
	s_or_b32 vcc_lo, s1, s0
	v_cndmask_b32_e32 v28, v5, v28, vcc_lo
	s_and_saveexec_b32 s1, s2
	s_cbranch_execz .LBB174_16
; %bb.15:                               ;   in Loop: Header=BB174_14 Depth=1
	v_cndmask_b32_e32 v1, v1, v3, vcc_lo
	s_delay_alu instid0(VALU_DEP_2) | instskip(SKIP_4) | instid1(VALU_DEP_4)
	v_cmp_le_i32_e32 vcc_lo, s5, v28
	v_cmp_gt_i32_e64 s0, s6, v28
	v_ashrrev_i32_e32 v5, 31, v4
	v_subrev_nc_u32_e32 v51, s5, v28
	v_sub_f32_e32 v30, v1, v43
	s_and_b32 s0, vcc_lo, s0
	s_delay_alu instid0(SALU_CYCLE_1) | instskip(NEXT) | instid1(VALU_DEP_1)
	s_and_b32 vcc_lo, s17, s0
	v_mul_f32_e32 v1, 0x3fb8aa3b, v30
	s_delay_alu instid0(VALU_DEP_1) | instskip(SKIP_1) | instid1(VALU_DEP_2)
	v_fma_f32 v3, 0x3fb8aa3b, v30, -v1
	v_rndne_f32_e32 v45, v1
	v_fmac_f32_e32 v3, 0x32a5705f, v30
	s_delay_alu instid0(VALU_DEP_2) | instskip(SKIP_2) | instid1(VALU_DEP_3)
	v_sub_f32_e32 v1, v1, v45
	v_cvt_i32_f32_e32 v50, v45
	v_lshlrev_b64 v[45:46], 2, v[4:5]
	v_add_f32_e32 v1, v1, v3
	v_ashrrev_i32_e32 v3, 31, v2
	s_delay_alu instid0(VALU_DEP_2) | instskip(SKIP_1) | instid1(VALU_DEP_2)
	v_exp_f32_e32 v49, v1
	v_ashrrev_i32_e32 v1, 31, v0
	v_lshlrev_b64 v[47:48], 2, v[2:3]
	s_waitcnt_depctr 0xfff
	v_ldexp_f32 v3, v49, v50
	v_lshlrev_b64 v[49:50], 2, v[0:1]
	v_cndmask_b32_e32 v1, 64, v51, vcc_lo
	v_cmp_ngt_f32_e32 vcc_lo, 0xc2ce8ed0, v30
	s_delay_alu instid0(VALU_DEP_4) | instskip(SKIP_3) | instid1(VALU_DEP_4)
	v_cndmask_b32_e32 v3, 0, v3, vcc_lo
	v_add_co_u32 v45, vcc_lo, s12, v45
	v_add_co_ci_u32_e32 v46, vcc_lo, s13, v46, vcc_lo
	v_cmp_nlt_f32_e32 vcc_lo, 0x42b17218, v30
	v_cndmask_b32_e32 v3, 0x7f800000, v3, vcc_lo
	s_waitcnt lgkmcnt(0)
	v_add_co_u32 v47, vcc_lo, s8, v47
	v_add_co_ci_u32_e32 v48, vcc_lo, s9, v48, vcc_lo
	s_delay_alu instid0(VALU_DEP_3)
	v_add_f32_e32 v44, v44, v3
	v_add_co_u32 v49, vcc_lo, s10, v49
	v_add_co_ci_u32_e32 v50, vcc_lo, s11, v50, vcc_lo
	global_store_b32 v[45:46], v3, off
	global_store_b32 v[47:48], v1, off
	global_store_b32 v[49:50], v9, off
.LBB174_16:                             ;   in Loop: Header=BB174_14 Depth=1
	s_or_b32 exec_lo, exec_lo, s1
	s_delay_alu instid0(VALU_DEP_1) | instskip(SKIP_1) | instid1(VALU_DEP_1)
	v_ashrrev_i32_e32 v3, 31, v28
	s_mov_b32 s0, exec_lo
	v_lshrrev_b32_e32 v1, 28, v3
	s_delay_alu instid0(VALU_DEP_1) | instskip(NEXT) | instid1(VALU_DEP_1)
	v_add_nc_u32_e32 v1, v28, v1
	v_ashrrev_i32_e32 v1, 4, v1
	s_delay_alu instid0(VALU_DEP_1) | instskip(NEXT) | instid1(VALU_DEP_1)
	v_lshrrev_b32_e32 v5, 30, v1
	v_add_nc_u32_e32 v5, v1, v5
	s_delay_alu instid0(VALU_DEP_1) | instskip(NEXT) | instid1(VALU_DEP_1)
	v_and_b32_e32 v5, -4, v5
	v_sub_nc_u32_e32 v5, v1, v5
	s_delay_alu instid0(VALU_DEP_1)
	v_cmpx_eq_u32_e64 v11, v5
	s_cbranch_execz .LBB174_13
; %bb.17:                               ;   in Loop: Header=BB174_14 Depth=1
	v_lshrrev_b32_e32 v3, 26, v3
	v_lshlrev_b32_e32 v1, 4, v1
	s_delay_alu instid0(VALU_DEP_2) | instskip(NEXT) | instid1(VALU_DEP_2)
	v_add_nc_u32_e32 v3, v28, v3
	v_sub_nc_u32_e32 v1, v28, v1
	s_delay_alu instid0(VALU_DEP_2) | instskip(NEXT) | instid1(VALU_DEP_1)
	v_ashrrev_i32_e32 v3, 6, v3
	v_lshl_add_u32 v1, v3, 4, v1
	s_delay_alu instid0(VALU_DEP_1)
	v_cmp_ne_u32_e32 vcc_lo, 15, v1
	v_cndmask_b32_e32 v41, 0xff800000, v41, vcc_lo
	v_cmp_ne_u32_e32 vcc_lo, 14, v1
	v_cndmask_b32_e32 v39, 0xff800000, v39, vcc_lo
	v_cmp_ne_u32_e32 vcc_lo, 13, v1
	v_cndmask_b32_e32 v37, 0xff800000, v37, vcc_lo
	v_cmp_ne_u32_e32 vcc_lo, 12, v1
	v_cndmask_b32_e32 v35, 0xff800000, v35, vcc_lo
	v_cmp_ne_u32_e32 vcc_lo, 11, v1
	v_cndmask_b32_e32 v33, 0xff800000, v33, vcc_lo
	v_cmp_ne_u32_e32 vcc_lo, 10, v1
	v_cndmask_b32_e32 v31, 0xff800000, v31, vcc_lo
	v_cmp_ne_u32_e32 vcc_lo, 9, v1
	v_cndmask_b32_e32 v27, 0xff800000, v27, vcc_lo
	v_cmp_ne_u32_e32 vcc_lo, 8, v1
	v_cndmask_b32_e32 v25, 0xff800000, v25, vcc_lo
	v_cmp_ne_u32_e32 vcc_lo, 7, v1
	v_cndmask_b32_e32 v23, 0xff800000, v23, vcc_lo
	v_cmp_ne_u32_e32 vcc_lo, 6, v1
	v_cndmask_b32_e32 v22, 0xff800000, v22, vcc_lo
	v_cmp_ne_u32_e32 vcc_lo, 5, v1
	v_cndmask_b32_e32 v20, 0xff800000, v20, vcc_lo
	v_cmp_ne_u32_e32 vcc_lo, 4, v1
	v_cndmask_b32_e32 v19, 0xff800000, v19, vcc_lo
	v_cmp_ne_u32_e32 vcc_lo, 3, v1
	v_cndmask_b32_e32 v17, 0xff800000, v17, vcc_lo
	v_cmp_ne_u32_e32 vcc_lo, 2, v1
	v_cndmask_b32_e32 v15, 0xff800000, v15, vcc_lo
	v_cmp_ne_u32_e32 vcc_lo, 1, v1
	v_cndmask_b32_e32 v14, 0xff800000, v14, vcc_lo
	v_cmp_ne_u32_e32 vcc_lo, 0, v1
	v_cndmask_b32_e32 v10, 0xff800000, v10, vcc_lo
	s_branch .LBB174_13
.LBB174_18:
	v_mov_b32_e32 v44, 0
.LBB174_19:
	v_cmp_eq_u32_e32 vcc_lo, 0, v11
	s_delay_alu instid0(VALU_DEP_2) | instskip(NEXT) | instid1(VALU_DEP_1)
	v_cmp_neq_f32_e64 s0, 0, v44
	s_and_b32 s0, vcc_lo, s0
	s_delay_alu instid0(SALU_CYCLE_1)
	s_and_b32 exec_lo, exec_lo, s0
	s_cbranch_execz .LBB174_23
; %bb.20:
	s_and_not1_b32 vcc_lo, exec_lo, s3
	s_cbranch_vccnz .LBB174_23
; %bb.21:
	v_div_scale_f32 v0, null, v44, v44, 1.0
	v_div_scale_f32 v3, vcc_lo, 1.0, v44, 1.0
	v_ashrrev_i32_e32 v9, 31, v8
	s_delay_alu instid0(VALU_DEP_3) | instskip(SKIP_2) | instid1(VALU_DEP_1)
	v_rcp_f32_e32 v1, v0
	s_waitcnt_depctr 0xfff
	v_fma_f32 v2, -v0, v1, 1.0
	v_fmac_f32_e32 v1, v2, v1
	s_delay_alu instid0(VALU_DEP_1) | instskip(NEXT) | instid1(VALU_DEP_1)
	v_mul_f32_e32 v2, v3, v1
	v_fma_f32 v4, -v0, v2, v3
	s_delay_alu instid0(VALU_DEP_1) | instskip(NEXT) | instid1(VALU_DEP_1)
	v_fmac_f32_e32 v2, v4, v1
	v_fma_f32 v0, -v0, v2, v3
	s_delay_alu instid0(VALU_DEP_1) | instskip(SKIP_1) | instid1(VALU_DEP_2)
	v_div_fmas_f32 v2, v0, v1, v2
	v_lshlrev_b64 v[0:1], 2, v[8:9]
	v_div_fixup_f32 v2, v2, v44, 1.0
	s_delay_alu instid0(VALU_DEP_2) | instskip(NEXT) | instid1(VALU_DEP_3)
	v_add_co_u32 v0, vcc_lo, s12, v0
	v_add_co_ci_u32_e32 v1, vcc_lo, s13, v1, vcc_lo
.LBB174_22:                             ; =>This Inner Loop Header: Depth=1
	global_load_b32 v3, v[0:1], off
	s_add_i32 s4, s4, -1
	s_delay_alu instid0(SALU_CYCLE_1)
	s_cmp_lg_u32 s4, 0
	s_waitcnt vmcnt(0)
	v_mul_f32_e32 v3, v2, v3
	global_store_b32 v[0:1], v3, off
	v_add_co_u32 v0, vcc_lo, v0, 4
	v_add_co_ci_u32_e32 v1, vcc_lo, 0, v1, vcc_lo
	s_cbranch_scc1 .LBB174_22
.LBB174_23:
	s_nop 0
	s_sendmsg sendmsg(MSG_DEALLOC_VGPRS)
	s_endpgm
	.section	.rodata,"a",@progbits
	.p2align	6, 0x0
	.amdhsa_kernel _ZN4vllm3moe17topkGatingSoftmaxIDF16_Li16ELi64ELi8ELi32ELb1ELi8ELNS0_23SharedExpertScoringFuncE1EEEvPKT_PKbPfiPiS9_iiiiii
		.amdhsa_group_segment_fixed_size 0
		.amdhsa_private_segment_fixed_size 0
		.amdhsa_kernarg_size 72
		.amdhsa_user_sgpr_count 15
		.amdhsa_user_sgpr_dispatch_ptr 0
		.amdhsa_user_sgpr_queue_ptr 0
		.amdhsa_user_sgpr_kernarg_segment_ptr 1
		.amdhsa_user_sgpr_dispatch_id 0
		.amdhsa_user_sgpr_private_segment_size 0
		.amdhsa_wavefront_size32 1
		.amdhsa_uses_dynamic_stack 0
		.amdhsa_enable_private_segment 0
		.amdhsa_system_sgpr_workgroup_id_x 1
		.amdhsa_system_sgpr_workgroup_id_y 0
		.amdhsa_system_sgpr_workgroup_id_z 0
		.amdhsa_system_sgpr_workgroup_info 0
		.amdhsa_system_vgpr_workitem_id 1
		.amdhsa_next_free_vgpr 52
		.amdhsa_next_free_sgpr 19
		.amdhsa_reserve_vcc 1
		.amdhsa_float_round_mode_32 0
		.amdhsa_float_round_mode_16_64 0
		.amdhsa_float_denorm_mode_32 3
		.amdhsa_float_denorm_mode_16_64 3
		.amdhsa_dx10_clamp 1
		.amdhsa_ieee_mode 1
		.amdhsa_fp16_overflow 0
		.amdhsa_workgroup_processor_mode 1
		.amdhsa_memory_ordered 1
		.amdhsa_forward_progress 0
		.amdhsa_shared_vgpr_count 0
		.amdhsa_exception_fp_ieee_invalid_op 0
		.amdhsa_exception_fp_denorm_src 0
		.amdhsa_exception_fp_ieee_div_zero 0
		.amdhsa_exception_fp_ieee_overflow 0
		.amdhsa_exception_fp_ieee_underflow 0
		.amdhsa_exception_fp_ieee_inexact 0
		.amdhsa_exception_int_div_zero 0
	.end_amdhsa_kernel
	.section	.text._ZN4vllm3moe17topkGatingSoftmaxIDF16_Li16ELi64ELi8ELi32ELb1ELi8ELNS0_23SharedExpertScoringFuncE1EEEvPKT_PKbPfiPiS9_iiiiii,"axG",@progbits,_ZN4vllm3moe17topkGatingSoftmaxIDF16_Li16ELi64ELi8ELi32ELb1ELi8ELNS0_23SharedExpertScoringFuncE1EEEvPKT_PKbPfiPiS9_iiiiii,comdat
.Lfunc_end174:
	.size	_ZN4vllm3moe17topkGatingSoftmaxIDF16_Li16ELi64ELi8ELi32ELb1ELi8ELNS0_23SharedExpertScoringFuncE1EEEvPKT_PKbPfiPiS9_iiiiii, .Lfunc_end174-_ZN4vllm3moe17topkGatingSoftmaxIDF16_Li16ELi64ELi8ELi32ELb1ELi8ELNS0_23SharedExpertScoringFuncE1EEEvPKT_PKbPfiPiS9_iiiiii
                                        ; -- End function
	.section	.AMDGPU.csdata,"",@progbits
; Kernel info:
; codeLenInByte = 3048
; NumSgprs: 21
; NumVgprs: 52
; ScratchSize: 0
; MemoryBound: 0
; FloatMode: 240
; IeeeMode: 1
; LDSByteSize: 0 bytes/workgroup (compile time only)
; SGPRBlocks: 2
; VGPRBlocks: 6
; NumSGPRsForWavesPerEU: 21
; NumVGPRsForWavesPerEU: 52
; Occupancy: 16
; WaveLimiterHint : 0
; COMPUTE_PGM_RSRC2:SCRATCH_EN: 0
; COMPUTE_PGM_RSRC2:USER_SGPR: 15
; COMPUTE_PGM_RSRC2:TRAP_HANDLER: 0
; COMPUTE_PGM_RSRC2:TGID_X_EN: 1
; COMPUTE_PGM_RSRC2:TGID_Y_EN: 0
; COMPUTE_PGM_RSRC2:TGID_Z_EN: 0
; COMPUTE_PGM_RSRC2:TIDIG_COMP_CNT: 1
	.section	.text._ZN4vllm3moe17topkGatingSoftmaxIDF16_Li16ELi64ELi8ELi32ELb0ELi8ELNS0_23SharedExpertScoringFuncE1EEEvPKT_PKbPfiPiS9_iiiiii,"axG",@progbits,_ZN4vllm3moe17topkGatingSoftmaxIDF16_Li16ELi64ELi8ELi32ELb0ELi8ELNS0_23SharedExpertScoringFuncE1EEEvPKT_PKbPfiPiS9_iiiiii,comdat
	.protected	_ZN4vllm3moe17topkGatingSoftmaxIDF16_Li16ELi64ELi8ELi32ELb0ELi8ELNS0_23SharedExpertScoringFuncE1EEEvPKT_PKbPfiPiS9_iiiiii ; -- Begin function _ZN4vllm3moe17topkGatingSoftmaxIDF16_Li16ELi64ELi8ELi32ELb0ELi8ELNS0_23SharedExpertScoringFuncE1EEEvPKT_PKbPfiPiS9_iiiiii
	.globl	_ZN4vllm3moe17topkGatingSoftmaxIDF16_Li16ELi64ELi8ELi32ELb0ELi8ELNS0_23SharedExpertScoringFuncE1EEEvPKT_PKbPfiPiS9_iiiiii
	.p2align	8
	.type	_ZN4vllm3moe17topkGatingSoftmaxIDF16_Li16ELi64ELi8ELi32ELb0ELi8ELNS0_23SharedExpertScoringFuncE1EEEvPKT_PKbPfiPiS9_iiiiii,@function
_ZN4vllm3moe17topkGatingSoftmaxIDF16_Li16ELi64ELi8ELi32ELb0ELi8ELNS0_23SharedExpertScoringFuncE1EEEvPKT_PKbPfiPiS9_iiiiii: ; @_ZN4vllm3moe17topkGatingSoftmaxIDF16_Li16ELi64ELi8ELi32ELb0ELi8ELNS0_23SharedExpertScoringFuncE1EEEvPKT_PKbPfiPiS9_iiiiii
; %bb.0:
	s_load_b32 s16, s[0:1], 0x18
	v_bfe_u32 v1, v0, 10, 10
	v_and_b32_e32 v0, 0x3ff, v0
	s_lshl_b32 s18, s15, 6
	s_mov_b32 s2, exec_lo
	s_delay_alu instid0(VALU_DEP_2) | instskip(NEXT) | instid1(VALU_DEP_2)
	v_lshlrev_b32_e32 v33, 3, v1
	v_lshrrev_b32_e32 v34, 2, v0
	s_delay_alu instid0(VALU_DEP_1) | instskip(SKIP_1) | instid1(VALU_DEP_1)
	v_add3_u32 v44, s18, v33, v34
	s_waitcnt lgkmcnt(0)
	v_cmpx_gt_i32_e64 s16, v44
	s_cbranch_execz .LBB175_24
; %bb.1:
	s_clause 0x1
	s_load_b128 s[8:11], s[0:1], 0x0
	s_load_b64 s[12:13], s[0:1], 0x10
	s_waitcnt lgkmcnt(0)
	s_cmp_eq_u64 s[10:11], 0
	s_cbranch_scc1 .LBB175_3
; %bb.2:
	v_ashrrev_i32_e32 v2, 31, v44
	v_add_co_u32 v1, vcc_lo, s10, v44
	s_delay_alu instid0(VALU_DEP_2) | instskip(SKIP_3) | instid1(VALU_DEP_1)
	v_add_co_ci_u32_e32 v2, vcc_lo, s11, v2, vcc_lo
	global_load_u8 v1, v[1:2], off
	s_waitcnt vmcnt(0)
	v_and_b32_e32 v1, 1, v1
	v_cmp_eq_u32_e32 vcc_lo, 1, v1
	s_xor_b32 s2, vcc_lo, -1
	s_delay_alu instid0(SALU_CYCLE_1)
	s_or_not1_b32 s17, s2, exec_lo
	s_branch .LBB175_4
.LBB175_3:
	s_mov_b32 s17, -1
.LBB175_4:
	s_clause 0x1
	s_load_b64 s[14:15], s[0:1], 0x40
	s_load_b128 s[4:7], s[0:1], 0x30
	v_and_b32_e32 v11, 3, v0
	s_mov_b32 s3, 0
	s_delay_alu instid0(VALU_DEP_1)
	v_dual_mov_b32 v13, v11 :: v_dual_lshlrev_b32 v0, 5, v11
	v_lshlrev_b32_e32 v12, 1, v11
	v_lshlrev_b32_e32 v20, 4, v11
	s_waitcnt lgkmcnt(0)
	v_mul_lo_u32 v1, v44, s15
	v_mul_lo_u32 v8, v44, s7
	s_mov_b32 s7, 0x3fb8aa3b
	s_delay_alu instid0(VALU_DEP_2) | instskip(NEXT) | instid1(VALU_DEP_1)
	v_ashrrev_i32_e32 v2, 31, v1
	v_lshlrev_b64 v[9:10], 1, v[1:2]
	s_delay_alu instid0(VALU_DEP_1) | instskip(NEXT) | instid1(VALU_DEP_2)
	v_add_co_u32 v1, vcc_lo, s8, v9
	v_add_co_ci_u32_e32 v2, vcc_lo, s9, v10, vcc_lo
	s_delay_alu instid0(VALU_DEP_2) | instskip(NEXT) | instid1(VALU_DEP_2)
	v_add_co_u32 v4, vcc_lo, v1, v0
	v_add_co_ci_u32_e32 v5, vcc_lo, 0, v2, vcc_lo
	v_add_co_u32 v9, vcc_lo, v9, v12
	v_add_co_ci_u32_e32 v10, vcc_lo, 0, v10, vcc_lo
	s_clause 0x1
	global_load_b128 v[0:3], v[4:5], off offset:16
	global_load_b128 v[4:7], v[4:5], off
	v_add_co_u32 v9, vcc_lo, v9, s8
	v_add_co_ci_u32_e32 v10, vcc_lo, s9, v10, vcc_lo
	v_add_nc_u32_e32 v12, s4, v8
	s_delay_alu instid0(VALU_DEP_3) | instskip(NEXT) | instid1(VALU_DEP_3)
	v_add_co_u32 v9, vcc_lo, 0x80, v9
	v_add_co_ci_u32_e32 v10, vcc_lo, 0, v10, vcc_lo
	s_mov_b32 s8, 0x32a5705f
.LBB175_5:                              ; =>This Inner Loop Header: Depth=1
	global_load_u16 v14, v[9:10], off
	v_add_nc_u32_e32 v22, 4, v13
	v_add_co_u32 v9, s2, v9, 8
	s_delay_alu instid0(VALU_DEP_1) | instskip(SKIP_1) | instid1(VALU_DEP_1)
	v_add_co_ci_u32_e64 v10, s2, 0, v10, s2
	v_cmp_lt_u32_e64 s2, 3, v13
	s_or_b32 s3, s2, s3
	s_waitcnt vmcnt(0)
	v_cvt_f32_f16_e64 v15, -v14
	s_delay_alu instid0(VALU_DEP_1) | instskip(SKIP_1) | instid1(VALU_DEP_2)
	v_mul_f32_e32 v16, 0x3fb8aa3b, v15
	v_cmp_ngt_f32_e32 vcc_lo, 0xc2ce8ed0, v15
	v_rndne_f32_e32 v17, v16
	v_fma_mix_f32 v18, -v14, s7, -v16 op_sel_hi:[1,0,0]
	s_delay_alu instid0(VALU_DEP_2) | instskip(NEXT) | instid1(VALU_DEP_2)
	v_sub_f32_e32 v16, v16, v17
	v_fma_mix_f32 v14, -v14, s8, v18 op_sel_hi:[1,0,0]
	s_delay_alu instid0(VALU_DEP_1) | instskip(SKIP_1) | instid1(VALU_DEP_2)
	v_add_f32_e32 v14, v16, v14
	v_cvt_i32_f32_e32 v16, v17
	v_exp_f32_e32 v14, v14
	s_waitcnt_depctr 0xfff
	v_ldexp_f32 v14, v14, v16
	s_delay_alu instid0(VALU_DEP_1) | instskip(SKIP_1) | instid1(VALU_DEP_2)
	v_cndmask_b32_e32 v14, 0, v14, vcc_lo
	v_cmp_nlt_f32_e32 vcc_lo, 0x42b17218, v15
	v_cndmask_b32_e32 v14, 0x7f800000, v14, vcc_lo
	s_delay_alu instid0(VALU_DEP_1) | instskip(NEXT) | instid1(VALU_DEP_1)
	v_add_f32_e32 v17, 1.0, v14
	v_div_scale_f32 v16, null, v17, v17, 1.0
	v_div_scale_f32 v19, vcc_lo, 1.0, v17, 1.0
	s_delay_alu instid0(VALU_DEP_2) | instskip(SKIP_2) | instid1(VALU_DEP_1)
	v_rcp_f32_e32 v18, v16
	s_waitcnt_depctr 0xfff
	v_fma_f32 v14, -v16, v18, 1.0
	v_fmac_f32_e32 v18, v14, v18
	s_delay_alu instid0(VALU_DEP_1) | instskip(NEXT) | instid1(VALU_DEP_1)
	v_mul_f32_e32 v21, v19, v18
	v_fma_f32 v15, -v16, v21, v19
	s_delay_alu instid0(VALU_DEP_1) | instskip(NEXT) | instid1(VALU_DEP_1)
	v_dual_fmac_f32 v21, v15, v18 :: v_dual_add_nc_u32 v14, v12, v13
	v_ashrrev_i32_e32 v15, 31, v14
	s_delay_alu instid0(VALU_DEP_2) | instskip(NEXT) | instid1(VALU_DEP_2)
	v_fma_f32 v16, -v16, v21, v19
	v_lshlrev_b64 v[13:14], 2, v[14:15]
	s_delay_alu instid0(VALU_DEP_2) | instskip(NEXT) | instid1(VALU_DEP_2)
	v_div_fmas_f32 v18, v16, v18, v21
	v_add_co_u32 v15, vcc_lo, s12, v13
	s_delay_alu instid0(VALU_DEP_3) | instskip(NEXT) | instid1(VALU_DEP_3)
	v_add_co_ci_u32_e32 v16, vcc_lo, s13, v14, vcc_lo
	v_div_fixup_f32 v14, v18, v17, 1.0
	v_mov_b32_e32 v13, v22
	global_store_b32 v[15:16], v14, off
	s_and_not1_b32 exec_lo, exec_lo, s3
	s_cbranch_execnz .LBB175_5
; %bb.6:
	s_or_b32 exec_lo, exec_lo, s3
	v_lshrrev_b32_e32 v9, 16, v4
	v_cvt_f32_f16_e32 v23, v4
	v_or_b32_e32 v27, 1, v20
	v_cvt_f32_f16_e32 v25, v5
	v_lshrrev_b32_e32 v5, 16, v5
	v_cvt_f32_f16_e32 v26, v9
	v_cmp_lt_f16_e32 vcc_lo, v4, v9
	v_or_b32_e32 v28, 2, v20
	v_or_b32_e32 v29, 3, v20
	v_cvt_f32_f16_e32 v24, v5
	v_cvt_f32_f16_e32 v22, v6
	v_dual_cndmask_b32 v4, v20, v27 :: v_dual_cndmask_b32 v9, v23, v26
	v_lshrrev_b32_e32 v6, 16, v6
	v_or_b32_e32 v30, 4, v20
	v_or_b32_e32 v31, 5, v20
	v_cvt_f32_f16_e32 v19, v7
	v_cmp_lt_f32_e32 vcc_lo, v9, v25
	v_cvt_f32_f16_e32 v21, v6
	v_lshrrev_b32_e32 v6, 16, v7
	v_or_b32_e32 v32, 6, v20
	v_or_b32_e32 v35, 7, v20
	v_dual_cndmask_b32 v4, v4, v28 :: v_dual_cndmask_b32 v5, v9, v25
	s_delay_alu instid0(VALU_DEP_4)
	v_cvt_f32_f16_e32 v18, v6
	v_cvt_f32_f16_e32 v17, v0
	v_lshrrev_b32_e32 v0, 16, v0
	v_or_b32_e32 v36, 8, v20
	v_cmp_lt_f32_e32 vcc_lo, v5, v24
	v_cvt_f32_f16_e32 v15, v1
	v_lshrrev_b32_e32 v1, 16, v1
	v_cvt_f32_f16_e32 v16, v0
	v_or_b32_e32 v37, 9, v20
	v_dual_cndmask_b32 v4, v4, v29 :: v_dual_cndmask_b32 v5, v5, v24
	s_delay_alu instid0(VALU_DEP_4)
	v_cvt_f32_f16_e32 v14, v1
	v_cvt_f32_f16_e32 v13, v2
	v_lshrrev_b32_e32 v2, 16, v2
	v_or_b32_e32 v38, 10, v20
	v_cmp_lt_f32_e32 vcc_lo, v5, v22
	v_cvt_f32_f16_e32 v7, v3
	v_or_b32_e32 v39, 11, v20
	v_cvt_f32_f16_e32 v10, v2
	v_lshrrev_b32_e32 v2, 16, v3
	v_cndmask_b32_e32 v5, v5, v22, vcc_lo
	v_cndmask_b32_e32 v4, v4, v30, vcc_lo
	v_or_b32_e32 v40, 12, v20
	v_or_b32_e32 v41, 13, v20
	v_cvt_f32_f16_e32 v6, v2
	v_cmp_lt_f32_e32 vcc_lo, v5, v21
	v_or_b32_e32 v42, 14, v20
	v_or_b32_e32 v43, 15, v20
	v_dual_cndmask_b32 v5, v5, v21 :: v_dual_cndmask_b32 v4, v4, v31
	s_delay_alu instid0(VALU_DEP_1) | instskip(NEXT) | instid1(VALU_DEP_2)
	v_cmp_lt_f32_e32 vcc_lo, v5, v19
	v_dual_cndmask_b32 v4, v4, v32 :: v_dual_cndmask_b32 v5, v5, v19
	s_delay_alu instid0(VALU_DEP_1) | instskip(NEXT) | instid1(VALU_DEP_2)
	v_cmp_lt_f32_e32 vcc_lo, v5, v18
	v_dual_cndmask_b32 v4, v4, v35 :: v_dual_cndmask_b32 v5, v5, v18
	s_delay_alu instid0(VALU_DEP_1) | instskip(NEXT) | instid1(VALU_DEP_2)
	v_cmp_lt_f32_e32 vcc_lo, v5, v17
	v_cndmask_b32_e32 v0, v4, v36, vcc_lo
	v_cndmask_b32_e32 v4, v5, v17, vcc_lo
	s_delay_alu instid0(VALU_DEP_1) | instskip(SKIP_1) | instid1(VALU_DEP_4)
	v_cmp_lt_f32_e32 vcc_lo, v4, v16
	v_cndmask_b32_e32 v4, v4, v16, vcc_lo
	v_cndmask_b32_e32 v0, v0, v37, vcc_lo
	s_delay_alu instid0(VALU_DEP_2) | instskip(SKIP_1) | instid1(VALU_DEP_3)
	v_cmp_lt_f32_e32 vcc_lo, v4, v15
	v_cndmask_b32_e32 v1, v4, v15, vcc_lo
	v_cndmask_b32_e32 v0, v0, v38, vcc_lo
	s_delay_alu instid0(VALU_DEP_2) | instskip(NEXT) | instid1(VALU_DEP_2)
	v_cmp_lt_f32_e32 vcc_lo, v1, v14
	v_dual_cndmask_b32 v1, v1, v14 :: v_dual_cndmask_b32 v0, v0, v39
	s_delay_alu instid0(VALU_DEP_1) | instskip(NEXT) | instid1(VALU_DEP_2)
	v_cmp_lt_f32_e32 vcc_lo, v1, v13
	v_dual_cndmask_b32 v1, v1, v13 :: v_dual_cndmask_b32 v0, v0, v40
	s_delay_alu instid0(VALU_DEP_1) | instskip(NEXT) | instid1(VALU_DEP_2)
	;; [unrolled: 3-line block ×5, first 2 shown]
	v_mov_b32_dpp v2, v0 quad_perm:[1,0,3,2] row_mask:0xf bank_mask:0xf
	v_mov_b32_dpp v3, v1 quad_perm:[1,0,3,2] row_mask:0xf bank_mask:0xf
	s_delay_alu instid0(VALU_DEP_2) | instskip(NEXT) | instid1(VALU_DEP_2)
	v_cmp_lt_i32_e32 vcc_lo, v2, v0
	v_cmp_eq_f32_e64 s2, v1, v3
	v_cmp_lt_f32_e64 s3, v1, v3
	s_delay_alu instid0(VALU_DEP_2)
	s_and_b32 s2, s2, vcc_lo
	s_delay_alu instid0(VALU_DEP_1) | instid1(SALU_CYCLE_1)
	s_or_b32 vcc_lo, s3, s2
	v_dual_cndmask_b32 v1, v1, v3 :: v_dual_cndmask_b32 v0, v0, v2
	s_delay_alu instid0(VALU_DEP_1) | instskip(NEXT) | instid1(VALU_DEP_2)
	v_mov_b32_dpp v3, v1 quad_perm:[2,3,0,1] row_mask:0xf bank_mask:0xf
	v_mov_b32_dpp v2, v0 quad_perm:[2,3,0,1] row_mask:0xf bank_mask:0xf
	s_delay_alu instid0(VALU_DEP_2) | instskip(NEXT) | instid1(VALU_DEP_2)
	v_cmp_eq_f32_e32 vcc_lo, v1, v3
	v_cmp_lt_i32_e64 s2, v2, v0
	v_cmp_lt_f32_e64 s3, v1, v3
	s_delay_alu instid0(VALU_DEP_2)
	s_and_b32 s2, vcc_lo, s2
	s_delay_alu instid0(VALU_DEP_1) | instid1(SALU_CYCLE_1)
	s_or_b32 s3, s3, s2
	s_cmp_gt_i32 s4, 0
	v_cndmask_b32_e64 v12, v1, v3, s3
	v_cmp_eq_u32_e64 s2, 0, v11
	s_cselect_b32 s7, -1, 0
	s_delay_alu instid0(SALU_CYCLE_1)
	s_and_b32 vcc_lo, exec_lo, s7
	s_cbranch_vccz .LBB175_18
; %bb.7:
	s_load_b128 s[8:11], s[0:1], 0x20
	v_mul_lo_u32 v1, v44, s14
	v_mul_lo_u32 v3, v44, s4
	v_cndmask_b32_e64 v0, v0, v2, s3
	v_mov_b32_e32 v9, 0
	s_and_saveexec_b32 s1, s2
	s_cbranch_execz .LBB175_9
; %bb.8:
	v_sub_f32_e32 v49, v12, v12
	v_ashrrev_i32_e32 v9, 31, v8
	v_cmp_le_i32_e32 vcc_lo, s5, v0
	v_cmp_gt_i32_e64 s0, s6, v0
	v_subrev_nc_u32_e32 v50, s5, v0
	v_mul_f32_e32 v2, 0x3fb8aa3b, v49
	v_lshlrev_b64 v[45:46], 2, v[8:9]
	s_delay_alu instid0(VALU_DEP_4) | instskip(NEXT) | instid1(SALU_CYCLE_1)
	s_and_b32 s0, vcc_lo, s0
	s_and_b32 vcc_lo, s17, s0
	s_delay_alu instid0(VALU_DEP_2) | instskip(SKIP_1) | instid1(VALU_DEP_2)
	v_rndne_f32_e32 v5, v2
	v_fma_f32 v4, 0x3fb8aa3b, v49, -v2
	v_sub_f32_e32 v2, v2, v5
	s_delay_alu instid0(VALU_DEP_2) | instskip(SKIP_1) | instid1(VALU_DEP_2)
	v_fmamk_f32 v4, v49, 0x32a5705f, v4
	v_cvt_i32_f32_e32 v9, v5
	v_add_f32_e32 v2, v2, v4
	v_ashrrev_i32_e32 v4, 31, v3
	s_delay_alu instid0(VALU_DEP_2) | instskip(SKIP_1) | instid1(VALU_DEP_2)
	v_exp_f32_e32 v51, v2
	v_ashrrev_i32_e32 v2, 31, v1
	v_lshlrev_b64 v[4:5], 2, v[3:4]
	s_delay_alu instid0(VALU_DEP_2) | instskip(SKIP_3) | instid1(TRANS32_DEP_1)
	v_lshlrev_b64 v[47:48], 2, v[1:2]
	v_cndmask_b32_e32 v2, 64, v50, vcc_lo
	v_add_co_u32 v45, vcc_lo, s12, v45
	v_add_co_ci_u32_e32 v46, vcc_lo, s13, v46, vcc_lo
	v_ldexp_f32 v9, v51, v9
	v_cmp_ngt_f32_e32 vcc_lo, 0xc2ce8ed0, v49
	s_delay_alu instid0(VALU_DEP_2)
	v_cndmask_b32_e32 v9, 0, v9, vcc_lo
	s_waitcnt lgkmcnt(0)
	v_add_co_u32 v47, vcc_lo, s8, v47
	v_add_co_ci_u32_e32 v48, vcc_lo, s9, v48, vcc_lo
	v_cmp_nlt_f32_e32 vcc_lo, 0x42b17218, v49
	v_cndmask_b32_e32 v9, 0x7f800000, v9, vcc_lo
	v_add_co_u32 v4, vcc_lo, s10, v4
	v_add_co_ci_u32_e32 v5, vcc_lo, s11, v5, vcc_lo
	global_store_b32 v[47:48], v2, off
	global_store_b32 v[45:46], v9, off
	;; [unrolled: 1-line block ×3, first 2 shown]
.LBB175_9:
	s_or_b32 exec_lo, exec_lo, s1
	v_ashrrev_i32_e32 v4, 31, v0
	s_mov_b32 s0, exec_lo
	s_delay_alu instid0(VALU_DEP_1) | instskip(NEXT) | instid1(VALU_DEP_1)
	v_lshrrev_b32_e32 v2, 28, v4
	v_add_nc_u32_e32 v2, v0, v2
	s_delay_alu instid0(VALU_DEP_1) | instskip(NEXT) | instid1(VALU_DEP_1)
	v_ashrrev_i32_e32 v2, 4, v2
	v_lshrrev_b32_e32 v5, 30, v2
	s_delay_alu instid0(VALU_DEP_1) | instskip(NEXT) | instid1(VALU_DEP_1)
	v_add_nc_u32_e32 v5, v2, v5
	v_and_b32_e32 v5, -4, v5
	s_delay_alu instid0(VALU_DEP_1) | instskip(NEXT) | instid1(VALU_DEP_1)
	v_sub_nc_u32_e32 v5, v2, v5
	v_cmpx_eq_u32_e64 v11, v5
	s_cbranch_execz .LBB175_11
; %bb.10:
	v_lshrrev_b32_e32 v4, 26, v4
	v_lshlrev_b32_e32 v2, 4, v2
	s_delay_alu instid0(VALU_DEP_2) | instskip(NEXT) | instid1(VALU_DEP_2)
	v_add_nc_u32_e32 v4, v0, v4
	v_sub_nc_u32_e32 v0, v0, v2
	s_delay_alu instid0(VALU_DEP_2) | instskip(NEXT) | instid1(VALU_DEP_1)
	v_ashrrev_i32_e32 v2, 6, v4
	v_lshl_add_u32 v0, v2, 4, v0
	s_delay_alu instid0(VALU_DEP_1)
	v_cmp_ne_u32_e32 vcc_lo, 15, v0
	v_cndmask_b32_e32 v6, 0xff800000, v6, vcc_lo
	v_cmp_ne_u32_e32 vcc_lo, 14, v0
	v_cndmask_b32_e32 v7, 0xff800000, v7, vcc_lo
	;; [unrolled: 2-line block ×16, first 2 shown]
.LBB175_11:
	s_or_b32 exec_lo, exec_lo, s0
	s_cmp_eq_u32 s4, 1
	s_cbranch_scc1 .LBB175_19
; %bb.12:
	s_add_i32 s18, s18, s16
	v_add_nc_u32_e32 v0, 1, v3
	v_add3_u32 v33, s18, v34, v33
	v_add_nc_u32_e32 v2, 1, v1
	v_add_nc_u32_e32 v4, 1, v8
	s_add_i32 s3, s4, -1
	s_branch .LBB175_14
.LBB175_13:                             ;   in Loop: Header=BB175_14 Depth=1
	s_or_b32 exec_lo, exec_lo, s0
	v_add_nc_u32_e32 v33, s16, v33
	v_add_nc_u32_e32 v0, 1, v0
	;; [unrolled: 1-line block ×4, first 2 shown]
	s_add_i32 s3, s3, -1
	s_delay_alu instid0(SALU_CYCLE_1)
	s_cmp_eq_u32 s3, 0
	s_cbranch_scc1 .LBB175_19
.LBB175_14:                             ; =>This Inner Loop Header: Depth=1
	v_cmp_gt_f32_e32 vcc_lo, v26, v23
	v_cndmask_b32_e32 v3, v23, v26, vcc_lo
	v_cndmask_b32_e32 v1, v20, v27, vcc_lo
	s_delay_alu instid0(VALU_DEP_2) | instskip(SKIP_1) | instid1(VALU_DEP_3)
	v_cmp_gt_f32_e32 vcc_lo, v25, v3
	v_cndmask_b32_e32 v3, v3, v25, vcc_lo
	v_cndmask_b32_e32 v1, v1, v28, vcc_lo
	s_delay_alu instid0(VALU_DEP_2) | instskip(SKIP_1) | instid1(VALU_DEP_3)
	;; [unrolled: 4-line block ×13, first 2 shown]
	v_cmp_gt_f32_e32 vcc_lo, v7, v3
	v_cndmask_b32_e32 v3, v3, v7, vcc_lo
	v_cndmask_b32_e32 v1, v1, v42, vcc_lo
	s_delay_alu instid0(VALU_DEP_2) | instskip(NEXT) | instid1(VALU_DEP_2)
	v_cmp_gt_f32_e32 vcc_lo, v6, v3
	v_cndmask_b32_e32 v5, v1, v43, vcc_lo
	v_cndmask_b32_e32 v1, v3, v6, vcc_lo
	s_delay_alu instid0(VALU_DEP_2) | instskip(NEXT) | instid1(VALU_DEP_2)
	v_mov_b32_dpp v3, v5 quad_perm:[1,0,3,2] row_mask:0xf bank_mask:0xf
	v_mov_b32_dpp v34, v1 quad_perm:[1,0,3,2] row_mask:0xf bank_mask:0xf
	s_delay_alu instid0(VALU_DEP_2) | instskip(NEXT) | instid1(VALU_DEP_2)
	v_cmp_lt_i32_e32 vcc_lo, v3, v5
	v_cmp_eq_f32_e64 s0, v1, v34
	v_cmp_lt_f32_e64 s1, v1, v34
	s_delay_alu instid0(VALU_DEP_2)
	s_and_b32 s0, s0, vcc_lo
	s_delay_alu instid0(VALU_DEP_1) | instid1(SALU_CYCLE_1)
	s_or_b32 vcc_lo, s1, s0
	v_cndmask_b32_e32 v1, v1, v34, vcc_lo
	v_cndmask_b32_e32 v5, v5, v3, vcc_lo
	s_delay_alu instid0(VALU_DEP_2) | instskip(NEXT) | instid1(VALU_DEP_2)
	v_mov_b32_dpp v3, v1 quad_perm:[2,3,0,1] row_mask:0xf bank_mask:0xf
	v_mov_b32_dpp v34, v5 quad_perm:[2,3,0,1] row_mask:0xf bank_mask:0xf
	s_delay_alu instid0(VALU_DEP_2) | instskip(NEXT) | instid1(VALU_DEP_2)
	v_cmp_eq_f32_e32 vcc_lo, v1, v3
	v_cmp_lt_i32_e64 s0, v34, v5
	v_cmp_lt_f32_e64 s1, v1, v3
	s_delay_alu instid0(VALU_DEP_2)
	s_and_b32 s0, vcc_lo, s0
	s_delay_alu instid0(VALU_DEP_1) | instid1(SALU_CYCLE_1)
	s_or_b32 vcc_lo, s1, s0
	v_cndmask_b32_e32 v34, v5, v34, vcc_lo
	s_and_saveexec_b32 s1, s2
	s_cbranch_execz .LBB175_16
; %bb.15:                               ;   in Loop: Header=BB175_14 Depth=1
	v_cndmask_b32_e32 v1, v1, v3, vcc_lo
	s_delay_alu instid0(VALU_DEP_2) | instskip(SKIP_3) | instid1(VALU_DEP_3)
	v_cmp_le_i32_e32 vcc_lo, s5, v34
	v_cmp_gt_i32_e64 s0, s6, v34
	v_subrev_nc_u32_e32 v51, s5, v34
	v_ashrrev_i32_e32 v5, 31, v4
	s_and_b32 s0, vcc_lo, s0
	s_delay_alu instid0(SALU_CYCLE_1) | instskip(SKIP_1) | instid1(VALU_DEP_1)
	s_and_b32 vcc_lo, s17, s0
	v_sub_f32_e32 v50, v1, v12
	v_mul_f32_e32 v1, 0x3fb8aa3b, v50
	s_delay_alu instid0(VALU_DEP_1) | instskip(SKIP_1) | instid1(VALU_DEP_2)
	v_fma_f32 v3, 0x3fb8aa3b, v50, -v1
	v_rndne_f32_e32 v44, v1
	v_fmac_f32_e32 v3, 0x32a5705f, v50
	s_delay_alu instid0(VALU_DEP_2) | instskip(SKIP_2) | instid1(VALU_DEP_3)
	v_sub_f32_e32 v1, v1, v44
	v_cvt_i32_f32_e32 v49, v44
	v_lshlrev_b64 v[44:45], 2, v[4:5]
	v_add_f32_e32 v1, v1, v3
	v_ashrrev_i32_e32 v3, 31, v2
	s_delay_alu instid0(VALU_DEP_2) | instskip(SKIP_1) | instid1(VALU_DEP_2)
	v_exp_f32_e32 v48, v1
	v_ashrrev_i32_e32 v1, 31, v0
	v_lshlrev_b64 v[46:47], 2, v[2:3]
	s_waitcnt_depctr 0xfff
	v_ldexp_f32 v3, v48, v49
	v_lshlrev_b64 v[48:49], 2, v[0:1]
	v_cndmask_b32_e32 v1, 64, v51, vcc_lo
	v_cmp_ngt_f32_e32 vcc_lo, 0xc2ce8ed0, v50
	s_delay_alu instid0(VALU_DEP_4) | instskip(SKIP_3) | instid1(VALU_DEP_4)
	v_cndmask_b32_e32 v3, 0, v3, vcc_lo
	v_add_co_u32 v44, vcc_lo, s12, v44
	v_add_co_ci_u32_e32 v45, vcc_lo, s13, v45, vcc_lo
	v_cmp_nlt_f32_e32 vcc_lo, 0x42b17218, v50
	v_cndmask_b32_e32 v3, 0x7f800000, v3, vcc_lo
	s_waitcnt lgkmcnt(0)
	v_add_co_u32 v46, vcc_lo, s8, v46
	v_add_co_ci_u32_e32 v47, vcc_lo, s9, v47, vcc_lo
	v_add_co_u32 v48, vcc_lo, s10, v48
	v_add_f32_e32 v9, v9, v3
	v_add_co_ci_u32_e32 v49, vcc_lo, s11, v49, vcc_lo
	global_store_b32 v[44:45], v3, off
	global_store_b32 v[46:47], v1, off
	;; [unrolled: 1-line block ×3, first 2 shown]
.LBB175_16:                             ;   in Loop: Header=BB175_14 Depth=1
	s_or_b32 exec_lo, exec_lo, s1
	s_delay_alu instid0(VALU_DEP_1) | instskip(SKIP_1) | instid1(VALU_DEP_1)
	v_ashrrev_i32_e32 v3, 31, v34
	s_mov_b32 s0, exec_lo
	v_lshrrev_b32_e32 v1, 28, v3
	s_delay_alu instid0(VALU_DEP_1) | instskip(NEXT) | instid1(VALU_DEP_1)
	v_add_nc_u32_e32 v1, v34, v1
	v_ashrrev_i32_e32 v1, 4, v1
	s_delay_alu instid0(VALU_DEP_1) | instskip(NEXT) | instid1(VALU_DEP_1)
	v_lshrrev_b32_e32 v5, 30, v1
	v_add_nc_u32_e32 v5, v1, v5
	s_delay_alu instid0(VALU_DEP_1) | instskip(NEXT) | instid1(VALU_DEP_1)
	v_and_b32_e32 v5, -4, v5
	v_sub_nc_u32_e32 v5, v1, v5
	s_delay_alu instid0(VALU_DEP_1)
	v_cmpx_eq_u32_e64 v11, v5
	s_cbranch_execz .LBB175_13
; %bb.17:                               ;   in Loop: Header=BB175_14 Depth=1
	v_lshrrev_b32_e32 v3, 26, v3
	v_lshlrev_b32_e32 v1, 4, v1
	s_delay_alu instid0(VALU_DEP_2) | instskip(NEXT) | instid1(VALU_DEP_2)
	v_add_nc_u32_e32 v3, v34, v3
	v_sub_nc_u32_e32 v1, v34, v1
	s_delay_alu instid0(VALU_DEP_2) | instskip(NEXT) | instid1(VALU_DEP_1)
	v_ashrrev_i32_e32 v3, 6, v3
	v_lshl_add_u32 v1, v3, 4, v1
	s_delay_alu instid0(VALU_DEP_1)
	v_cmp_ne_u32_e32 vcc_lo, 15, v1
	v_cndmask_b32_e32 v6, 0xff800000, v6, vcc_lo
	v_cmp_ne_u32_e32 vcc_lo, 14, v1
	v_cndmask_b32_e32 v7, 0xff800000, v7, vcc_lo
	;; [unrolled: 2-line block ×16, first 2 shown]
	s_branch .LBB175_13
.LBB175_18:
	v_mov_b32_e32 v9, 0
.LBB175_19:
	v_sub_f32_e32 v5, v24, v12
	v_sub_f32_e32 v0, v23, v12
	;; [unrolled: 1-line block ×4, first 2 shown]
	s_delay_alu instid0(VALU_DEP_4) | instskip(NEXT) | instid1(VALU_DEP_4)
	v_dual_sub_f32 v20, v22, v12 :: v_dual_mul_f32 v27, 0x3fb8aa3b, v5
	v_cmp_ngt_f32_e32 vcc_lo, 0xc2ce8ed0, v0
	s_delay_alu instid0(VALU_DEP_4) | instskip(NEXT) | instid1(VALU_DEP_4)
	v_mul_f32_e32 v26, 0x3fb8aa3b, v3
	v_mul_f32_e32 v4, 0x3fb8aa3b, v1
	v_sub_f32_e32 v18, v18, v12
	v_rndne_f32_e32 v30, v27
	v_mul_f32_e32 v2, 0x3fb8aa3b, v0
	v_sub_f32_e32 v21, v21, v12
	v_fma_f32 v24, 0x3fb8aa3b, v1, -v4
	v_rndne_f32_e32 v25, v4
	v_sub_f32_e32 v19, v19, v12
	v_rndne_f32_e32 v23, v2
	v_fma_f32 v22, 0x3fb8aa3b, v0, -v2
	v_fmac_f32_e32 v24, 0x32a5705f, v1
	v_sub_f32_e32 v4, v4, v25
	v_cvt_i32_f32_e32 v25, v25
	v_sub_f32_e32 v2, v2, v23
	v_fma_f32 v29, 0x3fb8aa3b, v5, -v27
	v_cvt_i32_f32_e32 v23, v23
	v_add_f32_e32 v4, v4, v24
	v_rndne_f32_e32 v24, v26
	v_sub_f32_e32 v15, v15, v12
	v_dual_fmac_f32 v29, 0x32a5705f, v5 :: v_dual_fmac_f32 v22, 0x32a5705f, v0
	s_delay_alu instid0(VALU_DEP_4)
	v_exp_f32_e32 v4, v4
	v_sub_f32_e32 v14, v14, v12
	v_sub_f32_e32 v7, v7, v12
	;; [unrolled: 1-line block ×3, first 2 shown]
	v_add_f32_e32 v2, v2, v22
	v_fma_f32 v22, 0x3fb8aa3b, v3, -v26
	v_sub_f32_e32 v26, v26, v24
	v_cvt_i32_f32_e32 v24, v24
	s_delay_alu instid0(VALU_DEP_4) | instskip(NEXT) | instid1(VALU_DEP_3)
	v_exp_f32_e32 v2, v2
	v_fmac_f32_e32 v22, 0x32a5705f, v3
	v_ldexp_f32 v4, v4, v25
	s_delay_alu instid0(VALU_DEP_2) | instskip(SKIP_4) | instid1(VALU_DEP_2)
	v_add_f32_e32 v22, v26, v22
	s_waitcnt_depctr 0xfff
	v_ldexp_f32 v2, v2, v23
	v_sub_f32_e32 v23, v27, v30
	v_exp_f32_e32 v22, v22
	v_cndmask_b32_e32 v2, 0, v2, vcc_lo
	v_cmp_ngt_f32_e32 vcc_lo, 0xc2ce8ed0, v1
	s_delay_alu instid0(VALU_DEP_3) | instskip(SKIP_1) | instid1(VALU_DEP_2)
	v_dual_add_f32 v23, v23, v29 :: v_dual_cndmask_b32 v4, 0, v4
	v_cmp_nlt_f32_e32 vcc_lo, 0x42b17218, v0
	v_exp_f32_e32 v23, v23
	v_cndmask_b32_e32 v0, 0x7f800000, v2, vcc_lo
	v_cmp_nlt_f32_e32 vcc_lo, 0x42b17218, v1
	v_cndmask_b32_e32 v1, 0x7f800000, v4, vcc_lo
	s_delay_alu instid0(TRANS32_DEP_2) | instskip(SKIP_1) | instid1(VALU_DEP_2)
	v_ldexp_f32 v4, v22, v24
	v_cmp_ngt_f32_e32 vcc_lo, 0xc2ce8ed0, v3
	v_dual_add_f32 v0, v0, v1 :: v_dual_cndmask_b32 v1, 0, v4
	v_cvt_i32_f32_e32 v4, v30
	v_cmp_nlt_f32_e32 vcc_lo, 0x42b17218, v3
	s_delay_alu instid0(TRANS32_DEP_1) | instid1(VALU_DEP_2)
	v_ldexp_f32 v3, v23, v4
	s_delay_alu instid0(VALU_DEP_4) | instskip(SKIP_3) | instid1(VALU_DEP_4)
	v_cndmask_b32_e32 v1, 0x7f800000, v1, vcc_lo
	v_cmp_ngt_f32_e32 vcc_lo, 0xc2ce8ed0, v5
	v_mul_f32_e32 v28, 0x3fb8aa3b, v20
	v_mul_f32_e32 v4, 0x3fb8aa3b, v21
	v_dual_add_f32 v0, v0, v1 :: v_dual_cndmask_b32 v1, 0, v3
	s_delay_alu instid0(VALU_DEP_3) | instskip(SKIP_1) | instid1(VALU_DEP_4)
	v_fma_f32 v2, 0x3fb8aa3b, v20, -v28
	v_rndne_f32_e32 v22, v28
	v_fma_f32 v3, 0x3fb8aa3b, v21, -v4
	v_rndne_f32_e32 v23, v4
	v_cmp_nlt_f32_e32 vcc_lo, 0x42b17218, v5
	v_fmac_f32_e32 v2, 0x32a5705f, v20
	v_sub_f32_e32 v24, v28, v22
	v_cvt_i32_f32_e32 v5, v22
	v_fmac_f32_e32 v3, 0x32a5705f, v21
	v_dual_cndmask_b32 v1, 0x7f800000, v1 :: v_dual_sub_f32 v4, v4, v23
	s_delay_alu instid0(VALU_DEP_4) | instskip(SKIP_1) | instid1(VALU_DEP_3)
	v_add_f32_e32 v2, v24, v2
	v_cmp_ngt_f32_e32 vcc_lo, 0xc2ce8ed0, v20
	v_add_f32_e32 v0, v0, v1
	s_delay_alu instid0(VALU_DEP_3) | instskip(SKIP_2) | instid1(VALU_DEP_1)
	v_exp_f32_e32 v2, v2
	s_waitcnt_depctr 0xfff
	v_ldexp_f32 v1, v2, v5
	v_dual_add_f32 v2, v4, v3 :: v_dual_cndmask_b32 v1, 0, v1
	s_delay_alu instid0(VALU_DEP_1) | instskip(SKIP_2) | instid1(VALU_DEP_3)
	v_exp_f32_e32 v2, v2
	v_cmp_nlt_f32_e32 vcc_lo, 0x42b17218, v20
	v_cvt_i32_f32_e32 v20, v23
	v_cndmask_b32_e32 v1, 0x7f800000, v1, vcc_lo
	v_cmp_ngt_f32_e32 vcc_lo, 0xc2ce8ed0, v21
	s_delay_alu instid0(VALU_DEP_2) | instskip(SKIP_2) | instid1(VALU_DEP_1)
	v_add_f32_e32 v0, v0, v1
	s_waitcnt_depctr 0xfff
	v_ldexp_f32 v1, v2, v20
	v_cndmask_b32_e32 v1, 0, v1, vcc_lo
	v_cmp_nlt_f32_e32 vcc_lo, 0x42b17218, v21
	v_mul_f32_e32 v21, 0x3fb8aa3b, v14
	s_delay_alu instid0(VALU_DEP_3) | instskip(SKIP_2) | instid1(VALU_DEP_3)
	v_cndmask_b32_e32 v1, 0x7f800000, v1, vcc_lo
	v_cmp_ngt_f32_e32 vcc_lo, 0xc2ce8ed0, v19
	v_mul_f32_e32 v22, 0x3fb8aa3b, v19
	v_add_f32_e32 v0, v0, v1
	s_delay_alu instid0(VALU_DEP_2) | instskip(SKIP_1) | instid1(VALU_DEP_2)
	v_fma_f32 v3, 0x3fb8aa3b, v19, -v22
	v_rndne_f32_e32 v4, v22
	v_fmac_f32_e32 v3, 0x32a5705f, v19
	s_delay_alu instid0(VALU_DEP_2) | instskip(SKIP_1) | instid1(VALU_DEP_2)
	v_sub_f32_e32 v5, v22, v4
	v_cvt_i32_f32_e32 v4, v4
	v_add_f32_e32 v3, v5, v3
	s_delay_alu instid0(VALU_DEP_1) | instskip(SKIP_2) | instid1(VALU_DEP_1)
	v_exp_f32_e32 v2, v3
	s_waitcnt_depctr 0xfff
	v_ldexp_f32 v2, v2, v4
	v_cndmask_b32_e32 v1, 0, v2, vcc_lo
	v_cmp_nlt_f32_e32 vcc_lo, 0x42b17218, v19
	s_delay_alu instid0(VALU_DEP_2) | instskip(SKIP_2) | instid1(VALU_DEP_3)
	v_cndmask_b32_e32 v1, 0x7f800000, v1, vcc_lo
	v_mul_f32_e32 v5, 0x3fb8aa3b, v18
	v_cmp_ngt_f32_e32 vcc_lo, 0xc2ce8ed0, v18
	v_add_f32_e32 v0, v0, v1
	s_delay_alu instid0(VALU_DEP_3) | instskip(SKIP_1) | instid1(VALU_DEP_2)
	v_fma_f32 v3, 0x3fb8aa3b, v18, -v5
	v_rndne_f32_e32 v20, v5
	v_fmac_f32_e32 v3, 0x32a5705f, v18
	s_delay_alu instid0(VALU_DEP_2) | instskip(NEXT) | instid1(VALU_DEP_1)
	v_sub_f32_e32 v5, v5, v20
	v_add_f32_e32 v3, v5, v3
	v_sub_f32_e32 v5, v16, v12
	v_cvt_i32_f32_e32 v16, v20
	s_delay_alu instid0(VALU_DEP_3) | instskip(SKIP_2) | instid1(VALU_DEP_1)
	v_exp_f32_e32 v2, v3
	s_waitcnt_depctr 0xfff
	v_ldexp_f32 v1, v2, v16
	v_dual_sub_f32 v4, v17, v12 :: v_dual_cndmask_b32 v1, 0, v1
	s_delay_alu instid0(VALU_DEP_1) | instskip(SKIP_1) | instid1(VALU_DEP_2)
	v_mul_f32_e32 v3, 0x3fb8aa3b, v4
	v_cmp_nlt_f32_e32 vcc_lo, 0x42b17218, v18
	v_rndne_f32_e32 v19, v3
	v_fma_f32 v17, 0x3fb8aa3b, v4, -v3
	s_delay_alu instid0(VALU_DEP_2) | instskip(SKIP_1) | instid1(VALU_DEP_3)
	v_sub_f32_e32 v2, v3, v19
	v_mul_f32_e32 v20, 0x3fb8aa3b, v5
	v_fmac_f32_e32 v17, 0x32a5705f, v4
	v_cvt_i32_f32_e32 v19, v19
	s_delay_alu instid0(VALU_DEP_3) | instskip(SKIP_1) | instid1(VALU_DEP_4)
	v_fma_f32 v3, 0x3fb8aa3b, v5, -v20
	v_rndne_f32_e32 v16, v20
	v_add_f32_e32 v2, v2, v17
	s_delay_alu instid0(VALU_DEP_3) | instskip(NEXT) | instid1(VALU_DEP_3)
	v_fmac_f32_e32 v3, 0x32a5705f, v5
	v_dual_sub_f32 v17, v20, v16 :: v_dual_mul_f32 v20, 0x3fb8aa3b, v15
	s_delay_alu instid0(VALU_DEP_3) | instskip(NEXT) | instid1(VALU_DEP_1)
	v_exp_f32_e32 v2, v2
	v_add_f32_e32 v3, v17, v3
	s_delay_alu instid0(VALU_DEP_2) | instskip(SKIP_4) | instid1(VALU_DEP_3)
	v_fma_f32 v17, 0x3fb8aa3b, v15, -v20
	v_rndne_f32_e32 v18, v20
	v_cndmask_b32_e32 v1, 0x7f800000, v1, vcc_lo
	v_cmp_ngt_f32_e32 vcc_lo, 0xc2ce8ed0, v4
	v_exp_f32_e32 v3, v3
	v_dual_fmac_f32 v17, 0x32a5705f, v15 :: v_dual_sub_f32 v20, v20, v18
	s_delay_alu instid0(VALU_DEP_3) | instskip(NEXT) | instid1(TRANS32_DEP_2)
	v_add_f32_e32 v0, v0, v1
	v_ldexp_f32 v1, v2, v19
	v_cvt_i32_f32_e32 v2, v16
	v_rndne_f32_e32 v19, v21
	v_add_f32_e32 v16, v20, v17
	v_fma_f32 v17, 0x3fb8aa3b, v14, -v21
	v_cndmask_b32_e32 v1, 0, v1, vcc_lo
	s_delay_alu instid0(TRANS32_DEP_1)
	v_ldexp_f32 v2, v3, v2
	v_cmp_nlt_f32_e32 vcc_lo, 0x42b17218, v4
	v_exp_f32_e32 v3, v16
	v_sub_f32_e32 v16, v21, v19
	v_cvt_i32_f32_e32 v4, v18
	v_fmac_f32_e32 v17, 0x32a5705f, v14
	v_cndmask_b32_e32 v1, 0x7f800000, v1, vcc_lo
	v_cmp_ngt_f32_e32 vcc_lo, 0xc2ce8ed0, v5
	s_delay_alu instid0(VALU_DEP_2) | instskip(NEXT) | instid1(TRANS32_DEP_1)
	v_add_f32_e32 v0, v0, v1
	v_ldexp_f32 v1, v3, v4
	v_cndmask_b32_e32 v2, 0, v2, vcc_lo
	v_cmp_nlt_f32_e32 vcc_lo, 0x42b17218, v5
	v_dual_sub_f32 v4, v13, v12 :: v_dual_mul_f32 v13, 0x3fb8aa3b, v10
	s_delay_alu instid0(VALU_DEP_3) | instskip(SKIP_1) | instid1(VALU_DEP_3)
	v_cndmask_b32_e32 v2, 0x7f800000, v2, vcc_lo
	v_cmp_ngt_f32_e32 vcc_lo, 0xc2ce8ed0, v15
	v_mul_f32_e32 v5, 0x3fb8aa3b, v4
	v_cndmask_b32_e32 v1, 0, v1, vcc_lo
	v_cmp_nlt_f32_e32 vcc_lo, 0x42b17218, v15
	v_add_f32_e32 v0, v0, v2
	v_cvt_i32_f32_e32 v2, v19
	s_delay_alu instid0(VALU_DEP_4) | instskip(SKIP_1) | instid1(VALU_DEP_2)
	v_cndmask_b32_e32 v1, 0x7f800000, v1, vcc_lo
	v_cmp_ngt_f32_e32 vcc_lo, 0xc2ce8ed0, v14
	v_add_f32_e32 v0, v0, v1
	v_fma_f32 v1, 0x3fb8aa3b, v4, -v5
	s_delay_alu instid0(VALU_DEP_1) | instskip(NEXT) | instid1(VALU_DEP_1)
	v_dual_add_f32 v16, v16, v17 :: v_dual_fmac_f32 v1, 0x32a5705f, v4
	v_exp_f32_e32 v3, v16
	s_waitcnt_depctr 0xfff
	v_ldexp_f32 v2, v3, v2
	v_rndne_f32_e32 v3, v5
	s_delay_alu instid0(VALU_DEP_1) | instskip(SKIP_2) | instid1(VALU_DEP_3)
	v_dual_sub_f32 v5, v5, v3 :: v_dual_cndmask_b32 v2, 0, v2
	v_cmp_nlt_f32_e32 vcc_lo, 0x42b17218, v14
	v_cvt_i32_f32_e32 v3, v3
	v_dual_mul_f32 v14, 0x3fb8aa3b, v7 :: v_dual_add_f32 v1, v5, v1
	v_rndne_f32_e32 v5, v13
	v_cndmask_b32_e32 v2, 0x7f800000, v2, vcc_lo
	v_cmp_ngt_f32_e32 vcc_lo, 0xc2ce8ed0, v4
	s_delay_alu instid0(VALU_DEP_4)
	v_rndne_f32_e32 v15, v14
	v_exp_f32_e32 v1, v1
	s_waitcnt_depctr 0xfff
	v_ldexp_f32 v1, v1, v3
	v_add_f32_e32 v0, v0, v2
	v_fma_f32 v2, 0x3fb8aa3b, v10, -v13
	s_delay_alu instid0(VALU_DEP_3)
	v_cndmask_b32_e32 v1, 0, v1, vcc_lo
	v_cmp_nlt_f32_e32 vcc_lo, 0x42b17218, v4
	v_sub_f32_e32 v6, v6, v12
	v_sub_f32_e32 v12, v13, v5
	v_fma_f32 v13, 0x3fb8aa3b, v7, -v14
	v_cvt_i32_f32_e32 v5, v5
	v_cndmask_b32_e32 v1, 0x7f800000, v1, vcc_lo
	v_mul_f32_e32 v16, 0x3fb8aa3b, v6
	v_cvt_i32_f32_e32 v4, v15
	v_dual_fmac_f32 v13, 0x32a5705f, v7 :: v_dual_fmac_f32 v2, 0x32a5705f, v10
	v_cmp_ngt_f32_e32 vcc_lo, 0xc2ce8ed0, v10
	s_delay_alu instid0(VALU_DEP_4) | instskip(SKIP_1) | instid1(VALU_DEP_4)
	v_rndne_f32_e32 v17, v16
	v_add_f32_e32 v0, v0, v1
	v_add_f32_e32 v2, v12, v2
	v_sub_f32_e32 v12, v14, v15
	v_fma_f32 v14, 0x3fb8aa3b, v6, -v16
	s_delay_alu instid0(VALU_DEP_3) | instskip(NEXT) | instid1(VALU_DEP_1)
	v_exp_f32_e32 v2, v2
	v_dual_add_f32 v3, v12, v13 :: v_dual_fmac_f32 v14, 0x32a5705f, v6
	v_sub_f32_e32 v12, v16, v17
	s_delay_alu instid0(VALU_DEP_2) | instskip(NEXT) | instid1(VALU_DEP_1)
	v_exp_f32_e32 v3, v3
	v_add_f32_e32 v12, v12, v14
	s_waitcnt_depctr 0xfff
	v_ldexp_f32 v2, v2, v5
	v_exp_f32_e32 v5, v12
	s_delay_alu instid0(VALU_DEP_1) | instskip(SKIP_3) | instid1(VALU_DEP_4)
	v_cndmask_b32_e32 v2, 0, v2, vcc_lo
	v_cmp_nlt_f32_e32 vcc_lo, 0x42b17218, v10
	v_ldexp_f32 v1, v3, v4
	v_cvt_i32_f32_e32 v3, v17
	v_cndmask_b32_e32 v2, 0x7f800000, v2, vcc_lo
	v_cmp_ngt_f32_e32 vcc_lo, 0xc2ce8ed0, v7
	s_delay_alu instid0(TRANS32_DEP_1) | instid1(VALU_DEP_3)
	v_ldexp_f32 v3, v5, v3
	s_delay_alu instid0(VALU_DEP_3) | instskip(SKIP_1) | instid1(VALU_DEP_2)
	v_dual_add_f32 v0, v0, v2 :: v_dual_cndmask_b32 v1, 0, v1
	v_cmp_nlt_f32_e32 vcc_lo, 0x42b17218, v7
	v_cndmask_b32_e32 v1, 0x7f800000, v1, vcc_lo
	v_cmp_ngt_f32_e32 vcc_lo, 0xc2ce8ed0, v6
	s_delay_alu instid0(VALU_DEP_2) | instskip(SKIP_2) | instid1(VALU_DEP_2)
	v_add_f32_e32 v0, v0, v1
	v_cndmask_b32_e32 v2, 0, v3, vcc_lo
	v_cmp_nlt_f32_e32 vcc_lo, 0x42b17218, v6
	v_cndmask_b32_e32 v1, 0x7f800000, v2, vcc_lo
	v_cmp_eq_u32_e32 vcc_lo, 0, v11
	s_delay_alu instid0(VALU_DEP_2) | instskip(NEXT) | instid1(VALU_DEP_1)
	v_add_f32_e32 v0, v0, v1
	v_mov_b32_dpp v1, v0 quad_perm:[1,0,3,2] row_mask:0xf bank_mask:0xf
	s_delay_alu instid0(VALU_DEP_1) | instskip(NEXT) | instid1(VALU_DEP_1)
	v_add_f32_e32 v0, v0, v1
	v_mov_b32_dpp v1, v0 quad_perm:[2,3,0,1] row_mask:0xf bank_mask:0xf
	s_and_b32 exec_lo, exec_lo, vcc_lo
	s_cbranch_execz .LBB175_24
; %bb.20:
	s_delay_alu instid0(VALU_DEP_1) | instskip(NEXT) | instid1(VALU_DEP_1)
	v_add_f32_e32 v0, v0, v1
	v_add_f32_e32 v0, v9, v0
	s_delay_alu instid0(VALU_DEP_1)
	v_cmp_neq_f32_e32 vcc_lo, 0, v0
	s_and_b32 exec_lo, exec_lo, vcc_lo
	s_cbranch_execz .LBB175_24
; %bb.21:
	s_and_not1_b32 vcc_lo, exec_lo, s7
	s_cbranch_vccnz .LBB175_24
; %bb.22:
	v_div_scale_f32 v1, null, v0, v0, 1.0
	v_div_scale_f32 v4, vcc_lo, 1.0, v0, 1.0
	v_ashrrev_i32_e32 v9, 31, v8
	s_delay_alu instid0(VALU_DEP_3) | instskip(SKIP_2) | instid1(VALU_DEP_1)
	v_rcp_f32_e32 v2, v1
	s_waitcnt_depctr 0xfff
	v_fma_f32 v3, -v1, v2, 1.0
	v_fmac_f32_e32 v2, v3, v2
	s_delay_alu instid0(VALU_DEP_1) | instskip(NEXT) | instid1(VALU_DEP_1)
	v_mul_f32_e32 v3, v4, v2
	v_fma_f32 v5, -v1, v3, v4
	s_delay_alu instid0(VALU_DEP_1) | instskip(NEXT) | instid1(VALU_DEP_1)
	v_fmac_f32_e32 v3, v5, v2
	v_fma_f32 v1, -v1, v3, v4
	s_delay_alu instid0(VALU_DEP_1) | instskip(SKIP_1) | instid1(VALU_DEP_2)
	v_div_fmas_f32 v1, v1, v2, v3
	v_lshlrev_b64 v[3:4], 2, v[8:9]
	v_div_fixup_f32 v2, v1, v0, 1.0
	s_delay_alu instid0(VALU_DEP_2) | instskip(NEXT) | instid1(VALU_DEP_3)
	v_add_co_u32 v0, vcc_lo, s12, v3
	v_add_co_ci_u32_e32 v1, vcc_lo, s13, v4, vcc_lo
.LBB175_23:                             ; =>This Inner Loop Header: Depth=1
	global_load_b32 v3, v[0:1], off
	s_add_i32 s4, s4, -1
	s_delay_alu instid0(SALU_CYCLE_1)
	s_cmp_lg_u32 s4, 0
	s_waitcnt vmcnt(0)
	v_mul_f32_e32 v3, v2, v3
	global_store_b32 v[0:1], v3, off
	v_add_co_u32 v0, vcc_lo, v0, 4
	v_add_co_ci_u32_e32 v1, vcc_lo, 0, v1, vcc_lo
	s_cbranch_scc1 .LBB175_23
.LBB175_24:
	s_nop 0
	s_sendmsg sendmsg(MSG_DEALLOC_VGPRS)
	s_endpgm
	.section	.rodata,"a",@progbits
	.p2align	6, 0x0
	.amdhsa_kernel _ZN4vllm3moe17topkGatingSoftmaxIDF16_Li16ELi64ELi8ELi32ELb0ELi8ELNS0_23SharedExpertScoringFuncE1EEEvPKT_PKbPfiPiS9_iiiiii
		.amdhsa_group_segment_fixed_size 0
		.amdhsa_private_segment_fixed_size 0
		.amdhsa_kernarg_size 72
		.amdhsa_user_sgpr_count 15
		.amdhsa_user_sgpr_dispatch_ptr 0
		.amdhsa_user_sgpr_queue_ptr 0
		.amdhsa_user_sgpr_kernarg_segment_ptr 1
		.amdhsa_user_sgpr_dispatch_id 0
		.amdhsa_user_sgpr_private_segment_size 0
		.amdhsa_wavefront_size32 1
		.amdhsa_uses_dynamic_stack 0
		.amdhsa_enable_private_segment 0
		.amdhsa_system_sgpr_workgroup_id_x 1
		.amdhsa_system_sgpr_workgroup_id_y 0
		.amdhsa_system_sgpr_workgroup_id_z 0
		.amdhsa_system_sgpr_workgroup_info 0
		.amdhsa_system_vgpr_workitem_id 1
		.amdhsa_next_free_vgpr 52
		.amdhsa_next_free_sgpr 19
		.amdhsa_reserve_vcc 1
		.amdhsa_float_round_mode_32 0
		.amdhsa_float_round_mode_16_64 0
		.amdhsa_float_denorm_mode_32 3
		.amdhsa_float_denorm_mode_16_64 3
		.amdhsa_dx10_clamp 1
		.amdhsa_ieee_mode 1
		.amdhsa_fp16_overflow 0
		.amdhsa_workgroup_processor_mode 1
		.amdhsa_memory_ordered 1
		.amdhsa_forward_progress 0
		.amdhsa_shared_vgpr_count 0
		.amdhsa_exception_fp_ieee_invalid_op 0
		.amdhsa_exception_fp_denorm_src 0
		.amdhsa_exception_fp_ieee_div_zero 0
		.amdhsa_exception_fp_ieee_overflow 0
		.amdhsa_exception_fp_ieee_underflow 0
		.amdhsa_exception_fp_ieee_inexact 0
		.amdhsa_exception_int_div_zero 0
	.end_amdhsa_kernel
	.section	.text._ZN4vllm3moe17topkGatingSoftmaxIDF16_Li16ELi64ELi8ELi32ELb0ELi8ELNS0_23SharedExpertScoringFuncE1EEEvPKT_PKbPfiPiS9_iiiiii,"axG",@progbits,_ZN4vllm3moe17topkGatingSoftmaxIDF16_Li16ELi64ELi8ELi32ELb0ELi8ELNS0_23SharedExpertScoringFuncE1EEEvPKT_PKbPfiPiS9_iiiiii,comdat
.Lfunc_end175:
	.size	_ZN4vllm3moe17topkGatingSoftmaxIDF16_Li16ELi64ELi8ELi32ELb0ELi8ELNS0_23SharedExpertScoringFuncE1EEEvPKT_PKbPfiPiS9_iiiiii, .Lfunc_end175-_ZN4vllm3moe17topkGatingSoftmaxIDF16_Li16ELi64ELi8ELi32ELb0ELi8ELNS0_23SharedExpertScoringFuncE1EEEvPKT_PKbPfiPiS9_iiiiii
                                        ; -- End function
	.section	.AMDGPU.csdata,"",@progbits
; Kernel info:
; codeLenInByte = 4760
; NumSgprs: 21
; NumVgprs: 52
; ScratchSize: 0
; MemoryBound: 0
; FloatMode: 240
; IeeeMode: 1
; LDSByteSize: 0 bytes/workgroup (compile time only)
; SGPRBlocks: 2
; VGPRBlocks: 6
; NumSGPRsForWavesPerEU: 21
; NumVGPRsForWavesPerEU: 52
; Occupancy: 16
; WaveLimiterHint : 0
; COMPUTE_PGM_RSRC2:SCRATCH_EN: 0
; COMPUTE_PGM_RSRC2:USER_SGPR: 15
; COMPUTE_PGM_RSRC2:TRAP_HANDLER: 0
; COMPUTE_PGM_RSRC2:TGID_X_EN: 1
; COMPUTE_PGM_RSRC2:TGID_Y_EN: 0
; COMPUTE_PGM_RSRC2:TGID_Z_EN: 0
; COMPUTE_PGM_RSRC2:TIDIG_COMP_CNT: 1
	.section	.text._ZN4vllm3moe17topkGatingSoftmaxIDF16_Li16ELi128ELi8ELi32ELb1ELi0ELNS0_23SharedExpertScoringFuncE0EEEvPKT_PKbPfiPiS9_iiiiii,"axG",@progbits,_ZN4vllm3moe17topkGatingSoftmaxIDF16_Li16ELi128ELi8ELi32ELb1ELi0ELNS0_23SharedExpertScoringFuncE0EEEvPKT_PKbPfiPiS9_iiiiii,comdat
	.protected	_ZN4vllm3moe17topkGatingSoftmaxIDF16_Li16ELi128ELi8ELi32ELb1ELi0ELNS0_23SharedExpertScoringFuncE0EEEvPKT_PKbPfiPiS9_iiiiii ; -- Begin function _ZN4vllm3moe17topkGatingSoftmaxIDF16_Li16ELi128ELi8ELi32ELb1ELi0ELNS0_23SharedExpertScoringFuncE0EEEvPKT_PKbPfiPiS9_iiiiii
	.globl	_ZN4vllm3moe17topkGatingSoftmaxIDF16_Li16ELi128ELi8ELi32ELb1ELi0ELNS0_23SharedExpertScoringFuncE0EEEvPKT_PKbPfiPiS9_iiiiii
	.p2align	8
	.type	_ZN4vllm3moe17topkGatingSoftmaxIDF16_Li16ELi128ELi8ELi32ELb1ELi0ELNS0_23SharedExpertScoringFuncE0EEEvPKT_PKbPfiPiS9_iiiiii,@function
_ZN4vllm3moe17topkGatingSoftmaxIDF16_Li16ELi128ELi8ELi32ELb1ELi0ELNS0_23SharedExpertScoringFuncE0EEEvPKT_PKbPfiPiS9_iiiiii: ; @_ZN4vllm3moe17topkGatingSoftmaxIDF16_Li16ELi128ELi8ELi32ELb1ELi0ELNS0_23SharedExpertScoringFuncE0EEEvPKT_PKbPfiPiS9_iiiiii
; %bb.0:
	s_load_b32 s16, s[0:1], 0x18
	v_bfe_u32 v1, v0, 10, 10
	v_and_b32_e32 v0, 0x3ff, v0
	s_lshl_b32 s18, s15, 5
	s_mov_b32 s2, exec_lo
	s_delay_alu instid0(VALU_DEP_2) | instskip(NEXT) | instid1(VALU_DEP_2)
	v_lshlrev_b32_e32 v42, 2, v1
	v_lshrrev_b32_e32 v43, 3, v0
	s_delay_alu instid0(VALU_DEP_1) | instskip(SKIP_1) | instid1(VALU_DEP_1)
	v_add3_u32 v7, s18, v42, v43
	s_waitcnt lgkmcnt(0)
	v_cmpx_gt_i32_e64 s16, v7
	s_cbranch_execz .LBB176_20
; %bb.1:
	s_clause 0x1
	s_load_b128 s[4:7], s[0:1], 0x0
	s_load_b64 s[12:13], s[0:1], 0x10
	s_waitcnt lgkmcnt(0)
	s_cmp_eq_u64 s[6:7], 0
	s_cbranch_scc1 .LBB176_3
; %bb.2:
	v_ashrrev_i32_e32 v2, 31, v7
	v_add_co_u32 v1, vcc_lo, s6, v7
	s_delay_alu instid0(VALU_DEP_2) | instskip(SKIP_3) | instid1(VALU_DEP_1)
	v_add_co_ci_u32_e32 v2, vcc_lo, s7, v2, vcc_lo
	global_load_u8 v1, v[1:2], off
	s_waitcnt vmcnt(0)
	v_and_b32_e32 v1, 1, v1
	v_cmp_eq_u32_e32 vcc_lo, 1, v1
	s_xor_b32 s2, vcc_lo, -1
	s_delay_alu instid0(SALU_CYCLE_1)
	s_or_not1_b32 s17, s2, exec_lo
	s_branch .LBB176_4
.LBB176_3:
	s_mov_b32 s17, -1
.LBB176_4:
	s_load_b64 s[14:15], s[0:1], 0x40
	v_and_b32_e32 v8, 7, v0
	s_delay_alu instid0(VALU_DEP_1) | instskip(NEXT) | instid1(VALU_DEP_1)
	v_dual_mov_b32 v6, 0 :: v_dual_lshlrev_b32 v9, 4, v8
	v_or_b32_e32 v10, 1, v9
	v_or_b32_e32 v14, 2, v9
	s_waitcnt lgkmcnt(0)
	v_mul_lo_u32 v1, v7, s15
	s_delay_alu instid0(VALU_DEP_1) | instskip(NEXT) | instid1(VALU_DEP_1)
	v_ashrrev_i32_e32 v2, 31, v1
	v_lshlrev_b64 v[0:1], 1, v[1:2]
	v_lshlrev_b32_e32 v2, 5, v8
	s_delay_alu instid0(VALU_DEP_2) | instskip(NEXT) | instid1(VALU_DEP_3)
	v_add_co_u32 v0, vcc_lo, s4, v0
	v_add_co_ci_u32_e32 v1, vcc_lo, s5, v1, vcc_lo
	s_load_b128 s[4:7], s[0:1], 0x30
	s_delay_alu instid0(VALU_DEP_2) | instskip(NEXT) | instid1(VALU_DEP_2)
	v_add_co_u32 v4, vcc_lo, v0, v2
	v_add_co_ci_u32_e32 v5, vcc_lo, 0, v1, vcc_lo
	s_clause 0x1
	global_load_b128 v[0:3], v[4:5], off
	global_load_b128 v[35:38], v[4:5], off offset:16
	s_waitcnt vmcnt(1)
	v_lshrrev_b32_e32 v4, 16, v0
	v_cvt_f32_f16_e32 v11, v0
	v_cvt_f32_f16_e32 v13, v1
	;; [unrolled: 1-line block ×3, first 2 shown]
	v_lshrrev_b32_e32 v1, 16, v1
	v_cvt_f32_f16_e32 v12, v4
	v_cmp_lt_f16_e32 vcc_lo, v0, v4
	v_lshrrev_b32_e32 v2, 16, v2
	v_cvt_f32_f16_e32 v21, v3
	v_cvt_f32_f16_e32 v15, v1
	s_waitcnt vmcnt(0)
	v_cvt_f32_f16_e32 v25, v35
	v_cndmask_b32_e32 v4, v11, v12, vcc_lo
	v_cndmask_b32_e32 v0, v9, v10, vcc_lo
	v_cvt_f32_f16_e32 v19, v2
	v_lshrrev_b32_e32 v2, 16, v3
	v_cvt_f32_f16_e32 v29, v36
	v_cmp_lt_f32_e32 vcc_lo, v4, v13
	v_cvt_f32_f16_e32 v33, v37
	s_delay_alu instid0(VALU_DEP_4)
	v_cvt_f32_f16_e32 v23, v2
	v_lshrrev_b32_e32 v2, 16, v35
	v_cndmask_b32_e32 v1, v4, v13, vcc_lo
	v_cndmask_b32_e32 v0, v0, v14, vcc_lo
	v_or_b32_e32 v16, 3, v9
	v_or_b32_e32 v18, 4, v9
	;; [unrolled: 1-line block ×3, first 2 shown]
	v_cmp_lt_f32_e32 vcc_lo, v1, v15
	v_or_b32_e32 v22, 6, v9
	v_or_b32_e32 v24, 7, v9
	v_cvt_f32_f16_e32 v27, v2
	v_or_b32_e32 v26, 8, v9
	v_dual_cndmask_b32 v1, v1, v15 :: v_dual_cndmask_b32 v0, v0, v16
	v_or_b32_e32 v28, 9, v9
	v_lshrrev_b32_e32 v2, 16, v36
	v_or_b32_e32 v30, 10, v9
	s_delay_alu instid0(VALU_DEP_4)
	v_cmp_lt_f32_e32 vcc_lo, v1, v17
	v_or_b32_e32 v32, 11, v9
	v_or_b32_e32 v34, 12, v9
	v_cvt_f32_f16_e32 v31, v2
	v_lshrrev_b32_e32 v2, 16, v37
	v_dual_cndmask_b32 v1, v1, v17 :: v_dual_cndmask_b32 v0, v0, v18
	v_cvt_f32_f16_e32 v37, v38
	v_or_b32_e32 v36, 13, v9
	s_delay_alu instid0(VALU_DEP_4) | instskip(NEXT) | instid1(VALU_DEP_4)
	v_cvt_f32_f16_e32 v35, v2
	v_cmp_lt_f32_e32 vcc_lo, v1, v19
	v_lshrrev_b32_e32 v2, 16, v38
	v_or_b32_e32 v38, 14, v9
	v_or_b32_e32 v40, 15, v9
	v_dual_cndmask_b32 v1, v1, v19 :: v_dual_cndmask_b32 v0, v0, v20
	s_delay_alu instid0(VALU_DEP_4) | instskip(NEXT) | instid1(VALU_DEP_2)
	v_cvt_f32_f16_e32 v39, v2
	v_cmp_lt_f32_e32 vcc_lo, v1, v21
	s_delay_alu instid0(VALU_DEP_3) | instskip(NEXT) | instid1(VALU_DEP_1)
	v_dual_cndmask_b32 v1, v1, v21 :: v_dual_cndmask_b32 v0, v0, v22
	v_cmp_lt_f32_e32 vcc_lo, v1, v23
	s_delay_alu instid0(VALU_DEP_2) | instskip(NEXT) | instid1(VALU_DEP_1)
	v_dual_cndmask_b32 v1, v1, v23 :: v_dual_cndmask_b32 v0, v0, v24
	v_cmp_lt_f32_e32 vcc_lo, v1, v25
	s_delay_alu instid0(VALU_DEP_2) | instskip(NEXT) | instid1(VALU_DEP_1)
	;; [unrolled: 3-line block ×9, first 2 shown]
	v_dual_cndmask_b32 v0, v0, v40 :: v_dual_cndmask_b32 v1, v1, v39
	v_mov_b32_dpp v2, v0 quad_perm:[1,0,3,2] row_mask:0xf bank_mask:0xf
	s_delay_alu instid0(VALU_DEP_2) | instskip(NEXT) | instid1(VALU_DEP_2)
	v_mov_b32_dpp v3, v1 quad_perm:[1,0,3,2] row_mask:0xf bank_mask:0xf
	v_cmp_lt_i32_e32 vcc_lo, v2, v0
	s_delay_alu instid0(VALU_DEP_2) | instskip(SKIP_1) | instid1(VALU_DEP_2)
	v_cmp_eq_f32_e64 s2, v1, v3
	v_cmp_lt_f32_e64 s3, v1, v3
	s_and_b32 s2, s2, vcc_lo
	s_delay_alu instid0(VALU_DEP_1) | instid1(SALU_CYCLE_1)
	s_or_b32 vcc_lo, s3, s2
	v_dual_cndmask_b32 v1, v1, v3 :: v_dual_cndmask_b32 v0, v0, v2
	s_delay_alu instid0(VALU_DEP_1) | instskip(NEXT) | instid1(VALU_DEP_2)
	v_mov_b32_dpp v2, v1 quad_perm:[2,3,0,1] row_mask:0xf bank_mask:0xf
	v_mov_b32_dpp v3, v0 quad_perm:[2,3,0,1] row_mask:0xf bank_mask:0xf
	s_delay_alu instid0(VALU_DEP_2) | instskip(NEXT) | instid1(VALU_DEP_2)
	v_cmp_eq_f32_e32 vcc_lo, v1, v2
	v_cmp_lt_i32_e64 s2, v3, v0
	v_cmp_lt_f32_e64 s3, v1, v2
	s_delay_alu instid0(VALU_DEP_2)
	s_and_b32 s2, vcc_lo, s2
	s_delay_alu instid0(VALU_DEP_1) | instid1(SALU_CYCLE_1)
	s_or_b32 vcc_lo, s3, s2
	s_waitcnt lgkmcnt(0)
	s_cmp_gt_i32 s4, 0
	v_cndmask_b32_e32 v2, v1, v2, vcc_lo
	v_cndmask_b32_e32 v0, v0, v3, vcc_lo
	v_cmp_eq_u32_e32 vcc_lo, 0, v8
	s_cselect_b32 s3, -1, 0
	s_cmp_lt_i32 s4, 1
	v_mov_b32_dpp v4, v2 row_half_mirror row_mask:0xf bank_mask:0xf
	v_mov_b32_dpp v41, v0 row_half_mirror row_mask:0xf bank_mask:0xf
	s_cbranch_scc1 .LBB176_16
; %bb.5:
	s_load_b128 s[8:11], s[0:1], 0x20
	s_delay_alu instid0(VALU_DEP_2) | instskip(NEXT) | instid1(VALU_DEP_2)
	v_cmp_eq_f32_e64 s0, v2, v4
	v_cmp_lt_i32_e64 s1, v41, v0
	v_cmp_lt_f32_e64 s2, v2, v4
	v_mul_lo_u32 v1, v7, s7
	v_mul_lo_u32 v3, v7, s14
	;; [unrolled: 1-line block ×3, first 2 shown]
	s_and_b32 s0, s0, s1
	v_mov_b32_e32 v6, 0
	s_or_b32 s0, s2, s0
	s_delay_alu instid0(SALU_CYCLE_1)
	v_cndmask_b32_e64 v0, v0, v41, s0
	v_cndmask_b32_e64 v41, v2, v4, s0
	s_and_saveexec_b32 s2, vcc_lo
	s_cbranch_execz .LBB176_7
; %bb.6:
	s_delay_alu instid0(VALU_DEP_1)
	v_sub_f32_e32 v50, v41, v41
	v_cmp_le_i32_e64 s0, s5, v0
	v_cmp_gt_i32_e64 s1, s6, v0
	v_subrev_nc_u32_e32 v51, s5, v0
	v_ashrrev_i32_e32 v6, 31, v5
	v_mul_f32_e32 v2, 0x3fb8aa3b, v50
	s_delay_alu instid0(VALU_DEP_4) | instskip(NEXT) | instid1(SALU_CYCLE_1)
	s_and_b32 s0, s0, s1
	s_and_b32 s0, s17, s0
	s_delay_alu instid0(VALU_DEP_1) | instskip(SKIP_2) | instid1(VALU_DEP_3)
	v_rndne_f32_e32 v46, v2
	v_fma_f32 v4, 0x3fb8aa3b, v50, -v2
	v_lshlrev_b64 v[48:49], 2, v[5:6]
	v_sub_f32_e32 v2, v2, v46
	s_delay_alu instid0(VALU_DEP_3) | instskip(NEXT) | instid1(VALU_DEP_1)
	v_fmamk_f32 v4, v50, 0x32a5705f, v4
	v_add_f32_e32 v4, v2, v4
	v_ashrrev_i32_e32 v2, 31, v1
	s_delay_alu instid0(VALU_DEP_2) | instskip(NEXT) | instid1(VALU_DEP_1)
	v_exp_f32_e32 v52, v4
	v_lshlrev_b64 v[44:45], 2, v[1:2]
	v_ashrrev_i32_e32 v4, 31, v3
	v_cvt_i32_f32_e32 v2, v46
	s_delay_alu instid0(VALU_DEP_2) | instskip(SKIP_2) | instid1(VALU_DEP_1)
	v_lshlrev_b64 v[46:47], 2, v[3:4]
	v_cndmask_b32_e64 v4, 0x80, v51, s0
	v_add_co_u32 v44, s0, s12, v44
	v_add_co_ci_u32_e64 v45, s0, s13, v45, s0
	s_delay_alu instid0(TRANS32_DEP_1) | instskip(SKIP_1) | instid1(VALU_DEP_1)
	v_ldexp_f32 v2, v52, v2
	v_cmp_ngt_f32_e64 s0, 0xc2ce8ed0, v50
	v_cndmask_b32_e64 v2, 0, v2, s0
	s_waitcnt lgkmcnt(0)
	v_add_co_u32 v46, s0, s8, v46
	s_delay_alu instid0(VALU_DEP_1) | instskip(SKIP_1) | instid1(VALU_DEP_1)
	v_add_co_ci_u32_e64 v47, s0, s9, v47, s0
	v_cmp_nlt_f32_e64 s0, 0x42b17218, v50
	v_cndmask_b32_e64 v6, 0x7f800000, v2, s0
	v_add_co_u32 v48, s0, s10, v48
	s_delay_alu instid0(VALU_DEP_1)
	v_add_co_ci_u32_e64 v49, s0, s11, v49, s0
	global_store_b32 v[46:47], v4, off
	global_store_b32 v[44:45], v6, off
	;; [unrolled: 1-line block ×3, first 2 shown]
.LBB176_7:
	s_or_b32 exec_lo, exec_lo, s2
	v_ashrrev_i32_e32 v4, 31, v0
	s_mov_b32 s1, exec_lo
	s_delay_alu instid0(VALU_DEP_1) | instskip(NEXT) | instid1(VALU_DEP_1)
	v_lshrrev_b32_e32 v2, 28, v4
	v_add_nc_u32_e32 v2, v0, v2
	s_delay_alu instid0(VALU_DEP_1) | instskip(NEXT) | instid1(VALU_DEP_1)
	v_ashrrev_i32_e32 v2, 4, v2
	v_lshrrev_b32_e32 v44, 29, v2
	s_delay_alu instid0(VALU_DEP_1) | instskip(NEXT) | instid1(VALU_DEP_1)
	v_add_nc_u32_e32 v44, v2, v44
	v_and_b32_e32 v44, -8, v44
	s_delay_alu instid0(VALU_DEP_1) | instskip(NEXT) | instid1(VALU_DEP_1)
	v_sub_nc_u32_e32 v44, v2, v44
	v_cmpx_eq_u32_e64 v8, v44
	s_cbranch_execz .LBB176_9
; %bb.8:
	v_lshrrev_b32_e32 v4, 25, v4
	v_lshlrev_b32_e32 v2, 4, v2
	s_delay_alu instid0(VALU_DEP_2) | instskip(NEXT) | instid1(VALU_DEP_2)
	v_add_nc_u32_e32 v4, v0, v4
	v_sub_nc_u32_e32 v0, v0, v2
	s_delay_alu instid0(VALU_DEP_2) | instskip(NEXT) | instid1(VALU_DEP_1)
	v_ashrrev_i32_e32 v2, 7, v4
	v_lshl_add_u32 v0, v2, 4, v0
	s_delay_alu instid0(VALU_DEP_1) | instskip(NEXT) | instid1(VALU_DEP_1)
	v_cmp_ne_u32_e64 s0, 15, v0
	v_cndmask_b32_e64 v39, 0xff800000, v39, s0
	v_cmp_ne_u32_e64 s0, 14, v0
	s_delay_alu instid0(VALU_DEP_1) | instskip(SKIP_1) | instid1(VALU_DEP_1)
	v_cndmask_b32_e64 v37, 0xff800000, v37, s0
	v_cmp_ne_u32_e64 s0, 13, v0
	v_cndmask_b32_e64 v35, 0xff800000, v35, s0
	v_cmp_ne_u32_e64 s0, 12, v0
	s_delay_alu instid0(VALU_DEP_1) | instskip(SKIP_1) | instid1(VALU_DEP_1)
	v_cndmask_b32_e64 v33, 0xff800000, v33, s0
	;; [unrolled: 5-line block ×7, first 2 shown]
	v_cmp_ne_u32_e64 s0, 1, v0
	v_cndmask_b32_e64 v12, 0xff800000, v12, s0
	v_cmp_ne_u32_e64 s0, 0, v0
	s_delay_alu instid0(VALU_DEP_1)
	v_cndmask_b32_e64 v11, 0xff800000, v11, s0
.LBB176_9:
	s_or_b32 exec_lo, exec_lo, s1
	s_cmp_eq_u32 s4, 1
	s_cbranch_scc1 .LBB176_16
; %bb.10:
	s_add_i32 s18, s18, s16
	v_add_nc_u32_e32 v0, 1, v5
	v_add3_u32 v42, s18, v43, v42
	v_add_nc_u32_e32 v2, 1, v3
	v_add_nc_u32_e32 v4, 1, v1
	s_add_i32 s14, s4, -1
	s_branch .LBB176_12
.LBB176_11:                             ;   in Loop: Header=BB176_12 Depth=1
	s_or_b32 exec_lo, exec_lo, s1
	v_add_nc_u32_e32 v42, s16, v42
	v_add_nc_u32_e32 v0, 1, v0
	;; [unrolled: 1-line block ×4, first 2 shown]
	s_add_i32 s14, s14, -1
	s_delay_alu instid0(SALU_CYCLE_1)
	s_cmp_eq_u32 s14, 0
	s_cbranch_scc1 .LBB176_16
.LBB176_12:                             ; =>This Inner Loop Header: Depth=1
	v_cmp_gt_f32_e64 s0, v12, v11
	s_delay_alu instid0(VALU_DEP_1) | instskip(SKIP_1) | instid1(VALU_DEP_2)
	v_cndmask_b32_e64 v3, v11, v12, s0
	v_cndmask_b32_e64 v1, v9, v10, s0
	v_cmp_gt_f32_e64 s0, v13, v3
	s_delay_alu instid0(VALU_DEP_1) | instskip(NEXT) | instid1(VALU_DEP_3)
	v_cndmask_b32_e64 v3, v3, v13, s0
	v_cndmask_b32_e64 v1, v1, v14, s0
	s_delay_alu instid0(VALU_DEP_2) | instskip(NEXT) | instid1(VALU_DEP_1)
	v_cmp_gt_f32_e64 s0, v15, v3
	v_cndmask_b32_e64 v3, v3, v15, s0
	s_delay_alu instid0(VALU_DEP_3) | instskip(NEXT) | instid1(VALU_DEP_2)
	v_cndmask_b32_e64 v1, v1, v16, s0
	v_cmp_gt_f32_e64 s0, v17, v3
	s_delay_alu instid0(VALU_DEP_1) | instskip(NEXT) | instid1(VALU_DEP_3)
	v_cndmask_b32_e64 v3, v3, v17, s0
	v_cndmask_b32_e64 v1, v1, v18, s0
	s_delay_alu instid0(VALU_DEP_2) | instskip(NEXT) | instid1(VALU_DEP_1)
	v_cmp_gt_f32_e64 s0, v19, v3
	v_cndmask_b32_e64 v3, v3, v19, s0
	s_delay_alu instid0(VALU_DEP_3) | instskip(NEXT) | instid1(VALU_DEP_2)
	v_cndmask_b32_e64 v1, v1, v20, s0
	v_cmp_gt_f32_e64 s0, v21, v3
	s_delay_alu instid0(VALU_DEP_1) | instskip(NEXT) | instid1(VALU_DEP_3)
	v_cndmask_b32_e64 v3, v3, v21, s0
	v_cndmask_b32_e64 v1, v1, v22, s0
	s_delay_alu instid0(VALU_DEP_2) | instskip(NEXT) | instid1(VALU_DEP_1)
	v_cmp_gt_f32_e64 s0, v23, v3
	v_cndmask_b32_e64 v3, v3, v23, s0
	s_delay_alu instid0(VALU_DEP_3) | instskip(NEXT) | instid1(VALU_DEP_2)
	v_cndmask_b32_e64 v1, v1, v24, s0
	v_cmp_gt_f32_e64 s0, v25, v3
	s_delay_alu instid0(VALU_DEP_1) | instskip(NEXT) | instid1(VALU_DEP_3)
	v_cndmask_b32_e64 v3, v3, v25, s0
	v_cndmask_b32_e64 v1, v1, v26, s0
	s_delay_alu instid0(VALU_DEP_2) | instskip(NEXT) | instid1(VALU_DEP_1)
	v_cmp_gt_f32_e64 s0, v27, v3
	v_cndmask_b32_e64 v3, v3, v27, s0
	s_delay_alu instid0(VALU_DEP_3) | instskip(NEXT) | instid1(VALU_DEP_2)
	v_cndmask_b32_e64 v1, v1, v28, s0
	v_cmp_gt_f32_e64 s0, v29, v3
	s_delay_alu instid0(VALU_DEP_1) | instskip(NEXT) | instid1(VALU_DEP_3)
	v_cndmask_b32_e64 v3, v3, v29, s0
	v_cndmask_b32_e64 v1, v1, v30, s0
	s_delay_alu instid0(VALU_DEP_2) | instskip(NEXT) | instid1(VALU_DEP_1)
	v_cmp_gt_f32_e64 s0, v31, v3
	v_cndmask_b32_e64 v3, v3, v31, s0
	s_delay_alu instid0(VALU_DEP_3) | instskip(NEXT) | instid1(VALU_DEP_2)
	v_cndmask_b32_e64 v1, v1, v32, s0
	v_cmp_gt_f32_e64 s0, v33, v3
	s_delay_alu instid0(VALU_DEP_1) | instskip(NEXT) | instid1(VALU_DEP_3)
	v_cndmask_b32_e64 v3, v3, v33, s0
	v_cndmask_b32_e64 v1, v1, v34, s0
	s_delay_alu instid0(VALU_DEP_2) | instskip(NEXT) | instid1(VALU_DEP_1)
	v_cmp_gt_f32_e64 s0, v35, v3
	v_cndmask_b32_e64 v3, v3, v35, s0
	s_delay_alu instid0(VALU_DEP_3) | instskip(NEXT) | instid1(VALU_DEP_2)
	v_cndmask_b32_e64 v1, v1, v36, s0
	v_cmp_gt_f32_e64 s0, v37, v3
	s_delay_alu instid0(VALU_DEP_1) | instskip(NEXT) | instid1(VALU_DEP_3)
	v_cndmask_b32_e64 v3, v3, v37, s0
	v_cndmask_b32_e64 v1, v1, v38, s0
	s_delay_alu instid0(VALU_DEP_2) | instskip(NEXT) | instid1(VALU_DEP_1)
	v_cmp_gt_f32_e64 s0, v39, v3
	v_cndmask_b32_e64 v1, v1, v40, s0
	v_cndmask_b32_e64 v3, v3, v39, s0
	s_delay_alu instid0(VALU_DEP_2) | instskip(NEXT) | instid1(VALU_DEP_2)
	v_mov_b32_dpp v5, v1 quad_perm:[1,0,3,2] row_mask:0xf bank_mask:0xf
	v_mov_b32_dpp v43, v3 quad_perm:[1,0,3,2] row_mask:0xf bank_mask:0xf
	s_delay_alu instid0(VALU_DEP_2) | instskip(NEXT) | instid1(VALU_DEP_2)
	v_cmp_lt_i32_e64 s0, v5, v1
	v_cmp_eq_f32_e64 s1, v3, v43
	v_cmp_lt_f32_e64 s2, v3, v43
	s_delay_alu instid0(VALU_DEP_2)
	s_and_b32 s0, s1, s0
	s_delay_alu instid0(VALU_DEP_1) | instid1(SALU_CYCLE_1)
	s_or_b32 s0, s2, s0
	s_delay_alu instid0(SALU_CYCLE_1) | instskip(SKIP_1) | instid1(VALU_DEP_2)
	v_cndmask_b32_e64 v3, v3, v43, s0
	v_cndmask_b32_e64 v5, v1, v5, s0
	v_mov_b32_dpp v1, v3 quad_perm:[2,3,0,1] row_mask:0xf bank_mask:0xf
	s_delay_alu instid0(VALU_DEP_2) | instskip(NEXT) | instid1(VALU_DEP_2)
	v_mov_b32_dpp v43, v5 quad_perm:[2,3,0,1] row_mask:0xf bank_mask:0xf
	v_cmp_eq_f32_e64 s0, v3, v1
	s_delay_alu instid0(VALU_DEP_2) | instskip(SKIP_1) | instid1(VALU_DEP_2)
	v_cmp_lt_i32_e64 s1, v43, v5
	v_cmp_lt_f32_e64 s2, v3, v1
	s_and_b32 s0, s0, s1
	s_delay_alu instid0(VALU_DEP_1) | instid1(SALU_CYCLE_1)
	s_or_b32 s0, s2, s0
	s_delay_alu instid0(SALU_CYCLE_1) | instskip(SKIP_1) | instid1(VALU_DEP_2)
	v_cndmask_b32_e64 v1, v3, v1, s0
	v_cndmask_b32_e64 v5, v5, v43, s0
	v_mov_b32_dpp v3, v1 row_half_mirror row_mask:0xf bank_mask:0xf
	s_delay_alu instid0(VALU_DEP_2) | instskip(NEXT) | instid1(VALU_DEP_2)
	v_mov_b32_dpp v43, v5 row_half_mirror row_mask:0xf bank_mask:0xf
	v_cmp_eq_f32_e64 s0, v1, v3
	s_delay_alu instid0(VALU_DEP_2) | instskip(SKIP_1) | instid1(VALU_DEP_2)
	v_cmp_lt_i32_e64 s1, v43, v5
	v_cmp_lt_f32_e64 s2, v1, v3
	s_and_b32 s0, s0, s1
	s_delay_alu instid0(VALU_DEP_1) | instid1(SALU_CYCLE_1)
	s_or_b32 s0, s2, s0
	s_delay_alu instid0(SALU_CYCLE_1)
	v_cndmask_b32_e64 v43, v5, v43, s0
	s_and_saveexec_b32 s2, vcc_lo
	s_cbranch_execz .LBB176_14
; %bb.13:                               ;   in Loop: Header=BB176_12 Depth=1
	v_cndmask_b32_e64 v1, v1, v3, s0
	s_delay_alu instid0(VALU_DEP_2) | instskip(SKIP_4) | instid1(VALU_DEP_4)
	v_cmp_le_i32_e64 s0, s5, v43
	v_cmp_gt_i32_e64 s1, s6, v43
	v_ashrrev_i32_e32 v5, 31, v4
	v_subrev_nc_u32_e32 v51, s5, v43
	v_sub_f32_e32 v50, v1, v41
	s_and_b32 s0, s0, s1
	s_delay_alu instid0(SALU_CYCLE_1) | instskip(NEXT) | instid1(VALU_DEP_1)
	s_and_b32 s0, s17, s0
	v_mul_f32_e32 v1, 0x3fb8aa3b, v50
	s_delay_alu instid0(VALU_DEP_1) | instskip(SKIP_1) | instid1(VALU_DEP_2)
	v_fma_f32 v3, 0x3fb8aa3b, v50, -v1
	v_rndne_f32_e32 v44, v1
	v_fmac_f32_e32 v3, 0x32a5705f, v50
	s_delay_alu instid0(VALU_DEP_2) | instskip(SKIP_2) | instid1(VALU_DEP_3)
	v_sub_f32_e32 v1, v1, v44
	v_cvt_i32_f32_e32 v49, v44
	v_lshlrev_b64 v[44:45], 2, v[4:5]
	v_add_f32_e32 v1, v1, v3
	v_ashrrev_i32_e32 v3, 31, v2
	s_delay_alu instid0(VALU_DEP_2) | instskip(SKIP_1) | instid1(VALU_DEP_2)
	v_exp_f32_e32 v48, v1
	v_ashrrev_i32_e32 v1, 31, v0
	v_lshlrev_b64 v[46:47], 2, v[2:3]
	s_waitcnt_depctr 0xfff
	v_ldexp_f32 v3, v48, v49
	v_lshlrev_b64 v[48:49], 2, v[0:1]
	v_cndmask_b32_e64 v1, 0x80, v51, s0
	v_cmp_ngt_f32_e64 s0, 0xc2ce8ed0, v50
	s_delay_alu instid0(VALU_DEP_1) | instskip(SKIP_1) | instid1(VALU_DEP_1)
	v_cndmask_b32_e64 v3, 0, v3, s0
	v_add_co_u32 v44, s0, s12, v44
	v_add_co_ci_u32_e64 v45, s0, s13, v45, s0
	v_cmp_nlt_f32_e64 s0, 0x42b17218, v50
	s_delay_alu instid0(VALU_DEP_1) | instskip(SKIP_2) | instid1(VALU_DEP_1)
	v_cndmask_b32_e64 v3, 0x7f800000, v3, s0
	s_waitcnt lgkmcnt(0)
	v_add_co_u32 v46, s0, s8, v46
	v_add_co_ci_u32_e64 v47, s0, s9, v47, s0
	s_delay_alu instid0(VALU_DEP_3) | instskip(SKIP_1) | instid1(VALU_DEP_1)
	v_add_f32_e32 v6, v6, v3
	v_add_co_u32 v48, s0, s10, v48
	v_add_co_ci_u32_e64 v49, s0, s11, v49, s0
	global_store_b32 v[44:45], v3, off
	global_store_b32 v[46:47], v1, off
	;; [unrolled: 1-line block ×3, first 2 shown]
.LBB176_14:                             ;   in Loop: Header=BB176_12 Depth=1
	s_or_b32 exec_lo, exec_lo, s2
	s_delay_alu instid0(VALU_DEP_1) | instskip(SKIP_1) | instid1(VALU_DEP_1)
	v_ashrrev_i32_e32 v3, 31, v43
	s_mov_b32 s1, exec_lo
	v_lshrrev_b32_e32 v1, 28, v3
	s_delay_alu instid0(VALU_DEP_1) | instskip(NEXT) | instid1(VALU_DEP_1)
	v_add_nc_u32_e32 v1, v43, v1
	v_ashrrev_i32_e32 v1, 4, v1
	s_delay_alu instid0(VALU_DEP_1) | instskip(NEXT) | instid1(VALU_DEP_1)
	v_lshrrev_b32_e32 v5, 29, v1
	v_add_nc_u32_e32 v5, v1, v5
	s_delay_alu instid0(VALU_DEP_1) | instskip(NEXT) | instid1(VALU_DEP_1)
	v_and_b32_e32 v5, -8, v5
	v_sub_nc_u32_e32 v5, v1, v5
	s_delay_alu instid0(VALU_DEP_1)
	v_cmpx_eq_u32_e64 v8, v5
	s_cbranch_execz .LBB176_11
; %bb.15:                               ;   in Loop: Header=BB176_12 Depth=1
	v_lshrrev_b32_e32 v3, 25, v3
	v_lshlrev_b32_e32 v1, 4, v1
	s_delay_alu instid0(VALU_DEP_2) | instskip(NEXT) | instid1(VALU_DEP_2)
	v_add_nc_u32_e32 v3, v43, v3
	v_sub_nc_u32_e32 v1, v43, v1
	s_delay_alu instid0(VALU_DEP_2) | instskip(NEXT) | instid1(VALU_DEP_1)
	v_ashrrev_i32_e32 v3, 7, v3
	v_lshl_add_u32 v1, v3, 4, v1
	s_delay_alu instid0(VALU_DEP_1) | instskip(NEXT) | instid1(VALU_DEP_1)
	v_cmp_ne_u32_e64 s0, 15, v1
	v_cndmask_b32_e64 v39, 0xff800000, v39, s0
	v_cmp_ne_u32_e64 s0, 14, v1
	s_delay_alu instid0(VALU_DEP_1) | instskip(SKIP_1) | instid1(VALU_DEP_1)
	v_cndmask_b32_e64 v37, 0xff800000, v37, s0
	v_cmp_ne_u32_e64 s0, 13, v1
	v_cndmask_b32_e64 v35, 0xff800000, v35, s0
	v_cmp_ne_u32_e64 s0, 12, v1
	s_delay_alu instid0(VALU_DEP_1) | instskip(SKIP_1) | instid1(VALU_DEP_1)
	v_cndmask_b32_e64 v33, 0xff800000, v33, s0
	;; [unrolled: 5-line block ×7, first 2 shown]
	v_cmp_ne_u32_e64 s0, 1, v1
	v_cndmask_b32_e64 v12, 0xff800000, v12, s0
	v_cmp_ne_u32_e64 s0, 0, v1
	s_delay_alu instid0(VALU_DEP_1)
	v_cndmask_b32_e64 v11, 0xff800000, v11, s0
	s_branch .LBB176_11
.LBB176_16:
	v_cmp_eq_u32_e32 vcc_lo, 0, v8
	v_cmp_neq_f32_e64 s0, 0, v6
	s_delay_alu instid0(VALU_DEP_1) | instskip(NEXT) | instid1(SALU_CYCLE_1)
	s_and_b32 s0, vcc_lo, s0
	s_and_b32 exec_lo, exec_lo, s0
	s_cbranch_execz .LBB176_20
; %bb.17:
	s_and_not1_b32 vcc_lo, exec_lo, s3
	s_cbranch_vccnz .LBB176_20
; %bb.18:
	v_div_scale_f32 v1, null, v6, v6, 1.0
	v_div_scale_f32 v3, vcc_lo, 1.0, v6, 1.0
	s_delay_alu instid0(VALU_DEP_2) | instskip(SKIP_2) | instid1(VALU_DEP_1)
	v_rcp_f32_e32 v2, v1
	s_waitcnt_depctr 0xfff
	v_fma_f32 v0, -v1, v2, 1.0
	v_fmac_f32_e32 v2, v0, v2
	v_mul_lo_u32 v0, v7, s7
	s_delay_alu instid0(VALU_DEP_2) | instskip(NEXT) | instid1(VALU_DEP_1)
	v_mul_f32_e32 v4, v3, v2
	v_fma_f32 v5, -v1, v4, v3
	s_delay_alu instid0(VALU_DEP_1) | instskip(NEXT) | instid1(VALU_DEP_1)
	v_fmac_f32_e32 v4, v5, v2
	v_fma_f32 v3, -v1, v4, v3
	v_ashrrev_i32_e32 v1, 31, v0
	s_delay_alu instid0(VALU_DEP_2) | instskip(NEXT) | instid1(VALU_DEP_2)
	v_div_fmas_f32 v2, v3, v2, v4
	v_lshlrev_b64 v[0:1], 2, v[0:1]
	s_delay_alu instid0(VALU_DEP_2) | instskip(NEXT) | instid1(VALU_DEP_2)
	v_div_fixup_f32 v2, v2, v6, 1.0
	v_add_co_u32 v0, vcc_lo, s12, v0
	s_delay_alu instid0(VALU_DEP_3)
	v_add_co_ci_u32_e32 v1, vcc_lo, s13, v1, vcc_lo
.LBB176_19:                             ; =>This Inner Loop Header: Depth=1
	global_load_b32 v3, v[0:1], off
	s_add_i32 s4, s4, -1
	s_delay_alu instid0(SALU_CYCLE_1)
	s_cmp_lg_u32 s4, 0
	s_waitcnt vmcnt(0)
	v_mul_f32_e32 v3, v2, v3
	global_store_b32 v[0:1], v3, off
	v_add_co_u32 v0, vcc_lo, v0, 4
	v_add_co_ci_u32_e32 v1, vcc_lo, 0, v1, vcc_lo
	s_cbranch_scc1 .LBB176_19
.LBB176_20:
	s_nop 0
	s_sendmsg sendmsg(MSG_DEALLOC_VGPRS)
	s_endpgm
	.section	.rodata,"a",@progbits
	.p2align	6, 0x0
	.amdhsa_kernel _ZN4vllm3moe17topkGatingSoftmaxIDF16_Li16ELi128ELi8ELi32ELb1ELi0ELNS0_23SharedExpertScoringFuncE0EEEvPKT_PKbPfiPiS9_iiiiii
		.amdhsa_group_segment_fixed_size 0
		.amdhsa_private_segment_fixed_size 0
		.amdhsa_kernarg_size 72
		.amdhsa_user_sgpr_count 15
		.amdhsa_user_sgpr_dispatch_ptr 0
		.amdhsa_user_sgpr_queue_ptr 0
		.amdhsa_user_sgpr_kernarg_segment_ptr 1
		.amdhsa_user_sgpr_dispatch_id 0
		.amdhsa_user_sgpr_private_segment_size 0
		.amdhsa_wavefront_size32 1
		.amdhsa_uses_dynamic_stack 0
		.amdhsa_enable_private_segment 0
		.amdhsa_system_sgpr_workgroup_id_x 1
		.amdhsa_system_sgpr_workgroup_id_y 0
		.amdhsa_system_sgpr_workgroup_id_z 0
		.amdhsa_system_sgpr_workgroup_info 0
		.amdhsa_system_vgpr_workitem_id 1
		.amdhsa_next_free_vgpr 53
		.amdhsa_next_free_sgpr 19
		.amdhsa_reserve_vcc 1
		.amdhsa_float_round_mode_32 0
		.amdhsa_float_round_mode_16_64 0
		.amdhsa_float_denorm_mode_32 3
		.amdhsa_float_denorm_mode_16_64 3
		.amdhsa_dx10_clamp 1
		.amdhsa_ieee_mode 1
		.amdhsa_fp16_overflow 0
		.amdhsa_workgroup_processor_mode 1
		.amdhsa_memory_ordered 1
		.amdhsa_forward_progress 0
		.amdhsa_shared_vgpr_count 0
		.amdhsa_exception_fp_ieee_invalid_op 0
		.amdhsa_exception_fp_denorm_src 0
		.amdhsa_exception_fp_ieee_div_zero 0
		.amdhsa_exception_fp_ieee_overflow 0
		.amdhsa_exception_fp_ieee_underflow 0
		.amdhsa_exception_fp_ieee_inexact 0
		.amdhsa_exception_int_div_zero 0
	.end_amdhsa_kernel
	.section	.text._ZN4vllm3moe17topkGatingSoftmaxIDF16_Li16ELi128ELi8ELi32ELb1ELi0ELNS0_23SharedExpertScoringFuncE0EEEvPKT_PKbPfiPiS9_iiiiii,"axG",@progbits,_ZN4vllm3moe17topkGatingSoftmaxIDF16_Li16ELi128ELi8ELi32ELb1ELi0ELNS0_23SharedExpertScoringFuncE0EEEvPKT_PKbPfiPiS9_iiiiii,comdat
.Lfunc_end176:
	.size	_ZN4vllm3moe17topkGatingSoftmaxIDF16_Li16ELi128ELi8ELi32ELb1ELi0ELNS0_23SharedExpertScoringFuncE0EEEvPKT_PKbPfiPiS9_iiiiii, .Lfunc_end176-_ZN4vllm3moe17topkGatingSoftmaxIDF16_Li16ELi128ELi8ELi32ELb1ELi0ELNS0_23SharedExpertScoringFuncE0EEEvPKT_PKbPfiPiS9_iiiiii
                                        ; -- End function
	.section	.AMDGPU.csdata,"",@progbits
; Kernel info:
; codeLenInByte = 3476
; NumSgprs: 21
; NumVgprs: 53
; ScratchSize: 0
; MemoryBound: 0
; FloatMode: 240
; IeeeMode: 1
; LDSByteSize: 0 bytes/workgroup (compile time only)
; SGPRBlocks: 2
; VGPRBlocks: 6
; NumSGPRsForWavesPerEU: 21
; NumVGPRsForWavesPerEU: 53
; Occupancy: 16
; WaveLimiterHint : 0
; COMPUTE_PGM_RSRC2:SCRATCH_EN: 0
; COMPUTE_PGM_RSRC2:USER_SGPR: 15
; COMPUTE_PGM_RSRC2:TRAP_HANDLER: 0
; COMPUTE_PGM_RSRC2:TGID_X_EN: 1
; COMPUTE_PGM_RSRC2:TGID_Y_EN: 0
; COMPUTE_PGM_RSRC2:TGID_Z_EN: 0
; COMPUTE_PGM_RSRC2:TIDIG_COMP_CNT: 1
	.section	.text._ZN4vllm3moe17topkGatingSoftmaxIDF16_Li16ELi128ELi8ELi32ELb0ELi0ELNS0_23SharedExpertScoringFuncE0EEEvPKT_PKbPfiPiS9_iiiiii,"axG",@progbits,_ZN4vllm3moe17topkGatingSoftmaxIDF16_Li16ELi128ELi8ELi32ELb0ELi0ELNS0_23SharedExpertScoringFuncE0EEEvPKT_PKbPfiPiS9_iiiiii,comdat
	.protected	_ZN4vllm3moe17topkGatingSoftmaxIDF16_Li16ELi128ELi8ELi32ELb0ELi0ELNS0_23SharedExpertScoringFuncE0EEEvPKT_PKbPfiPiS9_iiiiii ; -- Begin function _ZN4vllm3moe17topkGatingSoftmaxIDF16_Li16ELi128ELi8ELi32ELb0ELi0ELNS0_23SharedExpertScoringFuncE0EEEvPKT_PKbPfiPiS9_iiiiii
	.globl	_ZN4vllm3moe17topkGatingSoftmaxIDF16_Li16ELi128ELi8ELi32ELb0ELi0ELNS0_23SharedExpertScoringFuncE0EEEvPKT_PKbPfiPiS9_iiiiii
	.p2align	8
	.type	_ZN4vllm3moe17topkGatingSoftmaxIDF16_Li16ELi128ELi8ELi32ELb0ELi0ELNS0_23SharedExpertScoringFuncE0EEEvPKT_PKbPfiPiS9_iiiiii,@function
_ZN4vllm3moe17topkGatingSoftmaxIDF16_Li16ELi128ELi8ELi32ELb0ELi0ELNS0_23SharedExpertScoringFuncE0EEEvPKT_PKbPfiPiS9_iiiiii: ; @_ZN4vllm3moe17topkGatingSoftmaxIDF16_Li16ELi128ELi8ELi32ELb0ELi0ELNS0_23SharedExpertScoringFuncE0EEEvPKT_PKbPfiPiS9_iiiiii
; %bb.0:
	s_load_b32 s16, s[0:1], 0x18
	v_bfe_u32 v1, v0, 10, 10
	v_and_b32_e32 v0, 0x3ff, v0
	s_lshl_b32 s18, s15, 5
	s_mov_b32 s2, exec_lo
	s_delay_alu instid0(VALU_DEP_2) | instskip(NEXT) | instid1(VALU_DEP_2)
	v_lshlrev_b32_e32 v42, 2, v1
	v_lshrrev_b32_e32 v43, 3, v0
	s_delay_alu instid0(VALU_DEP_1) | instskip(SKIP_1) | instid1(VALU_DEP_1)
	v_add3_u32 v7, s18, v42, v43
	s_waitcnt lgkmcnt(0)
	v_cmpx_gt_i32_e64 s16, v7
	s_cbranch_execz .LBB177_21
; %bb.1:
	s_clause 0x1
	s_load_b128 s[4:7], s[0:1], 0x0
	s_load_b64 s[12:13], s[0:1], 0x10
	s_waitcnt lgkmcnt(0)
	s_cmp_eq_u64 s[6:7], 0
	s_cbranch_scc1 .LBB177_3
; %bb.2:
	v_ashrrev_i32_e32 v2, 31, v7
	v_add_co_u32 v1, vcc_lo, s6, v7
	s_delay_alu instid0(VALU_DEP_2) | instskip(SKIP_3) | instid1(VALU_DEP_1)
	v_add_co_ci_u32_e32 v2, vcc_lo, s7, v2, vcc_lo
	global_load_u8 v1, v[1:2], off
	s_waitcnt vmcnt(0)
	v_and_b32_e32 v1, 1, v1
	v_cmp_eq_u32_e32 vcc_lo, 1, v1
	s_xor_b32 s2, vcc_lo, -1
	s_delay_alu instid0(SALU_CYCLE_1)
	s_or_not1_b32 s17, s2, exec_lo
	s_branch .LBB177_4
.LBB177_3:
	s_mov_b32 s17, -1
.LBB177_4:
	s_load_b64 s[14:15], s[0:1], 0x40
	v_and_b32_e32 v8, 7, v0
	v_mov_b32_e32 v6, 0
	s_waitcnt lgkmcnt(0)
	v_mul_lo_u32 v1, v7, s15
	s_delay_alu instid0(VALU_DEP_1) | instskip(NEXT) | instid1(VALU_DEP_1)
	v_ashrrev_i32_e32 v2, 31, v1
	v_lshlrev_b64 v[0:1], 1, v[1:2]
	v_lshlrev_b32_e32 v2, 5, v8
	s_delay_alu instid0(VALU_DEP_2) | instskip(NEXT) | instid1(VALU_DEP_3)
	v_add_co_u32 v0, vcc_lo, s4, v0
	v_add_co_ci_u32_e32 v1, vcc_lo, s5, v1, vcc_lo
	s_load_b128 s[4:7], s[0:1], 0x30
	s_delay_alu instid0(VALU_DEP_2) | instskip(NEXT) | instid1(VALU_DEP_2)
	v_add_co_u32 v4, vcc_lo, v0, v2
	v_add_co_ci_u32_e32 v5, vcc_lo, 0, v1, vcc_lo
	s_clause 0x1
	global_load_b128 v[0:3], v[4:5], off
	global_load_b128 v[37:40], v[4:5], off offset:16
	s_waitcnt vmcnt(1)
	v_lshrrev_b32_e32 v4, 16, v0
	v_cvt_f32_f16_e32 v26, v0
	v_cvt_f32_f16_e32 v21, v2
	v_lshlrev_b32_e32 v24, 4, v8
	v_cvt_f32_f16_e32 v23, v1
	v_cvt_f32_f16_e32 v25, v4
	v_cmp_lt_f16_e32 vcc_lo, v0, v4
	v_lshrrev_b32_e32 v2, 16, v2
	v_or_b32_e32 v27, 1, v24
	v_cvt_f32_f16_e32 v19, v3
	v_lshrrev_b32_e32 v1, 16, v1
	v_cndmask_b32_e32 v4, v26, v25, vcc_lo
	v_cvt_f32_f16_e32 v20, v2
	v_cndmask_b32_e32 v0, v24, v27, vcc_lo
	v_or_b32_e32 v28, 2, v24
	v_cvt_f32_f16_e32 v22, v1
	v_cmp_lt_f32_e32 vcc_lo, v4, v23
	v_lshrrev_b32_e32 v2, 16, v3
	v_or_b32_e32 v29, 3, v24
	s_waitcnt vmcnt(0)
	v_cvt_f32_f16_e32 v17, v37
	v_cvt_f32_f16_e32 v15, v38
	v_cndmask_b32_e32 v1, v4, v23, vcc_lo
	v_cvt_f32_f16_e32 v18, v2
	v_cndmask_b32_e32 v0, v0, v28, vcc_lo
	v_lshrrev_b32_e32 v2, 16, v37
	v_cvt_f32_f16_e32 v12, v39
	v_cmp_lt_f32_e32 vcc_lo, v1, v22
	v_cvt_f32_f16_e32 v10, v40
	s_delay_alu instid0(VALU_DEP_4) | instskip(SKIP_2) | instid1(VALU_DEP_2)
	v_cvt_f32_f16_e32 v16, v2
	v_lshrrev_b32_e32 v2, 16, v38
	v_dual_cndmask_b32 v1, v1, v22 :: v_dual_cndmask_b32 v0, v0, v29
	v_cvt_f32_f16_e32 v14, v2
	s_delay_alu instid0(VALU_DEP_2)
	v_cmp_lt_f32_e32 vcc_lo, v1, v21
	v_lshrrev_b32_e32 v2, 16, v39
	v_cndmask_b32_e32 v1, v1, v21, vcc_lo
	v_or_b32_e32 v30, 4, v24
	v_or_b32_e32 v31, 5, v24
	;; [unrolled: 1-line block ×5, first 2 shown]
	v_cndmask_b32_e32 v0, v0, v30, vcc_lo
	v_cmp_lt_f32_e32 vcc_lo, v1, v20
	v_cvt_f32_f16_e32 v11, v2
	v_or_b32_e32 v35, 9, v24
	v_or_b32_e32 v36, 10, v24
	v_lshrrev_b32_e32 v2, 16, v40
	v_dual_cndmask_b32 v1, v1, v20 :: v_dual_cndmask_b32 v0, v0, v31
	v_or_b32_e32 v37, 11, v24
	v_or_b32_e32 v38, 12, v24
	s_delay_alu instid0(VALU_DEP_4) | instskip(NEXT) | instid1(VALU_DEP_4)
	v_cvt_f32_f16_e32 v9, v2
	v_cmp_lt_f32_e32 vcc_lo, v1, v19
	v_or_b32_e32 v39, 13, v24
	v_or_b32_e32 v40, 14, v24
	;; [unrolled: 1-line block ×3, first 2 shown]
	v_dual_cndmask_b32 v1, v1, v19 :: v_dual_cndmask_b32 v0, v0, v32
	s_delay_alu instid0(VALU_DEP_1) | instskip(NEXT) | instid1(VALU_DEP_2)
	v_cmp_lt_f32_e32 vcc_lo, v1, v18
	v_dual_cndmask_b32 v1, v1, v18 :: v_dual_cndmask_b32 v0, v0, v33
	s_delay_alu instid0(VALU_DEP_1) | instskip(NEXT) | instid1(VALU_DEP_2)
	v_cmp_lt_f32_e32 vcc_lo, v1, v17
	;; [unrolled: 3-line block ×6, first 2 shown]
	v_dual_cndmask_b32 v1, v1, v12 :: v_dual_cndmask_b32 v0, v0, v38
	s_delay_alu instid0(VALU_DEP_1) | instskip(SKIP_1) | instid1(VALU_DEP_3)
	v_cmp_lt_f32_e32 vcc_lo, v1, v11
	v_cndmask_b32_e32 v1, v1, v11, vcc_lo
	v_cndmask_b32_e32 v0, v0, v39, vcc_lo
	s_delay_alu instid0(VALU_DEP_2) | instskip(NEXT) | instid1(VALU_DEP_2)
	v_cmp_lt_f32_e32 vcc_lo, v1, v10
	v_dual_cndmask_b32 v1, v1, v10 :: v_dual_cndmask_b32 v0, v0, v40
	s_delay_alu instid0(VALU_DEP_1) | instskip(NEXT) | instid1(VALU_DEP_2)
	v_cmp_lt_f32_e32 vcc_lo, v1, v9
	v_cndmask_b32_e32 v0, v0, v41, vcc_lo
	v_cndmask_b32_e32 v1, v1, v9, vcc_lo
	s_delay_alu instid0(VALU_DEP_2) | instskip(NEXT) | instid1(VALU_DEP_2)
	v_mov_b32_dpp v2, v0 quad_perm:[1,0,3,2] row_mask:0xf bank_mask:0xf
	v_mov_b32_dpp v3, v1 quad_perm:[1,0,3,2] row_mask:0xf bank_mask:0xf
	s_delay_alu instid0(VALU_DEP_2) | instskip(NEXT) | instid1(VALU_DEP_2)
	v_cmp_lt_i32_e32 vcc_lo, v2, v0
	v_cmp_eq_f32_e64 s2, v1, v3
	v_cmp_lt_f32_e64 s3, v1, v3
	s_delay_alu instid0(VALU_DEP_2)
	s_and_b32 s2, s2, vcc_lo
	s_delay_alu instid0(VALU_DEP_1) | instid1(SALU_CYCLE_1)
	s_or_b32 vcc_lo, s3, s2
	v_dual_cndmask_b32 v1, v1, v3 :: v_dual_cndmask_b32 v0, v0, v2
	s_delay_alu instid0(VALU_DEP_1) | instskip(NEXT) | instid1(VALU_DEP_2)
	v_mov_b32_dpp v2, v1 quad_perm:[2,3,0,1] row_mask:0xf bank_mask:0xf
	v_mov_b32_dpp v3, v0 quad_perm:[2,3,0,1] row_mask:0xf bank_mask:0xf
	s_delay_alu instid0(VALU_DEP_2) | instskip(NEXT) | instid1(VALU_DEP_2)
	v_cmp_eq_f32_e32 vcc_lo, v1, v2
	v_cmp_lt_i32_e64 s2, v3, v0
	v_cmp_lt_f32_e64 s3, v1, v2
	s_delay_alu instid0(VALU_DEP_2)
	s_and_b32 s2, vcc_lo, s2
	s_delay_alu instid0(VALU_DEP_1) | instid1(SALU_CYCLE_1)
	s_or_b32 vcc_lo, s3, s2
	v_dual_cndmask_b32 v1, v1, v2 :: v_dual_cndmask_b32 v0, v0, v3
	s_delay_alu instid0(VALU_DEP_1) | instskip(NEXT) | instid1(VALU_DEP_2)
	v_mov_b32_dpp v3, v1 row_half_mirror row_mask:0xf bank_mask:0xf
	v_mov_b32_dpp v2, v0 row_half_mirror row_mask:0xf bank_mask:0xf
	s_delay_alu instid0(VALU_DEP_2) | instskip(NEXT) | instid1(VALU_DEP_2)
	v_cmp_eq_f32_e32 vcc_lo, v1, v3
	v_cmp_lt_i32_e64 s2, v2, v0
	v_cmp_lt_f32_e64 s3, v1, v3
	s_delay_alu instid0(VALU_DEP_2) | instskip(SKIP_1) | instid1(VALU_DEP_2)
	s_and_b32 s2, vcc_lo, s2
	v_cmp_eq_u32_e32 vcc_lo, 0, v8
	s_or_b32 s2, s3, s2
	s_waitcnt lgkmcnt(0)
	s_cmp_gt_i32 s4, 0
	v_cndmask_b32_e64 v13, v1, v3, s2
	s_cselect_b32 s3, -1, 0
	s_cmp_lt_i32 s4, 1
	s_cbranch_scc1 .LBB177_16
; %bb.5:
	s_load_b128 s[8:11], s[0:1], 0x20
	v_mul_lo_u32 v1, v7, s7
	v_mul_lo_u32 v3, v7, s14
	;; [unrolled: 1-line block ×3, first 2 shown]
	v_cndmask_b32_e64 v0, v0, v2, s2
	v_mov_b32_e32 v6, 0
	s_and_saveexec_b32 s2, vcc_lo
	s_cbranch_execz .LBB177_7
; %bb.6:
	v_sub_f32_e32 v50, v13, v13
	v_cmp_le_i32_e64 s0, s5, v0
	v_cmp_gt_i32_e64 s1, s6, v0
	v_subrev_nc_u32_e32 v51, s5, v0
	v_ashrrev_i32_e32 v6, 31, v5
	v_mul_f32_e32 v2, 0x3fb8aa3b, v50
	s_delay_alu instid0(VALU_DEP_4) | instskip(NEXT) | instid1(SALU_CYCLE_1)
	s_and_b32 s0, s0, s1
	s_and_b32 s0, s17, s0
	s_delay_alu instid0(VALU_DEP_1) | instskip(SKIP_2) | instid1(VALU_DEP_3)
	v_rndne_f32_e32 v46, v2
	v_fma_f32 v4, 0x3fb8aa3b, v50, -v2
	v_lshlrev_b64 v[48:49], 2, v[5:6]
	v_sub_f32_e32 v2, v2, v46
	s_delay_alu instid0(VALU_DEP_3) | instskip(NEXT) | instid1(VALU_DEP_1)
	v_fmamk_f32 v4, v50, 0x32a5705f, v4
	v_add_f32_e32 v4, v2, v4
	v_ashrrev_i32_e32 v2, 31, v1
	s_delay_alu instid0(VALU_DEP_2) | instskip(NEXT) | instid1(VALU_DEP_1)
	v_exp_f32_e32 v52, v4
	v_lshlrev_b64 v[44:45], 2, v[1:2]
	v_ashrrev_i32_e32 v4, 31, v3
	v_cvt_i32_f32_e32 v2, v46
	s_delay_alu instid0(VALU_DEP_2) | instskip(SKIP_2) | instid1(VALU_DEP_1)
	v_lshlrev_b64 v[46:47], 2, v[3:4]
	v_cndmask_b32_e64 v4, 0x80, v51, s0
	v_add_co_u32 v44, s0, s12, v44
	v_add_co_ci_u32_e64 v45, s0, s13, v45, s0
	s_delay_alu instid0(TRANS32_DEP_1) | instskip(SKIP_1) | instid1(VALU_DEP_1)
	v_ldexp_f32 v2, v52, v2
	v_cmp_ngt_f32_e64 s0, 0xc2ce8ed0, v50
	v_cndmask_b32_e64 v2, 0, v2, s0
	s_waitcnt lgkmcnt(0)
	v_add_co_u32 v46, s0, s8, v46
	s_delay_alu instid0(VALU_DEP_1) | instskip(SKIP_1) | instid1(VALU_DEP_1)
	v_add_co_ci_u32_e64 v47, s0, s9, v47, s0
	v_cmp_nlt_f32_e64 s0, 0x42b17218, v50
	v_cndmask_b32_e64 v6, 0x7f800000, v2, s0
	v_add_co_u32 v48, s0, s10, v48
	s_delay_alu instid0(VALU_DEP_1)
	v_add_co_ci_u32_e64 v49, s0, s11, v49, s0
	global_store_b32 v[46:47], v4, off
	global_store_b32 v[44:45], v6, off
	;; [unrolled: 1-line block ×3, first 2 shown]
.LBB177_7:
	s_or_b32 exec_lo, exec_lo, s2
	v_ashrrev_i32_e32 v4, 31, v0
	s_mov_b32 s1, exec_lo
	s_delay_alu instid0(VALU_DEP_1) | instskip(NEXT) | instid1(VALU_DEP_1)
	v_lshrrev_b32_e32 v2, 28, v4
	v_add_nc_u32_e32 v2, v0, v2
	s_delay_alu instid0(VALU_DEP_1) | instskip(NEXT) | instid1(VALU_DEP_1)
	v_ashrrev_i32_e32 v2, 4, v2
	v_lshrrev_b32_e32 v44, 29, v2
	s_delay_alu instid0(VALU_DEP_1) | instskip(NEXT) | instid1(VALU_DEP_1)
	v_add_nc_u32_e32 v44, v2, v44
	v_and_b32_e32 v44, -8, v44
	s_delay_alu instid0(VALU_DEP_1) | instskip(NEXT) | instid1(VALU_DEP_1)
	v_sub_nc_u32_e32 v44, v2, v44
	v_cmpx_eq_u32_e64 v8, v44
	s_cbranch_execz .LBB177_9
; %bb.8:
	v_lshrrev_b32_e32 v4, 25, v4
	v_lshlrev_b32_e32 v2, 4, v2
	s_delay_alu instid0(VALU_DEP_2) | instskip(NEXT) | instid1(VALU_DEP_2)
	v_add_nc_u32_e32 v4, v0, v4
	v_sub_nc_u32_e32 v0, v0, v2
	s_delay_alu instid0(VALU_DEP_2) | instskip(NEXT) | instid1(VALU_DEP_1)
	v_ashrrev_i32_e32 v2, 7, v4
	v_lshl_add_u32 v0, v2, 4, v0
	s_delay_alu instid0(VALU_DEP_1) | instskip(NEXT) | instid1(VALU_DEP_1)
	v_cmp_ne_u32_e64 s0, 15, v0
	v_cndmask_b32_e64 v9, 0xff800000, v9, s0
	v_cmp_ne_u32_e64 s0, 14, v0
	s_delay_alu instid0(VALU_DEP_1) | instskip(SKIP_1) | instid1(VALU_DEP_1)
	v_cndmask_b32_e64 v10, 0xff800000, v10, s0
	v_cmp_ne_u32_e64 s0, 13, v0
	v_cndmask_b32_e64 v11, 0xff800000, v11, s0
	v_cmp_ne_u32_e64 s0, 12, v0
	s_delay_alu instid0(VALU_DEP_1) | instskip(SKIP_1) | instid1(VALU_DEP_1)
	v_cndmask_b32_e64 v12, 0xff800000, v12, s0
	v_cmp_ne_u32_e64 s0, 11, v0
	v_cndmask_b32_e64 v14, 0xff800000, v14, s0
	v_cmp_ne_u32_e64 s0, 10, v0
	s_delay_alu instid0(VALU_DEP_1) | instskip(SKIP_1) | instid1(VALU_DEP_1)
	v_cndmask_b32_e64 v15, 0xff800000, v15, s0
	v_cmp_ne_u32_e64 s0, 9, v0
	v_cndmask_b32_e64 v16, 0xff800000, v16, s0
	v_cmp_ne_u32_e64 s0, 8, v0
	s_delay_alu instid0(VALU_DEP_1) | instskip(SKIP_1) | instid1(VALU_DEP_1)
	v_cndmask_b32_e64 v17, 0xff800000, v17, s0
	v_cmp_ne_u32_e64 s0, 7, v0
	v_cndmask_b32_e64 v18, 0xff800000, v18, s0
	v_cmp_ne_u32_e64 s0, 6, v0
	s_delay_alu instid0(VALU_DEP_1) | instskip(SKIP_1) | instid1(VALU_DEP_1)
	v_cndmask_b32_e64 v19, 0xff800000, v19, s0
	v_cmp_ne_u32_e64 s0, 5, v0
	v_cndmask_b32_e64 v20, 0xff800000, v20, s0
	v_cmp_ne_u32_e64 s0, 4, v0
	s_delay_alu instid0(VALU_DEP_1) | instskip(SKIP_1) | instid1(VALU_DEP_1)
	v_cndmask_b32_e64 v21, 0xff800000, v21, s0
	v_cmp_ne_u32_e64 s0, 3, v0
	v_cndmask_b32_e64 v22, 0xff800000, v22, s0
	v_cmp_ne_u32_e64 s0, 2, v0
	s_delay_alu instid0(VALU_DEP_1) | instskip(SKIP_1) | instid1(VALU_DEP_1)
	v_cndmask_b32_e64 v23, 0xff800000, v23, s0
	v_cmp_ne_u32_e64 s0, 1, v0
	v_cndmask_b32_e64 v25, 0xff800000, v25, s0
	v_cmp_ne_u32_e64 s0, 0, v0
	s_delay_alu instid0(VALU_DEP_1)
	v_cndmask_b32_e64 v26, 0xff800000, v26, s0
.LBB177_9:
	s_or_b32 exec_lo, exec_lo, s1
	s_cmp_eq_u32 s4, 1
	s_cbranch_scc1 .LBB177_16
; %bb.10:
	s_add_i32 s18, s18, s16
	v_add_nc_u32_e32 v0, 1, v5
	v_add3_u32 v42, s18, v43, v42
	v_add_nc_u32_e32 v2, 1, v3
	v_add_nc_u32_e32 v4, 1, v1
	s_add_i32 s14, s4, -1
	s_branch .LBB177_12
.LBB177_11:                             ;   in Loop: Header=BB177_12 Depth=1
	s_or_b32 exec_lo, exec_lo, s1
	v_add_nc_u32_e32 v42, s16, v42
	v_add_nc_u32_e32 v0, 1, v0
	;; [unrolled: 1-line block ×4, first 2 shown]
	s_add_i32 s14, s14, -1
	s_delay_alu instid0(SALU_CYCLE_1)
	s_cmp_eq_u32 s14, 0
	s_cbranch_scc1 .LBB177_16
.LBB177_12:                             ; =>This Inner Loop Header: Depth=1
	v_cmp_gt_f32_e64 s0, v25, v26
	s_delay_alu instid0(VALU_DEP_1) | instskip(SKIP_1) | instid1(VALU_DEP_2)
	v_cndmask_b32_e64 v3, v26, v25, s0
	v_cndmask_b32_e64 v1, v24, v27, s0
	v_cmp_gt_f32_e64 s0, v23, v3
	s_delay_alu instid0(VALU_DEP_1) | instskip(NEXT) | instid1(VALU_DEP_3)
	v_cndmask_b32_e64 v3, v3, v23, s0
	v_cndmask_b32_e64 v1, v1, v28, s0
	s_delay_alu instid0(VALU_DEP_2) | instskip(NEXT) | instid1(VALU_DEP_1)
	v_cmp_gt_f32_e64 s0, v22, v3
	v_cndmask_b32_e64 v3, v3, v22, s0
	s_delay_alu instid0(VALU_DEP_3) | instskip(NEXT) | instid1(VALU_DEP_2)
	v_cndmask_b32_e64 v1, v1, v29, s0
	v_cmp_gt_f32_e64 s0, v21, v3
	s_delay_alu instid0(VALU_DEP_1) | instskip(NEXT) | instid1(VALU_DEP_3)
	v_cndmask_b32_e64 v3, v3, v21, s0
	v_cndmask_b32_e64 v1, v1, v30, s0
	s_delay_alu instid0(VALU_DEP_2) | instskip(NEXT) | instid1(VALU_DEP_1)
	v_cmp_gt_f32_e64 s0, v20, v3
	v_cndmask_b32_e64 v3, v3, v20, s0
	s_delay_alu instid0(VALU_DEP_3) | instskip(NEXT) | instid1(VALU_DEP_2)
	;; [unrolled: 9-line block ×6, first 2 shown]
	v_cndmask_b32_e64 v1, v1, v39, s0
	v_cmp_gt_f32_e64 s0, v10, v3
	s_delay_alu instid0(VALU_DEP_1) | instskip(NEXT) | instid1(VALU_DEP_3)
	v_cndmask_b32_e64 v3, v3, v10, s0
	v_cndmask_b32_e64 v1, v1, v40, s0
	s_delay_alu instid0(VALU_DEP_2) | instskip(NEXT) | instid1(VALU_DEP_1)
	v_cmp_gt_f32_e64 s0, v9, v3
	v_cndmask_b32_e64 v1, v1, v41, s0
	v_cndmask_b32_e64 v3, v3, v9, s0
	s_delay_alu instid0(VALU_DEP_2) | instskip(NEXT) | instid1(VALU_DEP_2)
	v_mov_b32_dpp v5, v1 quad_perm:[1,0,3,2] row_mask:0xf bank_mask:0xf
	v_mov_b32_dpp v43, v3 quad_perm:[1,0,3,2] row_mask:0xf bank_mask:0xf
	s_delay_alu instid0(VALU_DEP_2) | instskip(NEXT) | instid1(VALU_DEP_2)
	v_cmp_lt_i32_e64 s0, v5, v1
	v_cmp_eq_f32_e64 s1, v3, v43
	v_cmp_lt_f32_e64 s2, v3, v43
	s_delay_alu instid0(VALU_DEP_2)
	s_and_b32 s0, s1, s0
	s_delay_alu instid0(VALU_DEP_1) | instid1(SALU_CYCLE_1)
	s_or_b32 s0, s2, s0
	s_delay_alu instid0(SALU_CYCLE_1) | instskip(SKIP_1) | instid1(VALU_DEP_2)
	v_cndmask_b32_e64 v3, v3, v43, s0
	v_cndmask_b32_e64 v5, v1, v5, s0
	v_mov_b32_dpp v1, v3 quad_perm:[2,3,0,1] row_mask:0xf bank_mask:0xf
	s_delay_alu instid0(VALU_DEP_2) | instskip(NEXT) | instid1(VALU_DEP_2)
	v_mov_b32_dpp v43, v5 quad_perm:[2,3,0,1] row_mask:0xf bank_mask:0xf
	v_cmp_eq_f32_e64 s0, v3, v1
	s_delay_alu instid0(VALU_DEP_2) | instskip(SKIP_1) | instid1(VALU_DEP_2)
	v_cmp_lt_i32_e64 s1, v43, v5
	v_cmp_lt_f32_e64 s2, v3, v1
	s_and_b32 s0, s0, s1
	s_delay_alu instid0(VALU_DEP_1) | instid1(SALU_CYCLE_1)
	s_or_b32 s0, s2, s0
	s_delay_alu instid0(SALU_CYCLE_1) | instskip(SKIP_1) | instid1(VALU_DEP_2)
	v_cndmask_b32_e64 v1, v3, v1, s0
	v_cndmask_b32_e64 v5, v5, v43, s0
	v_mov_b32_dpp v3, v1 row_half_mirror row_mask:0xf bank_mask:0xf
	s_delay_alu instid0(VALU_DEP_2) | instskip(NEXT) | instid1(VALU_DEP_2)
	v_mov_b32_dpp v43, v5 row_half_mirror row_mask:0xf bank_mask:0xf
	v_cmp_eq_f32_e64 s0, v1, v3
	s_delay_alu instid0(VALU_DEP_2) | instskip(SKIP_1) | instid1(VALU_DEP_2)
	v_cmp_lt_i32_e64 s1, v43, v5
	v_cmp_lt_f32_e64 s2, v1, v3
	s_and_b32 s0, s0, s1
	s_delay_alu instid0(VALU_DEP_1) | instid1(SALU_CYCLE_1)
	s_or_b32 s0, s2, s0
	s_delay_alu instid0(SALU_CYCLE_1)
	v_cndmask_b32_e64 v43, v5, v43, s0
	s_and_saveexec_b32 s2, vcc_lo
	s_cbranch_execz .LBB177_14
; %bb.13:                               ;   in Loop: Header=BB177_12 Depth=1
	v_cndmask_b32_e64 v1, v1, v3, s0
	s_delay_alu instid0(VALU_DEP_2) | instskip(SKIP_4) | instid1(VALU_DEP_4)
	v_cmp_le_i32_e64 s0, s5, v43
	v_cmp_gt_i32_e64 s1, s6, v43
	v_ashrrev_i32_e32 v5, 31, v4
	v_subrev_nc_u32_e32 v51, s5, v43
	v_sub_f32_e32 v50, v1, v13
	s_and_b32 s0, s0, s1
	s_delay_alu instid0(SALU_CYCLE_1) | instskip(NEXT) | instid1(VALU_DEP_1)
	s_and_b32 s0, s17, s0
	v_mul_f32_e32 v1, 0x3fb8aa3b, v50
	s_delay_alu instid0(VALU_DEP_1) | instskip(SKIP_1) | instid1(VALU_DEP_2)
	v_fma_f32 v3, 0x3fb8aa3b, v50, -v1
	v_rndne_f32_e32 v44, v1
	v_fmac_f32_e32 v3, 0x32a5705f, v50
	s_delay_alu instid0(VALU_DEP_2) | instskip(SKIP_2) | instid1(VALU_DEP_3)
	v_sub_f32_e32 v1, v1, v44
	v_cvt_i32_f32_e32 v49, v44
	v_lshlrev_b64 v[44:45], 2, v[4:5]
	v_add_f32_e32 v1, v1, v3
	v_ashrrev_i32_e32 v3, 31, v2
	s_delay_alu instid0(VALU_DEP_2) | instskip(SKIP_1) | instid1(VALU_DEP_2)
	v_exp_f32_e32 v48, v1
	v_ashrrev_i32_e32 v1, 31, v0
	v_lshlrev_b64 v[46:47], 2, v[2:3]
	s_waitcnt_depctr 0xfff
	v_ldexp_f32 v3, v48, v49
	v_lshlrev_b64 v[48:49], 2, v[0:1]
	v_cndmask_b32_e64 v1, 0x80, v51, s0
	v_cmp_ngt_f32_e64 s0, 0xc2ce8ed0, v50
	s_delay_alu instid0(VALU_DEP_1) | instskip(SKIP_1) | instid1(VALU_DEP_1)
	v_cndmask_b32_e64 v3, 0, v3, s0
	v_add_co_u32 v44, s0, s12, v44
	v_add_co_ci_u32_e64 v45, s0, s13, v45, s0
	v_cmp_nlt_f32_e64 s0, 0x42b17218, v50
	s_delay_alu instid0(VALU_DEP_1) | instskip(SKIP_2) | instid1(VALU_DEP_1)
	v_cndmask_b32_e64 v3, 0x7f800000, v3, s0
	s_waitcnt lgkmcnt(0)
	v_add_co_u32 v46, s0, s8, v46
	v_add_co_ci_u32_e64 v47, s0, s9, v47, s0
	s_delay_alu instid0(VALU_DEP_3) | instskip(SKIP_1) | instid1(VALU_DEP_1)
	v_add_f32_e32 v6, v6, v3
	v_add_co_u32 v48, s0, s10, v48
	v_add_co_ci_u32_e64 v49, s0, s11, v49, s0
	global_store_b32 v[44:45], v3, off
	global_store_b32 v[46:47], v1, off
	;; [unrolled: 1-line block ×3, first 2 shown]
.LBB177_14:                             ;   in Loop: Header=BB177_12 Depth=1
	s_or_b32 exec_lo, exec_lo, s2
	s_delay_alu instid0(VALU_DEP_1) | instskip(SKIP_1) | instid1(VALU_DEP_1)
	v_ashrrev_i32_e32 v3, 31, v43
	s_mov_b32 s1, exec_lo
	v_lshrrev_b32_e32 v1, 28, v3
	s_delay_alu instid0(VALU_DEP_1) | instskip(NEXT) | instid1(VALU_DEP_1)
	v_add_nc_u32_e32 v1, v43, v1
	v_ashrrev_i32_e32 v1, 4, v1
	s_delay_alu instid0(VALU_DEP_1) | instskip(NEXT) | instid1(VALU_DEP_1)
	v_lshrrev_b32_e32 v5, 29, v1
	v_add_nc_u32_e32 v5, v1, v5
	s_delay_alu instid0(VALU_DEP_1) | instskip(NEXT) | instid1(VALU_DEP_1)
	v_and_b32_e32 v5, -8, v5
	v_sub_nc_u32_e32 v5, v1, v5
	s_delay_alu instid0(VALU_DEP_1)
	v_cmpx_eq_u32_e64 v8, v5
	s_cbranch_execz .LBB177_11
; %bb.15:                               ;   in Loop: Header=BB177_12 Depth=1
	v_lshrrev_b32_e32 v3, 25, v3
	v_lshlrev_b32_e32 v1, 4, v1
	s_delay_alu instid0(VALU_DEP_2) | instskip(NEXT) | instid1(VALU_DEP_2)
	v_add_nc_u32_e32 v3, v43, v3
	v_sub_nc_u32_e32 v1, v43, v1
	s_delay_alu instid0(VALU_DEP_2) | instskip(NEXT) | instid1(VALU_DEP_1)
	v_ashrrev_i32_e32 v3, 7, v3
	v_lshl_add_u32 v1, v3, 4, v1
	s_delay_alu instid0(VALU_DEP_1) | instskip(NEXT) | instid1(VALU_DEP_1)
	v_cmp_ne_u32_e64 s0, 15, v1
	v_cndmask_b32_e64 v9, 0xff800000, v9, s0
	v_cmp_ne_u32_e64 s0, 14, v1
	s_delay_alu instid0(VALU_DEP_1) | instskip(SKIP_1) | instid1(VALU_DEP_1)
	v_cndmask_b32_e64 v10, 0xff800000, v10, s0
	v_cmp_ne_u32_e64 s0, 13, v1
	v_cndmask_b32_e64 v11, 0xff800000, v11, s0
	v_cmp_ne_u32_e64 s0, 12, v1
	s_delay_alu instid0(VALU_DEP_1) | instskip(SKIP_1) | instid1(VALU_DEP_1)
	v_cndmask_b32_e64 v12, 0xff800000, v12, s0
	;; [unrolled: 5-line block ×7, first 2 shown]
	v_cmp_ne_u32_e64 s0, 1, v1
	v_cndmask_b32_e64 v25, 0xff800000, v25, s0
	v_cmp_ne_u32_e64 s0, 0, v1
	s_delay_alu instid0(VALU_DEP_1)
	v_cndmask_b32_e64 v26, 0xff800000, v26, s0
	s_branch .LBB177_11
.LBB177_16:
	s_delay_alu instid0(VALU_DEP_1)
	v_sub_f32_e32 v5, v22, v13
	v_sub_f32_e32 v18, v18, v13
	;; [unrolled: 1-line block ×5, first 2 shown]
	v_mul_f32_e32 v27, 0x3fb8aa3b, v5
	v_sub_f32_e32 v19, v19, v13
	v_sub_f32_e32 v11, v11, v13
	;; [unrolled: 1-line block ×3, first 2 shown]
	s_delay_alu instid0(VALU_DEP_4) | instskip(SKIP_1) | instid1(VALU_DEP_1)
	v_rndne_f32_e32 v30, v27
	v_sub_f32_e32 v0, v26, v13
	v_dual_sub_f32 v1, v25, v13 :: v_dual_mul_f32 v2, 0x3fb8aa3b, v0
	s_delay_alu instid0(VALU_DEP_1) | instskip(NEXT) | instid1(VALU_DEP_2)
	v_mul_f32_e32 v4, 0x3fb8aa3b, v1
	v_fma_f32 v22, 0x3fb8aa3b, v0, -v2
	v_sub_f32_e32 v3, v23, v13
	v_rndne_f32_e32 v23, v2
	v_sub_f32_e32 v21, v21, v13
	v_fma_f32 v24, 0x3fb8aa3b, v1, -v4
	v_rndne_f32_e32 v25, v4
	v_fmac_f32_e32 v22, 0x32a5705f, v0
	v_sub_f32_e32 v2, v2, v23
	v_mul_f32_e32 v26, 0x3fb8aa3b, v3
	v_fmac_f32_e32 v24, 0x32a5705f, v1
	v_sub_f32_e32 v4, v4, v25
	v_cvt_i32_f32_e32 v23, v23
	v_add_f32_e32 v2, v2, v22
	v_fma_f32 v29, 0x3fb8aa3b, v5, -v27
	v_cvt_i32_f32_e32 v25, v25
	v_add_f32_e32 v4, v4, v24
	v_fma_f32 v22, 0x3fb8aa3b, v3, -v26
	v_exp_f32_e32 v2, v2
	v_fmac_f32_e32 v29, 0x32a5705f, v5
	v_rndne_f32_e32 v24, v26
	v_exp_f32_e32 v4, v4
	v_mul_f32_e32 v28, 0x3fb8aa3b, v21
	s_delay_alu instid0(VALU_DEP_2) | instskip(SKIP_1) | instid1(TRANS32_DEP_2)
	v_sub_f32_e32 v26, v26, v24
	v_cvt_i32_f32_e32 v24, v24
	v_ldexp_f32 v2, v2, v23
	v_sub_f32_e32 v23, v27, v30
	v_cmp_ngt_f32_e32 vcc_lo, 0xc2ce8ed0, v0
	s_delay_alu instid0(TRANS32_DEP_1) | instskip(NEXT) | instid1(VALU_DEP_3)
	v_ldexp_f32 v4, v4, v25
	v_dual_fmac_f32 v22, 0x32a5705f, v3 :: v_dual_add_f32 v23, v23, v29
	v_cndmask_b32_e32 v2, 0, v2, vcc_lo
	v_cmp_ngt_f32_e32 vcc_lo, 0xc2ce8ed0, v1
	s_delay_alu instid0(VALU_DEP_3)
	v_exp_f32_e32 v23, v23
	v_cndmask_b32_e32 v4, 0, v4, vcc_lo
	v_cmp_nlt_f32_e32 vcc_lo, 0x42b17218, v0
	v_cndmask_b32_e32 v0, 0x7f800000, v2, vcc_lo
	v_cmp_nlt_f32_e32 vcc_lo, 0x42b17218, v1
	v_add_f32_e32 v22, v26, v22
	v_fma_f32 v2, 0x3fb8aa3b, v21, -v28
	v_cndmask_b32_e32 v1, 0x7f800000, v4, vcc_lo
	s_delay_alu instid0(VALU_DEP_3) | instskip(SKIP_1) | instid1(VALU_DEP_3)
	v_exp_f32_e32 v22, v22
	v_cmp_ngt_f32_e32 vcc_lo, 0xc2ce8ed0, v3
	v_fmac_f32_e32 v2, 0x32a5705f, v21
	s_delay_alu instid0(VALU_DEP_3) | instskip(SKIP_3) | instid1(VALU_DEP_2)
	v_add_f32_e32 v0, v0, v1
	s_waitcnt_depctr 0xfff
	v_ldexp_f32 v4, v22, v24
	v_rndne_f32_e32 v22, v28
	v_cndmask_b32_e32 v1, 0, v4, vcc_lo
	v_cvt_i32_f32_e32 v4, v30
	v_cmp_nlt_f32_e32 vcc_lo, 0x42b17218, v3
	s_delay_alu instid0(VALU_DEP_2) | instskip(NEXT) | instid1(VALU_DEP_4)
	v_ldexp_f32 v3, v23, v4
	v_cndmask_b32_e32 v1, 0x7f800000, v1, vcc_lo
	v_cmp_ngt_f32_e32 vcc_lo, 0xc2ce8ed0, v5
	v_mul_f32_e32 v4, 0x3fb8aa3b, v20
	s_delay_alu instid0(VALU_DEP_3) | instskip(SKIP_2) | instid1(VALU_DEP_4)
	v_dual_add_f32 v0, v0, v1 :: v_dual_cndmask_b32 v1, 0, v3
	v_cmp_nlt_f32_e32 vcc_lo, 0x42b17218, v5
	v_sub_f32_e32 v24, v28, v22
	v_fma_f32 v3, 0x3fb8aa3b, v20, -v4
	v_rndne_f32_e32 v23, v4
	v_cvt_i32_f32_e32 v5, v22
	s_delay_alu instid0(VALU_DEP_4) | instskip(NEXT) | instid1(VALU_DEP_3)
	v_dual_cndmask_b32 v1, 0x7f800000, v1 :: v_dual_add_f32 v2, v24, v2
	v_dual_fmac_f32 v3, 0x32a5705f, v20 :: v_dual_sub_f32 v4, v4, v23
	v_mul_f32_e32 v22, 0x3fb8aa3b, v19
	s_delay_alu instid0(VALU_DEP_3) | instskip(NEXT) | instid1(VALU_DEP_4)
	v_add_f32_e32 v0, v0, v1
	v_exp_f32_e32 v2, v2
	v_cmp_ngt_f32_e32 vcc_lo, 0xc2ce8ed0, v21
	s_waitcnt_depctr 0xfff
	v_ldexp_f32 v1, v2, v5
	v_add_f32_e32 v2, v4, v3
	v_fma_f32 v3, 0x3fb8aa3b, v19, -v22
	v_rndne_f32_e32 v4, v22
	s_delay_alu instid0(VALU_DEP_4) | instskip(NEXT) | instid1(VALU_DEP_4)
	v_cndmask_b32_e32 v1, 0, v1, vcc_lo
	v_exp_f32_e32 v2, v2
	s_delay_alu instid0(VALU_DEP_3) | instskip(NEXT) | instid1(VALU_DEP_3)
	v_fmac_f32_e32 v3, 0x32a5705f, v19
	v_sub_f32_e32 v5, v22, v4
	v_cmp_nlt_f32_e32 vcc_lo, 0x42b17218, v21
	v_cvt_i32_f32_e32 v21, v23
	v_cvt_i32_f32_e32 v4, v4
	s_delay_alu instid0(VALU_DEP_4) | instskip(SKIP_3) | instid1(VALU_DEP_3)
	v_add_f32_e32 v3, v5, v3
	v_cndmask_b32_e32 v1, 0x7f800000, v1, vcc_lo
	v_mul_f32_e32 v5, 0x3fb8aa3b, v18
	v_cmp_ngt_f32_e32 vcc_lo, 0xc2ce8ed0, v20
	v_add_f32_e32 v0, v0, v1
	v_ldexp_f32 v1, v2, v21
	v_exp_f32_e32 v2, v3
	v_fma_f32 v3, 0x3fb8aa3b, v18, -v5
	v_rndne_f32_e32 v21, v5
	s_delay_alu instid0(VALU_DEP_3) | instskip(SKIP_1) | instid1(VALU_DEP_4)
	v_cndmask_b32_e32 v1, 0, v1, vcc_lo
	v_cmp_nlt_f32_e32 vcc_lo, 0x42b17218, v20
	v_fmac_f32_e32 v3, 0x32a5705f, v18
	s_delay_alu instid0(VALU_DEP_4) | instskip(NEXT) | instid1(VALU_DEP_4)
	v_sub_f32_e32 v5, v5, v21
	v_cndmask_b32_e32 v1, 0x7f800000, v1, vcc_lo
	s_delay_alu instid0(TRANS32_DEP_1) | instskip(NEXT) | instid1(VALU_DEP_3)
	v_ldexp_f32 v2, v2, v4
	v_add_f32_e32 v3, v5, v3
	v_cmp_ngt_f32_e32 vcc_lo, 0xc2ce8ed0, v19
	v_sub_f32_e32 v5, v16, v13
	v_cvt_i32_f32_e32 v16, v21
	v_mul_f32_e32 v21, 0x3fb8aa3b, v14
	v_sub_f32_e32 v15, v15, v13
	v_dual_add_f32 v0, v0, v1 :: v_dual_cndmask_b32 v1, 0, v2
	v_exp_f32_e32 v2, v3
	v_cmp_nlt_f32_e32 vcc_lo, 0x42b17218, v19
	v_mul_f32_e32 v20, 0x3fb8aa3b, v5
	s_delay_alu instid0(VALU_DEP_3) | instskip(NEXT) | instid1(VALU_DEP_1)
	v_cndmask_b32_e32 v1, 0x7f800000, v1, vcc_lo
	v_add_f32_e32 v0, v0, v1
	s_waitcnt_depctr 0xfff
	v_ldexp_f32 v1, v2, v16
	v_rndne_f32_e32 v16, v20
	v_sub_f32_e32 v4, v17, v13
	s_delay_alu instid0(VALU_DEP_1) | instskip(NEXT) | instid1(VALU_DEP_1)
	v_mul_f32_e32 v3, 0x3fb8aa3b, v4
	v_fma_f32 v17, 0x3fb8aa3b, v4, -v3
	v_rndne_f32_e32 v19, v3
	s_delay_alu instid0(VALU_DEP_1) | instskip(SKIP_3) | instid1(VALU_DEP_4)
	v_dual_fmac_f32 v17, 0x32a5705f, v4 :: v_dual_sub_f32 v2, v3, v19
	v_cmp_ngt_f32_e32 vcc_lo, 0xc2ce8ed0, v18
	v_fma_f32 v3, 0x3fb8aa3b, v5, -v20
	v_cvt_i32_f32_e32 v19, v19
	v_add_f32_e32 v2, v2, v17
	v_cndmask_b32_e32 v1, 0, v1, vcc_lo
	v_cmp_nlt_f32_e32 vcc_lo, 0x42b17218, v18
	v_dual_sub_f32 v17, v20, v16 :: v_dual_mul_f32 v20, 0x3fb8aa3b, v15
	s_delay_alu instid0(VALU_DEP_4) | instskip(NEXT) | instid1(VALU_DEP_3)
	v_exp_f32_e32 v2, v2
	v_cndmask_b32_e32 v1, 0x7f800000, v1, vcc_lo
	v_cmp_ngt_f32_e32 vcc_lo, 0xc2ce8ed0, v4
	s_delay_alu instid0(VALU_DEP_3) | instskip(NEXT) | instid1(VALU_DEP_3)
	v_rndne_f32_e32 v18, v20
	v_add_f32_e32 v0, v0, v1
	s_waitcnt_depctr 0xfff
	v_ldexp_f32 v1, v2, v19
	v_cvt_i32_f32_e32 v2, v16
	v_rndne_f32_e32 v19, v21
	s_delay_alu instid0(VALU_DEP_3) | instskip(SKIP_2) | instid1(VALU_DEP_3)
	v_cndmask_b32_e32 v1, 0, v1, vcc_lo
	v_cmp_nlt_f32_e32 vcc_lo, 0x42b17218, v4
	v_cvt_i32_f32_e32 v4, v18
	v_cndmask_b32_e32 v1, 0x7f800000, v1, vcc_lo
	v_cmp_ngt_f32_e32 vcc_lo, 0xc2ce8ed0, v5
	v_fmac_f32_e32 v3, 0x32a5705f, v5
	s_delay_alu instid0(VALU_DEP_1) | instskip(SKIP_2) | instid1(VALU_DEP_3)
	v_dual_add_f32 v0, v0, v1 :: v_dual_add_f32 v3, v17, v3
	v_fma_f32 v17, 0x3fb8aa3b, v15, -v20
	v_sub_f32_e32 v20, v20, v18
	v_exp_f32_e32 v3, v3
	s_delay_alu instid0(VALU_DEP_2) | instskip(NEXT) | instid1(VALU_DEP_1)
	v_fmac_f32_e32 v17, 0x32a5705f, v15
	v_add_f32_e32 v16, v20, v17
	s_waitcnt_depctr 0xfff
	v_ldexp_f32 v2, v3, v2
	v_exp_f32_e32 v3, v16
	v_sub_f32_e32 v16, v21, v19
	s_delay_alu instid0(VALU_DEP_2)
	v_cndmask_b32_e32 v2, 0, v2, vcc_lo
	v_cmp_nlt_f32_e32 vcc_lo, 0x42b17218, v5
	s_waitcnt_depctr 0xfff
	v_ldexp_f32 v1, v3, v4
	v_cndmask_b32_e32 v2, 0x7f800000, v2, vcc_lo
	v_cmp_ngt_f32_e32 vcc_lo, 0xc2ce8ed0, v15
	v_sub_f32_e32 v4, v12, v13
	v_mul_f32_e32 v12, 0x3fb8aa3b, v11
	s_delay_alu instid0(VALU_DEP_4) | instskip(SKIP_1) | instid1(VALU_DEP_4)
	v_dual_add_f32 v0, v0, v2 :: v_dual_cndmask_b32 v1, 0, v1
	v_cmp_nlt_f32_e32 vcc_lo, 0x42b17218, v15
	v_mul_f32_e32 v5, 0x3fb8aa3b, v4
	v_cvt_i32_f32_e32 v2, v19
	s_delay_alu instid0(VALU_DEP_4) | instskip(NEXT) | instid1(VALU_DEP_1)
	v_cndmask_b32_e32 v1, 0x7f800000, v1, vcc_lo
	v_add_f32_e32 v0, v0, v1
	s_delay_alu instid0(VALU_DEP_4) | instskip(NEXT) | instid1(VALU_DEP_1)
	v_fma_f32 v1, 0x3fb8aa3b, v4, -v5
	v_fmac_f32_e32 v1, 0x32a5705f, v4
	v_fma_f32 v17, 0x3fb8aa3b, v14, -v21
	v_cmp_ngt_f32_e32 vcc_lo, 0xc2ce8ed0, v14
	s_delay_alu instid0(VALU_DEP_2) | instskip(NEXT) | instid1(VALU_DEP_1)
	v_fmac_f32_e32 v17, 0x32a5705f, v14
	v_add_f32_e32 v16, v16, v17
	s_delay_alu instid0(VALU_DEP_1) | instskip(SKIP_1) | instid1(VALU_DEP_1)
	v_exp_f32_e32 v3, v16
	v_mul_f32_e32 v16, 0x3fb8aa3b, v9
	v_rndne_f32_e32 v17, v16
	s_waitcnt_depctr 0xfff
	v_ldexp_f32 v2, v3, v2
	v_rndne_f32_e32 v3, v5
	s_delay_alu instid0(VALU_DEP_1) | instskip(SKIP_3) | instid1(VALU_DEP_4)
	v_dual_cndmask_b32 v2, 0, v2 :: v_dual_sub_f32 v5, v5, v3
	v_cmp_nlt_f32_e32 vcc_lo, 0x42b17218, v14
	v_mul_f32_e32 v14, 0x3fb8aa3b, v10
	v_cvt_i32_f32_e32 v3, v3
	v_dual_add_f32 v1, v5, v1 :: v_dual_cndmask_b32 v2, 0x7f800000, v2
	v_rndne_f32_e32 v5, v12
	s_delay_alu instid0(VALU_DEP_4) | instskip(SKIP_1) | instid1(VALU_DEP_4)
	v_fma_f32 v13, 0x3fb8aa3b, v10, -v14
	v_rndne_f32_e32 v15, v14
	v_exp_f32_e32 v1, v1
	v_add_f32_e32 v0, v0, v2
	v_fma_f32 v2, 0x3fb8aa3b, v11, -v12
	v_dual_sub_f32 v12, v12, v5 :: v_dual_fmac_f32 v13, 0x32a5705f, v10
	v_cmp_ngt_f32_e32 vcc_lo, 0xc2ce8ed0, v4
	v_cvt_i32_f32_e32 v5, v5
	s_delay_alu instid0(VALU_DEP_4) | instskip(NEXT) | instid1(TRANS32_DEP_1)
	v_fmac_f32_e32 v2, 0x32a5705f, v11
	v_ldexp_f32 v1, v1, v3
	s_delay_alu instid0(VALU_DEP_2) | instskip(SKIP_2) | instid1(VALU_DEP_4)
	v_add_f32_e32 v2, v12, v2
	v_sub_f32_e32 v12, v14, v15
	v_fma_f32 v14, 0x3fb8aa3b, v9, -v16
	v_cndmask_b32_e32 v1, 0, v1, vcc_lo
	v_cmp_nlt_f32_e32 vcc_lo, 0x42b17218, v4
	v_exp_f32_e32 v2, v2
	v_add_f32_e32 v3, v12, v13
	v_fmac_f32_e32 v14, 0x32a5705f, v9
	v_sub_f32_e32 v12, v16, v17
	v_cndmask_b32_e32 v1, 0x7f800000, v1, vcc_lo
	v_cvt_i32_f32_e32 v4, v15
	v_exp_f32_e32 v3, v3
	v_cmp_ngt_f32_e32 vcc_lo, 0xc2ce8ed0, v11
	v_add_f32_e32 v12, v12, v14
	v_add_f32_e32 v0, v0, v1
	v_ldexp_f32 v2, v2, v5
	s_delay_alu instid0(VALU_DEP_3)
	v_exp_f32_e32 v5, v12
	s_waitcnt_depctr 0xfff
	v_ldexp_f32 v1, v3, v4
	v_cndmask_b32_e32 v2, 0, v2, vcc_lo
	v_cmp_nlt_f32_e32 vcc_lo, 0x42b17218, v11
	v_cvt_i32_f32_e32 v3, v17
	s_delay_alu instid0(VALU_DEP_3) | instskip(SKIP_1) | instid1(VALU_DEP_3)
	v_cndmask_b32_e32 v2, 0x7f800000, v2, vcc_lo
	v_cmp_ngt_f32_e32 vcc_lo, 0xc2ce8ed0, v10
	v_ldexp_f32 v3, v5, v3
	v_cndmask_b32_e32 v1, 0, v1, vcc_lo
	v_cmp_nlt_f32_e32 vcc_lo, 0x42b17218, v10
	s_delay_alu instid0(VALU_DEP_2) | instskip(SKIP_1) | instid1(VALU_DEP_2)
	v_dual_add_f32 v0, v0, v2 :: v_dual_cndmask_b32 v1, 0x7f800000, v1
	v_cmp_ngt_f32_e32 vcc_lo, 0xc2ce8ed0, v9
	v_add_f32_e32 v0, v0, v1
	v_cndmask_b32_e32 v2, 0, v3, vcc_lo
	v_cmp_nlt_f32_e32 vcc_lo, 0x42b17218, v9
	s_delay_alu instid0(VALU_DEP_2) | instskip(SKIP_1) | instid1(VALU_DEP_2)
	v_cndmask_b32_e32 v1, 0x7f800000, v2, vcc_lo
	v_cmp_eq_u32_e32 vcc_lo, 0, v8
	v_add_f32_e32 v0, v0, v1
	s_delay_alu instid0(VALU_DEP_1) | instskip(NEXT) | instid1(VALU_DEP_1)
	v_mov_b32_dpp v1, v0 quad_perm:[1,0,3,2] row_mask:0xf bank_mask:0xf
	v_add_f32_e32 v0, v0, v1
	s_delay_alu instid0(VALU_DEP_1) | instskip(NEXT) | instid1(VALU_DEP_1)
	v_mov_b32_dpp v1, v0 quad_perm:[2,3,0,1] row_mask:0xf bank_mask:0xf
	v_add_f32_e32 v0, v0, v1
	s_delay_alu instid0(VALU_DEP_1)
	v_mov_b32_dpp v1, v0 row_half_mirror row_mask:0xf bank_mask:0xf
	s_and_b32 exec_lo, exec_lo, vcc_lo
	s_cbranch_execz .LBB177_21
; %bb.17:
	s_delay_alu instid0(VALU_DEP_1) | instskip(NEXT) | instid1(VALU_DEP_1)
	v_add_f32_e32 v0, v0, v1
	v_add_f32_e32 v0, v6, v0
	s_delay_alu instid0(VALU_DEP_1)
	v_cmp_neq_f32_e32 vcc_lo, 0, v0
	s_and_b32 exec_lo, exec_lo, vcc_lo
	s_cbranch_execz .LBB177_21
; %bb.18:
	s_and_not1_b32 vcc_lo, exec_lo, s3
	s_cbranch_vccnz .LBB177_21
; %bb.19:
	v_div_scale_f32 v2, null, v0, v0, 1.0
	v_div_scale_f32 v4, vcc_lo, 1.0, v0, 1.0
	s_delay_alu instid0(VALU_DEP_2) | instskip(SKIP_2) | instid1(VALU_DEP_1)
	v_rcp_f32_e32 v3, v2
	s_waitcnt_depctr 0xfff
	v_fma_f32 v1, -v2, v3, 1.0
	v_fmac_f32_e32 v3, v1, v3
	v_mul_lo_u32 v1, v7, s7
	s_delay_alu instid0(VALU_DEP_2) | instskip(NEXT) | instid1(VALU_DEP_1)
	v_mul_f32_e32 v5, v4, v3
	v_fma_f32 v6, -v2, v5, v4
	s_delay_alu instid0(VALU_DEP_1) | instskip(NEXT) | instid1(VALU_DEP_1)
	v_fmac_f32_e32 v5, v6, v3
	v_fma_f32 v4, -v2, v5, v4
	v_ashrrev_i32_e32 v2, 31, v1
	s_delay_alu instid0(VALU_DEP_2) | instskip(NEXT) | instid1(VALU_DEP_2)
	v_div_fmas_f32 v5, v4, v3, v5
	v_lshlrev_b64 v[3:4], 2, v[1:2]
	s_delay_alu instid0(VALU_DEP_2) | instskip(NEXT) | instid1(VALU_DEP_2)
	v_div_fixup_f32 v2, v5, v0, 1.0
	v_add_co_u32 v0, vcc_lo, s12, v3
	s_delay_alu instid0(VALU_DEP_3)
	v_add_co_ci_u32_e32 v1, vcc_lo, s13, v4, vcc_lo
.LBB177_20:                             ; =>This Inner Loop Header: Depth=1
	global_load_b32 v3, v[0:1], off
	s_add_i32 s4, s4, -1
	s_delay_alu instid0(SALU_CYCLE_1)
	s_cmp_lg_u32 s4, 0
	s_waitcnt vmcnt(0)
	v_mul_f32_e32 v3, v2, v3
	global_store_b32 v[0:1], v3, off
	v_add_co_u32 v0, vcc_lo, v0, 4
	v_add_co_ci_u32_e32 v1, vcc_lo, 0, v1, vcc_lo
	s_cbranch_scc1 .LBB177_20
.LBB177_21:
	s_nop 0
	s_sendmsg sendmsg(MSG_DEALLOC_VGPRS)
	s_endpgm
	.section	.rodata,"a",@progbits
	.p2align	6, 0x0
	.amdhsa_kernel _ZN4vllm3moe17topkGatingSoftmaxIDF16_Li16ELi128ELi8ELi32ELb0ELi0ELNS0_23SharedExpertScoringFuncE0EEEvPKT_PKbPfiPiS9_iiiiii
		.amdhsa_group_segment_fixed_size 0
		.amdhsa_private_segment_fixed_size 0
		.amdhsa_kernarg_size 72
		.amdhsa_user_sgpr_count 15
		.amdhsa_user_sgpr_dispatch_ptr 0
		.amdhsa_user_sgpr_queue_ptr 0
		.amdhsa_user_sgpr_kernarg_segment_ptr 1
		.amdhsa_user_sgpr_dispatch_id 0
		.amdhsa_user_sgpr_private_segment_size 0
		.amdhsa_wavefront_size32 1
		.amdhsa_uses_dynamic_stack 0
		.amdhsa_enable_private_segment 0
		.amdhsa_system_sgpr_workgroup_id_x 1
		.amdhsa_system_sgpr_workgroup_id_y 0
		.amdhsa_system_sgpr_workgroup_id_z 0
		.amdhsa_system_sgpr_workgroup_info 0
		.amdhsa_system_vgpr_workitem_id 1
		.amdhsa_next_free_vgpr 53
		.amdhsa_next_free_sgpr 19
		.amdhsa_reserve_vcc 1
		.amdhsa_float_round_mode_32 0
		.amdhsa_float_round_mode_16_64 0
		.amdhsa_float_denorm_mode_32 3
		.amdhsa_float_denorm_mode_16_64 3
		.amdhsa_dx10_clamp 1
		.amdhsa_ieee_mode 1
		.amdhsa_fp16_overflow 0
		.amdhsa_workgroup_processor_mode 1
		.amdhsa_memory_ordered 1
		.amdhsa_forward_progress 0
		.amdhsa_shared_vgpr_count 0
		.amdhsa_exception_fp_ieee_invalid_op 0
		.amdhsa_exception_fp_denorm_src 0
		.amdhsa_exception_fp_ieee_div_zero 0
		.amdhsa_exception_fp_ieee_overflow 0
		.amdhsa_exception_fp_ieee_underflow 0
		.amdhsa_exception_fp_ieee_inexact 0
		.amdhsa_exception_int_div_zero 0
	.end_amdhsa_kernel
	.section	.text._ZN4vllm3moe17topkGatingSoftmaxIDF16_Li16ELi128ELi8ELi32ELb0ELi0ELNS0_23SharedExpertScoringFuncE0EEEvPKT_PKbPfiPiS9_iiiiii,"axG",@progbits,_ZN4vllm3moe17topkGatingSoftmaxIDF16_Li16ELi128ELi8ELi32ELb0ELi0ELNS0_23SharedExpertScoringFuncE0EEEvPKT_PKbPfiPiS9_iiiiii,comdat
.Lfunc_end177:
	.size	_ZN4vllm3moe17topkGatingSoftmaxIDF16_Li16ELi128ELi8ELi32ELb0ELi0ELNS0_23SharedExpertScoringFuncE0EEEvPKT_PKbPfiPiS9_iiiiii, .Lfunc_end177-_ZN4vllm3moe17topkGatingSoftmaxIDF16_Li16ELi128ELi8ELi32ELb0ELi0ELNS0_23SharedExpertScoringFuncE0EEEvPKT_PKbPfiPiS9_iiiiii
                                        ; -- End function
	.section	.AMDGPU.csdata,"",@progbits
; Kernel info:
; codeLenInByte = 5180
; NumSgprs: 21
; NumVgprs: 53
; ScratchSize: 0
; MemoryBound: 0
; FloatMode: 240
; IeeeMode: 1
; LDSByteSize: 0 bytes/workgroup (compile time only)
; SGPRBlocks: 2
; VGPRBlocks: 6
; NumSGPRsForWavesPerEU: 21
; NumVGPRsForWavesPerEU: 53
; Occupancy: 16
; WaveLimiterHint : 0
; COMPUTE_PGM_RSRC2:SCRATCH_EN: 0
; COMPUTE_PGM_RSRC2:USER_SGPR: 15
; COMPUTE_PGM_RSRC2:TRAP_HANDLER: 0
; COMPUTE_PGM_RSRC2:TGID_X_EN: 1
; COMPUTE_PGM_RSRC2:TGID_Y_EN: 0
; COMPUTE_PGM_RSRC2:TGID_Z_EN: 0
; COMPUTE_PGM_RSRC2:TIDIG_COMP_CNT: 1
	.section	.text._ZN4vllm3moe17topkGatingSoftmaxIDF16_Li16ELi128ELi8ELi32ELb1ELi1ELNS0_23SharedExpertScoringFuncE1EEEvPKT_PKbPfiPiS9_iiiiii,"axG",@progbits,_ZN4vllm3moe17topkGatingSoftmaxIDF16_Li16ELi128ELi8ELi32ELb1ELi1ELNS0_23SharedExpertScoringFuncE1EEEvPKT_PKbPfiPiS9_iiiiii,comdat
	.protected	_ZN4vllm3moe17topkGatingSoftmaxIDF16_Li16ELi128ELi8ELi32ELb1ELi1ELNS0_23SharedExpertScoringFuncE1EEEvPKT_PKbPfiPiS9_iiiiii ; -- Begin function _ZN4vllm3moe17topkGatingSoftmaxIDF16_Li16ELi128ELi8ELi32ELb1ELi1ELNS0_23SharedExpertScoringFuncE1EEEvPKT_PKbPfiPiS9_iiiiii
	.globl	_ZN4vllm3moe17topkGatingSoftmaxIDF16_Li16ELi128ELi8ELi32ELb1ELi1ELNS0_23SharedExpertScoringFuncE1EEEvPKT_PKbPfiPiS9_iiiiii
	.p2align	8
	.type	_ZN4vllm3moe17topkGatingSoftmaxIDF16_Li16ELi128ELi8ELi32ELb1ELi1ELNS0_23SharedExpertScoringFuncE1EEEvPKT_PKbPfiPiS9_iiiiii,@function
_ZN4vllm3moe17topkGatingSoftmaxIDF16_Li16ELi128ELi8ELi32ELb1ELi1ELNS0_23SharedExpertScoringFuncE1EEEvPKT_PKbPfiPiS9_iiiiii: ; @_ZN4vllm3moe17topkGatingSoftmaxIDF16_Li16ELi128ELi8ELi32ELb1ELi1ELNS0_23SharedExpertScoringFuncE1EEEvPKT_PKbPfiPiS9_iiiiii
; %bb.0:
	s_load_b32 s16, s[0:1], 0x18
	v_bfe_u32 v1, v0, 10, 10
	v_and_b32_e32 v0, 0x3ff, v0
	s_lshl_b32 s18, s15, 5
	s_mov_b32 s2, exec_lo
	s_delay_alu instid0(VALU_DEP_2) | instskip(NEXT) | instid1(VALU_DEP_2)
	v_lshlrev_b32_e32 v42, 2, v1
	v_lshrrev_b32_e32 v43, 3, v0
	s_delay_alu instid0(VALU_DEP_1) | instskip(SKIP_1) | instid1(VALU_DEP_1)
	v_add3_u32 v10, s18, v42, v43
	s_waitcnt lgkmcnt(0)
	v_cmpx_gt_i32_e64 s16, v10
	s_cbranch_execz .LBB178_22
; %bb.1:
	s_clause 0x1
	s_load_b128 s[4:7], s[0:1], 0x0
	s_load_b64 s[12:13], s[0:1], 0x10
	s_waitcnt lgkmcnt(0)
	s_cmp_eq_u64 s[6:7], 0
	s_cbranch_scc1 .LBB178_3
; %bb.2:
	v_ashrrev_i32_e32 v2, 31, v10
	v_add_co_u32 v1, vcc_lo, s6, v10
	s_delay_alu instid0(VALU_DEP_2) | instskip(SKIP_3) | instid1(VALU_DEP_1)
	v_add_co_ci_u32_e32 v2, vcc_lo, s7, v2, vcc_lo
	global_load_u8 v1, v[1:2], off
	s_waitcnt vmcnt(0)
	v_and_b32_e32 v1, 1, v1
	v_cmp_eq_u32_e32 vcc_lo, 1, v1
	s_xor_b32 s2, vcc_lo, -1
	s_delay_alu instid0(SALU_CYCLE_1)
	s_or_not1_b32 s17, s2, exec_lo
	s_branch .LBB178_4
.LBB178_3:
	s_mov_b32 s17, -1
.LBB178_4:
	s_clause 0x1
	s_load_b64 s[14:15], s[0:1], 0x40
	s_load_b128 s[8:11], s[0:1], 0x30
	v_and_b32_e32 v11, 7, v0
	s_delay_alu instid0(VALU_DEP_1) | instskip(SKIP_3) | instid1(VALU_DEP_1)
	v_dual_mov_b32 v13, 0 :: v_dual_lshlrev_b32 v12, 4, v11
	v_cmp_eq_u32_e64 s2, 0, v11
	s_waitcnt lgkmcnt(0)
	v_mul_lo_u32 v1, v10, s15
	v_ashrrev_i32_e32 v2, 31, v1
	s_delay_alu instid0(VALU_DEP_1) | instskip(SKIP_1) | instid1(VALU_DEP_2)
	v_lshlrev_b64 v[0:1], 1, v[1:2]
	v_lshlrev_b32_e32 v2, 5, v11
	v_add_co_u32 v8, vcc_lo, s4, v0
	s_delay_alu instid0(VALU_DEP_3) | instskip(NEXT) | instid1(VALU_DEP_2)
	v_add_co_ci_u32_e32 v9, vcc_lo, s5, v1, vcc_lo
	v_add_co_u32 v4, vcc_lo, v8, v2
	s_delay_alu instid0(VALU_DEP_2)
	v_add_co_ci_u32_e32 v5, vcc_lo, 0, v9, vcc_lo
	s_clause 0x1
	global_load_b128 v[0:3], v[4:5], off offset:16
	global_load_b128 v[4:7], v[4:5], off
	s_and_saveexec_b32 s3, s2
	s_cbranch_execz .LBB178_6
; %bb.5:
	global_load_u16 v8, v[8:9], off offset:256
	s_mov_b32 s4, 0x3fb8aa3b
	s_waitcnt vmcnt(0)
	v_cvt_f32_f16_e64 v9, -v8
	s_delay_alu instid0(VALU_DEP_1) | instskip(SKIP_1) | instid1(VALU_DEP_2)
	v_mul_f32_e32 v14, 0x3fb8aa3b, v9
	v_cmp_ngt_f32_e32 vcc_lo, 0xc2ce8ed0, v9
	v_rndne_f32_e32 v15, v14
	v_fma_mix_f32 v16, -v8, s4, -v14 op_sel_hi:[1,0,0]
	s_mov_b32 s4, 0x32a5705f
	s_delay_alu instid0(VALU_DEP_2) | instskip(NEXT) | instid1(VALU_DEP_2)
	v_sub_f32_e32 v14, v14, v15
	v_fma_mix_f32 v8, -v8, s4, v16 op_sel_hi:[1,0,0]
	s_delay_alu instid0(VALU_DEP_1) | instskip(SKIP_1) | instid1(VALU_DEP_2)
	v_add_f32_e32 v8, v14, v8
	v_cvt_i32_f32_e32 v14, v15
	v_exp_f32_e32 v8, v8
	s_waitcnt_depctr 0xfff
	v_ldexp_f32 v8, v8, v14
	s_delay_alu instid0(VALU_DEP_1) | instskip(SKIP_1) | instid1(VALU_DEP_2)
	v_cndmask_b32_e32 v8, 0, v8, vcc_lo
	v_cmp_nlt_f32_e32 vcc_lo, 0x42b17218, v9
	v_cndmask_b32_e32 v8, 0x7f800000, v8, vcc_lo
	s_delay_alu instid0(VALU_DEP_1) | instskip(NEXT) | instid1(VALU_DEP_1)
	v_add_f32_e32 v14, 1.0, v8
	v_div_scale_f32 v15, null, v14, v14, 1.0
	v_div_scale_f32 v17, vcc_lo, 1.0, v14, 1.0
	s_delay_alu instid0(VALU_DEP_2) | instskip(SKIP_2) | instid1(VALU_DEP_1)
	v_rcp_f32_e32 v16, v15
	s_waitcnt_depctr 0xfff
	v_fma_f32 v8, -v15, v16, 1.0
	v_fmac_f32_e32 v16, v8, v16
	v_mad_u64_u32 v[8:9], null, v10, s11, s[8:9]
	s_delay_alu instid0(VALU_DEP_2) | instskip(NEXT) | instid1(VALU_DEP_2)
	v_mul_f32_e32 v18, v17, v16
	v_ashrrev_i32_e32 v9, 31, v8
	s_delay_alu instid0(VALU_DEP_2) | instskip(NEXT) | instid1(VALU_DEP_2)
	v_fma_f32 v19, -v15, v18, v17
	v_lshlrev_b64 v[8:9], 2, v[8:9]
	s_delay_alu instid0(VALU_DEP_2) | instskip(NEXT) | instid1(VALU_DEP_1)
	v_fmac_f32_e32 v18, v19, v16
	v_fma_f32 v15, -v15, v18, v17
	s_delay_alu instid0(VALU_DEP_1) | instskip(NEXT) | instid1(VALU_DEP_4)
	v_div_fmas_f32 v15, v15, v16, v18
	v_add_co_u32 v8, vcc_lo, s12, v8
	v_add_co_ci_u32_e32 v9, vcc_lo, s13, v9, vcc_lo
	s_delay_alu instid0(VALU_DEP_3)
	v_div_fixup_f32 v14, v15, v14, 1.0
	global_store_b32 v[8:9], v14, off
.LBB178_6:
	s_or_b32 exec_lo, exec_lo, s3
	s_waitcnt vmcnt(0)
	v_lshrrev_b32_e32 v15, 16, v4
	v_cvt_f32_f16_e32 v8, v4
	v_or_b32_e32 v9, 1, v12
	v_or_b32_e32 v16, 2, v12
	v_cvt_f32_f16_e32 v19, v6
	v_cvt_f32_f16_e32 v14, v15
	v_cmp_lt_f16_e32 vcc_lo, v4, v15
	v_cvt_f32_f16_e32 v15, v5
	v_lshrrev_b32_e32 v5, 16, v5
	v_lshrrev_b32_e32 v6, 16, v6
	v_or_b32_e32 v20, 4, v12
	v_cvt_f32_f16_e32 v23, v7
	v_or_b32_e32 v22, 5, v12
	v_cvt_f32_f16_e32 v17, v5
	v_cndmask_b32_e32 v18, v8, v14, vcc_lo
	v_cndmask_b32_e32 v4, v12, v9, vcc_lo
	v_cvt_f32_f16_e32 v21, v6
	v_lshrrev_b32_e32 v6, 16, v7
	v_or_b32_e32 v7, 6, v12
	v_cmp_lt_f32_e32 vcc_lo, v18, v15
	v_cvt_f32_f16_e32 v30, v1
	v_lshrrev_b32_e32 v1, 16, v1
	v_cvt_f32_f16_e32 v24, v6
	v_or_b32_e32 v25, 7, v12
	v_dual_cndmask_b32 v5, v18, v15 :: v_dual_cndmask_b32 v4, v4, v16
	v_or_b32_e32 v18, 3, v12
	v_cvt_f32_f16_e32 v32, v1
	v_cvt_f32_f16_e32 v26, v0
	s_delay_alu instid0(VALU_DEP_4)
	v_cmp_lt_f32_e32 vcc_lo, v5, v17
	v_lshrrev_b32_e32 v0, 16, v0
	v_or_b32_e32 v27, 8, v12
	v_cvt_f32_f16_e32 v34, v2
	v_lshrrev_b32_e32 v2, 16, v2
	v_dual_cndmask_b32 v5, v5, v17 :: v_dual_cndmask_b32 v4, v4, v18
	v_cvt_f32_f16_e32 v28, v0
	v_or_b32_e32 v29, 9, v12
	s_delay_alu instid0(VALU_DEP_4) | instskip(NEXT) | instid1(VALU_DEP_4)
	v_cvt_f32_f16_e32 v36, v2
	v_cmp_lt_f32_e32 vcc_lo, v5, v19
	v_cvt_f32_f16_e32 v38, v3
	v_or_b32_e32 v31, 10, v12
	v_lshrrev_b32_e32 v2, 16, v3
	v_or_b32_e32 v33, 11, v12
	v_dual_cndmask_b32 v5, v5, v19 :: v_dual_cndmask_b32 v4, v4, v20
	v_or_b32_e32 v35, 12, v12
	s_delay_alu instid0(VALU_DEP_4) | instskip(SKIP_1) | instid1(VALU_DEP_4)
	v_cvt_f32_f16_e32 v40, v2
	v_or_b32_e32 v37, 13, v12
	v_cmp_lt_f32_e32 vcc_lo, v5, v21
	v_or_b32_e32 v39, 14, v12
	v_or_b32_e32 v41, 15, v12
	v_dual_cndmask_b32 v5, v5, v21 :: v_dual_cndmask_b32 v4, v4, v22
	s_delay_alu instid0(VALU_DEP_1) | instskip(SKIP_1) | instid1(VALU_DEP_3)
	v_cmp_lt_f32_e32 vcc_lo, v5, v23
	v_cndmask_b32_e32 v5, v5, v23, vcc_lo
	v_cndmask_b32_e32 v4, v4, v7, vcc_lo
	s_delay_alu instid0(VALU_DEP_2) | instskip(NEXT) | instid1(VALU_DEP_2)
	v_cmp_lt_f32_e32 vcc_lo, v5, v24
	v_dual_cndmask_b32 v5, v5, v24 :: v_dual_cndmask_b32 v4, v4, v25
	s_delay_alu instid0(VALU_DEP_1) | instskip(NEXT) | instid1(VALU_DEP_2)
	v_cmp_lt_f32_e32 vcc_lo, v5, v26
	v_cndmask_b32_e32 v0, v4, v27, vcc_lo
	v_cndmask_b32_e32 v4, v5, v26, vcc_lo
	s_delay_alu instid0(VALU_DEP_1) | instskip(SKIP_1) | instid1(VALU_DEP_4)
	v_cmp_lt_f32_e32 vcc_lo, v4, v28
	v_cndmask_b32_e32 v4, v4, v28, vcc_lo
	v_cndmask_b32_e32 v0, v0, v29, vcc_lo
	s_delay_alu instid0(VALU_DEP_2) | instskip(SKIP_1) | instid1(VALU_DEP_3)
	v_cmp_lt_f32_e32 vcc_lo, v4, v30
	v_cndmask_b32_e32 v1, v4, v30, vcc_lo
	v_cndmask_b32_e32 v0, v0, v31, vcc_lo
	s_delay_alu instid0(VALU_DEP_2) | instskip(NEXT) | instid1(VALU_DEP_2)
	v_cmp_lt_f32_e32 vcc_lo, v1, v32
	v_dual_cndmask_b32 v1, v1, v32 :: v_dual_cndmask_b32 v0, v0, v33
	s_delay_alu instid0(VALU_DEP_1) | instskip(NEXT) | instid1(VALU_DEP_2)
	v_cmp_lt_f32_e32 vcc_lo, v1, v34
	v_dual_cndmask_b32 v1, v1, v34 :: v_dual_cndmask_b32 v0, v0, v35
	s_delay_alu instid0(VALU_DEP_1) | instskip(NEXT) | instid1(VALU_DEP_2)
	;; [unrolled: 3-line block ×5, first 2 shown]
	v_mov_b32_dpp v3, v1 quad_perm:[1,0,3,2] row_mask:0xf bank_mask:0xf
	v_mov_b32_dpp v2, v0 quad_perm:[1,0,3,2] row_mask:0xf bank_mask:0xf
	s_delay_alu instid0(VALU_DEP_2) | instskip(NEXT) | instid1(VALU_DEP_2)
	v_cmp_eq_f32_e64 s3, v1, v3
	v_cmp_lt_i32_e32 vcc_lo, v2, v0
	v_cmp_lt_f32_e64 s4, v1, v3
	s_delay_alu instid0(VALU_DEP_3)
	s_and_b32 s3, s3, vcc_lo
	s_delay_alu instid0(VALU_DEP_1) | instid1(SALU_CYCLE_1)
	s_or_b32 vcc_lo, s4, s3
	v_dual_cndmask_b32 v1, v1, v3 :: v_dual_cndmask_b32 v0, v0, v2
	s_delay_alu instid0(VALU_DEP_1) | instskip(NEXT) | instid1(VALU_DEP_2)
	v_mov_b32_dpp v2, v1 quad_perm:[2,3,0,1] row_mask:0xf bank_mask:0xf
	v_mov_b32_dpp v3, v0 quad_perm:[2,3,0,1] row_mask:0xf bank_mask:0xf
	s_delay_alu instid0(VALU_DEP_2) | instskip(NEXT) | instid1(VALU_DEP_2)
	v_cmp_eq_f32_e32 vcc_lo, v1, v2
	v_cmp_lt_i32_e64 s3, v3, v0
	v_cmp_lt_f32_e64 s4, v1, v2
	s_delay_alu instid0(VALU_DEP_2)
	s_and_b32 s3, vcc_lo, s3
	s_delay_alu instid0(VALU_DEP_1) | instid1(SALU_CYCLE_1)
	s_or_b32 vcc_lo, s4, s3
	s_cmp_gt_i32 s8, 0
	v_cndmask_b32_e32 v2, v1, v2, vcc_lo
	v_cndmask_b32_e32 v0, v0, v3, vcc_lo
	s_cselect_b32 s3, -1, 0
	s_delay_alu instid0(SALU_CYCLE_1) | instskip(NEXT) | instid1(VALU_DEP_2)
	s_and_b32 vcc_lo, exec_lo, s3
	v_mov_b32_dpp v4, v2 row_half_mirror row_mask:0xf bank_mask:0xf
	s_delay_alu instid0(VALU_DEP_2)
	v_mov_b32_dpp v6, v0 row_half_mirror row_mask:0xf bank_mask:0xf
	s_cbranch_vccz .LBB178_18
; %bb.7:
	s_load_b128 s[4:7], s[0:1], 0x20
	s_delay_alu instid0(VALU_DEP_2) | instskip(NEXT) | instid1(VALU_DEP_2)
	v_cmp_eq_f32_e32 vcc_lo, v2, v4
	v_cmp_lt_i32_e64 s0, v6, v0
	v_cmp_lt_f32_e64 s1, v2, v4
	v_mul_lo_u32 v1, v10, s11
	v_mul_lo_u32 v3, v10, s14
	;; [unrolled: 1-line block ×3, first 2 shown]
	s_and_b32 s0, vcc_lo, s0
	v_mov_b32_e32 v13, 0
	s_or_b32 vcc_lo, s1, s0
	v_cndmask_b32_e32 v0, v0, v6, vcc_lo
	v_cndmask_b32_e32 v44, v2, v4, vcc_lo
	s_and_saveexec_b32 s1, s2
	s_cbranch_execz .LBB178_9
; %bb.8:
	s_delay_alu instid0(VALU_DEP_1)
	v_sub_f32_e32 v13, v44, v44
	v_cmp_le_i32_e32 vcc_lo, s9, v0
	v_cmp_gt_i32_e64 s0, s10, v0
	v_subrev_nc_u32_e32 v51, s9, v0
	v_ashrrev_i32_e32 v6, 31, v5
	v_mul_f32_e32 v2, 0x3fb8aa3b, v13
	s_delay_alu instid0(VALU_DEP_4) | instskip(NEXT) | instid1(SALU_CYCLE_1)
	s_and_b32 s0, vcc_lo, s0
	s_and_b32 vcc_lo, s17, s0
	s_delay_alu instid0(VALU_DEP_1) | instskip(SKIP_2) | instid1(VALU_DEP_3)
	v_rndne_f32_e32 v47, v2
	v_fma_f32 v4, 0x3fb8aa3b, v13, -v2
	v_lshlrev_b64 v[49:50], 2, v[5:6]
	v_sub_f32_e32 v2, v2, v47
	s_delay_alu instid0(VALU_DEP_3) | instskip(NEXT) | instid1(VALU_DEP_1)
	v_fmamk_f32 v4, v13, 0x32a5705f, v4
	v_add_f32_e32 v4, v2, v4
	v_ashrrev_i32_e32 v2, 31, v1
	s_delay_alu instid0(VALU_DEP_2) | instskip(NEXT) | instid1(VALU_DEP_1)
	v_exp_f32_e32 v52, v4
	v_lshlrev_b64 v[45:46], 2, v[1:2]
	v_ashrrev_i32_e32 v4, 31, v3
	v_cvt_i32_f32_e32 v2, v47
	s_delay_alu instid0(VALU_DEP_2) | instskip(SKIP_3) | instid1(TRANS32_DEP_1)
	v_lshlrev_b64 v[47:48], 2, v[3:4]
	v_cndmask_b32_e32 v4, 0x80, v51, vcc_lo
	v_add_co_u32 v45, vcc_lo, s12, v45
	v_add_co_ci_u32_e32 v46, vcc_lo, s13, v46, vcc_lo
	v_ldexp_f32 v2, v52, v2
	v_cmp_ngt_f32_e32 vcc_lo, 0xc2ce8ed0, v13
	s_delay_alu instid0(VALU_DEP_2)
	v_cndmask_b32_e32 v2, 0, v2, vcc_lo
	s_waitcnt lgkmcnt(0)
	v_add_co_u32 v47, vcc_lo, s4, v47
	v_add_co_ci_u32_e32 v48, vcc_lo, s5, v48, vcc_lo
	v_cmp_nlt_f32_e32 vcc_lo, 0x42b17218, v13
	v_cndmask_b32_e32 v13, 0x7f800000, v2, vcc_lo
	v_add_co_u32 v49, vcc_lo, s6, v49
	v_add_co_ci_u32_e32 v50, vcc_lo, s7, v50, vcc_lo
	global_store_b32 v[47:48], v4, off
	global_store_b32 v[45:46], v13, off
	;; [unrolled: 1-line block ×3, first 2 shown]
.LBB178_9:
	s_or_b32 exec_lo, exec_lo, s1
	v_ashrrev_i32_e32 v4, 31, v0
	s_mov_b32 s0, exec_lo
	s_delay_alu instid0(VALU_DEP_1) | instskip(NEXT) | instid1(VALU_DEP_1)
	v_lshrrev_b32_e32 v2, 28, v4
	v_add_nc_u32_e32 v2, v0, v2
	s_delay_alu instid0(VALU_DEP_1) | instskip(NEXT) | instid1(VALU_DEP_1)
	v_ashrrev_i32_e32 v2, 4, v2
	v_lshrrev_b32_e32 v6, 29, v2
	s_delay_alu instid0(VALU_DEP_1) | instskip(NEXT) | instid1(VALU_DEP_1)
	v_add_nc_u32_e32 v6, v2, v6
	v_and_b32_e32 v6, -8, v6
	s_delay_alu instid0(VALU_DEP_1) | instskip(NEXT) | instid1(VALU_DEP_1)
	v_sub_nc_u32_e32 v6, v2, v6
	v_cmpx_eq_u32_e64 v11, v6
	s_cbranch_execz .LBB178_11
; %bb.10:
	v_lshrrev_b32_e32 v4, 25, v4
	v_lshlrev_b32_e32 v2, 4, v2
	s_delay_alu instid0(VALU_DEP_2) | instskip(NEXT) | instid1(VALU_DEP_2)
	v_add_nc_u32_e32 v4, v0, v4
	v_sub_nc_u32_e32 v0, v0, v2
	s_delay_alu instid0(VALU_DEP_2) | instskip(NEXT) | instid1(VALU_DEP_1)
	v_ashrrev_i32_e32 v2, 7, v4
	v_lshl_add_u32 v0, v2, 4, v0
	s_delay_alu instid0(VALU_DEP_1)
	v_cmp_ne_u32_e32 vcc_lo, 15, v0
	v_cndmask_b32_e32 v40, 0xff800000, v40, vcc_lo
	v_cmp_ne_u32_e32 vcc_lo, 14, v0
	v_cndmask_b32_e32 v38, 0xff800000, v38, vcc_lo
	v_cmp_ne_u32_e32 vcc_lo, 13, v0
	v_cndmask_b32_e32 v36, 0xff800000, v36, vcc_lo
	v_cmp_ne_u32_e32 vcc_lo, 12, v0
	v_cndmask_b32_e32 v34, 0xff800000, v34, vcc_lo
	v_cmp_ne_u32_e32 vcc_lo, 11, v0
	v_cndmask_b32_e32 v32, 0xff800000, v32, vcc_lo
	v_cmp_ne_u32_e32 vcc_lo, 10, v0
	v_cndmask_b32_e32 v30, 0xff800000, v30, vcc_lo
	v_cmp_ne_u32_e32 vcc_lo, 9, v0
	v_cndmask_b32_e32 v28, 0xff800000, v28, vcc_lo
	v_cmp_ne_u32_e32 vcc_lo, 8, v0
	v_cndmask_b32_e32 v26, 0xff800000, v26, vcc_lo
	v_cmp_ne_u32_e32 vcc_lo, 7, v0
	v_cndmask_b32_e32 v24, 0xff800000, v24, vcc_lo
	v_cmp_ne_u32_e32 vcc_lo, 6, v0
	v_cndmask_b32_e32 v23, 0xff800000, v23, vcc_lo
	v_cmp_ne_u32_e32 vcc_lo, 5, v0
	v_cndmask_b32_e32 v21, 0xff800000, v21, vcc_lo
	v_cmp_ne_u32_e32 vcc_lo, 4, v0
	v_cndmask_b32_e32 v19, 0xff800000, v19, vcc_lo
	v_cmp_ne_u32_e32 vcc_lo, 3, v0
	v_cndmask_b32_e32 v17, 0xff800000, v17, vcc_lo
	v_cmp_ne_u32_e32 vcc_lo, 2, v0
	v_cndmask_b32_e32 v15, 0xff800000, v15, vcc_lo
	v_cmp_ne_u32_e32 vcc_lo, 1, v0
	v_cndmask_b32_e32 v14, 0xff800000, v14, vcc_lo
	v_cmp_ne_u32_e32 vcc_lo, 0, v0
	v_cndmask_b32_e32 v8, 0xff800000, v8, vcc_lo
.LBB178_11:
	s_or_b32 exec_lo, exec_lo, s0
	s_cmp_eq_u32 s8, 1
	s_cbranch_scc1 .LBB178_18
; %bb.12:
	s_add_i32 s18, s18, s16
	v_add_nc_u32_e32 v0, 1, v5
	v_add3_u32 v6, s18, v43, v42
	v_add_nc_u32_e32 v2, 1, v3
	v_add_nc_u32_e32 v4, 1, v1
	s_add_i32 s14, s8, -1
	s_branch .LBB178_14
.LBB178_13:                             ;   in Loop: Header=BB178_14 Depth=1
	s_or_b32 exec_lo, exec_lo, s0
	v_add_nc_u32_e32 v6, s16, v6
	v_add_nc_u32_e32 v0, 1, v0
	;; [unrolled: 1-line block ×4, first 2 shown]
	s_add_i32 s14, s14, -1
	s_delay_alu instid0(SALU_CYCLE_1)
	s_cmp_eq_u32 s14, 0
	s_cbranch_scc1 .LBB178_18
.LBB178_14:                             ; =>This Inner Loop Header: Depth=1
	v_cmp_gt_f32_e32 vcc_lo, v14, v8
	v_cndmask_b32_e32 v3, v8, v14, vcc_lo
	v_cndmask_b32_e32 v1, v12, v9, vcc_lo
	s_delay_alu instid0(VALU_DEP_2) | instskip(SKIP_1) | instid1(VALU_DEP_3)
	v_cmp_gt_f32_e32 vcc_lo, v15, v3
	v_cndmask_b32_e32 v3, v3, v15, vcc_lo
	v_cndmask_b32_e32 v1, v1, v16, vcc_lo
	s_delay_alu instid0(VALU_DEP_2) | instskip(SKIP_1) | instid1(VALU_DEP_3)
	;; [unrolled: 4-line block ×13, first 2 shown]
	v_cmp_gt_f32_e32 vcc_lo, v38, v3
	v_cndmask_b32_e32 v3, v3, v38, vcc_lo
	v_cndmask_b32_e32 v1, v1, v39, vcc_lo
	s_delay_alu instid0(VALU_DEP_2) | instskip(NEXT) | instid1(VALU_DEP_2)
	v_cmp_gt_f32_e32 vcc_lo, v40, v3
	v_cndmask_b32_e32 v1, v1, v41, vcc_lo
	v_cndmask_b32_e32 v3, v3, v40, vcc_lo
	s_delay_alu instid0(VALU_DEP_2) | instskip(NEXT) | instid1(VALU_DEP_2)
	v_mov_b32_dpp v5, v1 quad_perm:[1,0,3,2] row_mask:0xf bank_mask:0xf
	v_mov_b32_dpp v42, v3 quad_perm:[1,0,3,2] row_mask:0xf bank_mask:0xf
	s_delay_alu instid0(VALU_DEP_2) | instskip(NEXT) | instid1(VALU_DEP_2)
	v_cmp_lt_i32_e32 vcc_lo, v5, v1
	v_cmp_eq_f32_e64 s0, v3, v42
	v_cmp_lt_f32_e64 s1, v3, v42
	s_delay_alu instid0(VALU_DEP_2)
	s_and_b32 s0, s0, vcc_lo
	s_delay_alu instid0(VALU_DEP_1) | instid1(SALU_CYCLE_1)
	s_or_b32 vcc_lo, s1, s0
	v_cndmask_b32_e32 v3, v3, v42, vcc_lo
	v_cndmask_b32_e32 v5, v1, v5, vcc_lo
	s_delay_alu instid0(VALU_DEP_2) | instskip(NEXT) | instid1(VALU_DEP_2)
	v_mov_b32_dpp v1, v3 quad_perm:[2,3,0,1] row_mask:0xf bank_mask:0xf
	v_mov_b32_dpp v42, v5 quad_perm:[2,3,0,1] row_mask:0xf bank_mask:0xf
	s_delay_alu instid0(VALU_DEP_2) | instskip(NEXT) | instid1(VALU_DEP_2)
	v_cmp_eq_f32_e32 vcc_lo, v3, v1
	v_cmp_lt_i32_e64 s0, v42, v5
	v_cmp_lt_f32_e64 s1, v3, v1
	s_delay_alu instid0(VALU_DEP_2)
	s_and_b32 s0, vcc_lo, s0
	s_delay_alu instid0(VALU_DEP_1) | instid1(SALU_CYCLE_1)
	s_or_b32 vcc_lo, s1, s0
	v_cndmask_b32_e32 v1, v3, v1, vcc_lo
	v_cndmask_b32_e32 v5, v5, v42, vcc_lo
	s_delay_alu instid0(VALU_DEP_2) | instskip(NEXT) | instid1(VALU_DEP_2)
	v_mov_b32_dpp v3, v1 row_half_mirror row_mask:0xf bank_mask:0xf
	v_mov_b32_dpp v42, v5 row_half_mirror row_mask:0xf bank_mask:0xf
	s_delay_alu instid0(VALU_DEP_2) | instskip(NEXT) | instid1(VALU_DEP_2)
	v_cmp_eq_f32_e32 vcc_lo, v1, v3
	v_cmp_lt_i32_e64 s0, v42, v5
	v_cmp_lt_f32_e64 s1, v1, v3
	s_delay_alu instid0(VALU_DEP_2)
	s_and_b32 s0, vcc_lo, s0
	s_delay_alu instid0(VALU_DEP_1) | instid1(SALU_CYCLE_1)
	s_or_b32 vcc_lo, s1, s0
	v_cndmask_b32_e32 v42, v5, v42, vcc_lo
	s_and_saveexec_b32 s1, s2
	s_cbranch_execz .LBB178_16
; %bb.15:                               ;   in Loop: Header=BB178_14 Depth=1
	v_cndmask_b32_e32 v1, v1, v3, vcc_lo
	s_delay_alu instid0(VALU_DEP_2) | instskip(SKIP_4) | instid1(VALU_DEP_4)
	v_cmp_le_i32_e32 vcc_lo, s9, v42
	v_cmp_gt_i32_e64 s0, s10, v42
	v_ashrrev_i32_e32 v5, 31, v4
	v_subrev_nc_u32_e32 v51, s9, v42
	v_sub_f32_e32 v43, v1, v44
	s_and_b32 s0, vcc_lo, s0
	s_delay_alu instid0(SALU_CYCLE_1) | instskip(NEXT) | instid1(VALU_DEP_1)
	s_and_b32 vcc_lo, s17, s0
	v_mul_f32_e32 v1, 0x3fb8aa3b, v43
	s_delay_alu instid0(VALU_DEP_1) | instskip(SKIP_1) | instid1(VALU_DEP_2)
	v_fma_f32 v3, 0x3fb8aa3b, v43, -v1
	v_rndne_f32_e32 v45, v1
	v_fmac_f32_e32 v3, 0x32a5705f, v43
	s_delay_alu instid0(VALU_DEP_2) | instskip(SKIP_2) | instid1(VALU_DEP_3)
	v_sub_f32_e32 v1, v1, v45
	v_cvt_i32_f32_e32 v50, v45
	v_lshlrev_b64 v[45:46], 2, v[4:5]
	v_add_f32_e32 v1, v1, v3
	v_ashrrev_i32_e32 v3, 31, v2
	s_delay_alu instid0(VALU_DEP_2) | instskip(SKIP_1) | instid1(VALU_DEP_2)
	v_exp_f32_e32 v49, v1
	v_ashrrev_i32_e32 v1, 31, v0
	v_lshlrev_b64 v[47:48], 2, v[2:3]
	s_waitcnt_depctr 0xfff
	v_ldexp_f32 v3, v49, v50
	v_lshlrev_b64 v[49:50], 2, v[0:1]
	v_cndmask_b32_e32 v1, 0x80, v51, vcc_lo
	v_cmp_ngt_f32_e32 vcc_lo, 0xc2ce8ed0, v43
	s_delay_alu instid0(VALU_DEP_4) | instskip(SKIP_3) | instid1(VALU_DEP_4)
	v_cndmask_b32_e32 v3, 0, v3, vcc_lo
	v_add_co_u32 v45, vcc_lo, s12, v45
	v_add_co_ci_u32_e32 v46, vcc_lo, s13, v46, vcc_lo
	v_cmp_nlt_f32_e32 vcc_lo, 0x42b17218, v43
	v_cndmask_b32_e32 v3, 0x7f800000, v3, vcc_lo
	s_waitcnt lgkmcnt(0)
	v_add_co_u32 v47, vcc_lo, s4, v47
	v_add_co_ci_u32_e32 v48, vcc_lo, s5, v48, vcc_lo
	v_add_co_u32 v49, vcc_lo, s6, v49
	v_add_f32_e32 v13, v13, v3
	v_add_co_ci_u32_e32 v50, vcc_lo, s7, v50, vcc_lo
	global_store_b32 v[45:46], v3, off
	global_store_b32 v[47:48], v1, off
	;; [unrolled: 1-line block ×3, first 2 shown]
.LBB178_16:                             ;   in Loop: Header=BB178_14 Depth=1
	s_or_b32 exec_lo, exec_lo, s1
	s_delay_alu instid0(VALU_DEP_1) | instskip(SKIP_1) | instid1(VALU_DEP_1)
	v_ashrrev_i32_e32 v3, 31, v42
	s_mov_b32 s0, exec_lo
	v_lshrrev_b32_e32 v1, 28, v3
	s_delay_alu instid0(VALU_DEP_1) | instskip(NEXT) | instid1(VALU_DEP_1)
	v_add_nc_u32_e32 v1, v42, v1
	v_ashrrev_i32_e32 v1, 4, v1
	s_delay_alu instid0(VALU_DEP_1) | instskip(NEXT) | instid1(VALU_DEP_1)
	v_lshrrev_b32_e32 v5, 29, v1
	v_add_nc_u32_e32 v5, v1, v5
	s_delay_alu instid0(VALU_DEP_1) | instskip(NEXT) | instid1(VALU_DEP_1)
	v_and_b32_e32 v5, -8, v5
	v_sub_nc_u32_e32 v5, v1, v5
	s_delay_alu instid0(VALU_DEP_1)
	v_cmpx_eq_u32_e64 v11, v5
	s_cbranch_execz .LBB178_13
; %bb.17:                               ;   in Loop: Header=BB178_14 Depth=1
	v_lshrrev_b32_e32 v3, 25, v3
	v_lshlrev_b32_e32 v1, 4, v1
	s_delay_alu instid0(VALU_DEP_2) | instskip(NEXT) | instid1(VALU_DEP_2)
	v_add_nc_u32_e32 v3, v42, v3
	v_sub_nc_u32_e32 v1, v42, v1
	s_delay_alu instid0(VALU_DEP_2) | instskip(NEXT) | instid1(VALU_DEP_1)
	v_ashrrev_i32_e32 v3, 7, v3
	v_lshl_add_u32 v1, v3, 4, v1
	s_delay_alu instid0(VALU_DEP_1)
	v_cmp_ne_u32_e32 vcc_lo, 15, v1
	v_cndmask_b32_e32 v40, 0xff800000, v40, vcc_lo
	v_cmp_ne_u32_e32 vcc_lo, 14, v1
	v_cndmask_b32_e32 v38, 0xff800000, v38, vcc_lo
	;; [unrolled: 2-line block ×16, first 2 shown]
	s_branch .LBB178_13
.LBB178_18:
	v_cmp_neq_f32_e32 vcc_lo, 0, v13
	s_and_b32 s0, s2, vcc_lo
	s_delay_alu instid0(SALU_CYCLE_1)
	s_and_b32 exec_lo, exec_lo, s0
	s_cbranch_execz .LBB178_22
; %bb.19:
	s_and_not1_b32 vcc_lo, exec_lo, s3
	s_cbranch_vccnz .LBB178_22
; %bb.20:
	v_div_scale_f32 v1, null, v13, v13, 1.0
	v_div_scale_f32 v3, vcc_lo, 1.0, v13, 1.0
	s_delay_alu instid0(VALU_DEP_2) | instskip(SKIP_2) | instid1(VALU_DEP_1)
	v_rcp_f32_e32 v2, v1
	s_waitcnt_depctr 0xfff
	v_fma_f32 v0, -v1, v2, 1.0
	v_fmac_f32_e32 v2, v0, v2
	v_mul_lo_u32 v0, v10, s11
	s_delay_alu instid0(VALU_DEP_2) | instskip(NEXT) | instid1(VALU_DEP_1)
	v_mul_f32_e32 v4, v3, v2
	v_fma_f32 v5, -v1, v4, v3
	s_delay_alu instid0(VALU_DEP_1) | instskip(NEXT) | instid1(VALU_DEP_1)
	v_fmac_f32_e32 v4, v5, v2
	v_fma_f32 v3, -v1, v4, v3
	v_ashrrev_i32_e32 v1, 31, v0
	s_delay_alu instid0(VALU_DEP_2) | instskip(NEXT) | instid1(VALU_DEP_2)
	v_div_fmas_f32 v2, v3, v2, v4
	v_lshlrev_b64 v[0:1], 2, v[0:1]
	s_delay_alu instid0(VALU_DEP_2) | instskip(NEXT) | instid1(VALU_DEP_2)
	v_div_fixup_f32 v2, v2, v13, 1.0
	v_add_co_u32 v0, vcc_lo, s12, v0
	s_delay_alu instid0(VALU_DEP_3)
	v_add_co_ci_u32_e32 v1, vcc_lo, s13, v1, vcc_lo
.LBB178_21:                             ; =>This Inner Loop Header: Depth=1
	global_load_b32 v3, v[0:1], off
	s_add_i32 s8, s8, -1
	s_delay_alu instid0(SALU_CYCLE_1)
	s_cmp_lg_u32 s8, 0
	s_waitcnt vmcnt(0)
	v_mul_f32_e32 v3, v2, v3
	global_store_b32 v[0:1], v3, off
	v_add_co_u32 v0, vcc_lo, v0, 4
	v_add_co_ci_u32_e32 v1, vcc_lo, 0, v1, vcc_lo
	s_cbranch_scc1 .LBB178_21
.LBB178_22:
	s_nop 0
	s_sendmsg sendmsg(MSG_DEALLOC_VGPRS)
	s_endpgm
	.section	.rodata,"a",@progbits
	.p2align	6, 0x0
	.amdhsa_kernel _ZN4vllm3moe17topkGatingSoftmaxIDF16_Li16ELi128ELi8ELi32ELb1ELi1ELNS0_23SharedExpertScoringFuncE1EEEvPKT_PKbPfiPiS9_iiiiii
		.amdhsa_group_segment_fixed_size 0
		.amdhsa_private_segment_fixed_size 0
		.amdhsa_kernarg_size 72
		.amdhsa_user_sgpr_count 15
		.amdhsa_user_sgpr_dispatch_ptr 0
		.amdhsa_user_sgpr_queue_ptr 0
		.amdhsa_user_sgpr_kernarg_segment_ptr 1
		.amdhsa_user_sgpr_dispatch_id 0
		.amdhsa_user_sgpr_private_segment_size 0
		.amdhsa_wavefront_size32 1
		.amdhsa_uses_dynamic_stack 0
		.amdhsa_enable_private_segment 0
		.amdhsa_system_sgpr_workgroup_id_x 1
		.amdhsa_system_sgpr_workgroup_id_y 0
		.amdhsa_system_sgpr_workgroup_id_z 0
		.amdhsa_system_sgpr_workgroup_info 0
		.amdhsa_system_vgpr_workitem_id 1
		.amdhsa_next_free_vgpr 53
		.amdhsa_next_free_sgpr 19
		.amdhsa_reserve_vcc 1
		.amdhsa_float_round_mode_32 0
		.amdhsa_float_round_mode_16_64 0
		.amdhsa_float_denorm_mode_32 3
		.amdhsa_float_denorm_mode_16_64 3
		.amdhsa_dx10_clamp 1
		.amdhsa_ieee_mode 1
		.amdhsa_fp16_overflow 0
		.amdhsa_workgroup_processor_mode 1
		.amdhsa_memory_ordered 1
		.amdhsa_forward_progress 0
		.amdhsa_shared_vgpr_count 0
		.amdhsa_exception_fp_ieee_invalid_op 0
		.amdhsa_exception_fp_denorm_src 0
		.amdhsa_exception_fp_ieee_div_zero 0
		.amdhsa_exception_fp_ieee_overflow 0
		.amdhsa_exception_fp_ieee_underflow 0
		.amdhsa_exception_fp_ieee_inexact 0
		.amdhsa_exception_int_div_zero 0
	.end_amdhsa_kernel
	.section	.text._ZN4vllm3moe17topkGatingSoftmaxIDF16_Li16ELi128ELi8ELi32ELb1ELi1ELNS0_23SharedExpertScoringFuncE1EEEvPKT_PKbPfiPiS9_iiiiii,"axG",@progbits,_ZN4vllm3moe17topkGatingSoftmaxIDF16_Li16ELi128ELi8ELi32ELb1ELi1ELNS0_23SharedExpertScoringFuncE1EEEvPKT_PKbPfiPiS9_iiiiii,comdat
.Lfunc_end178:
	.size	_ZN4vllm3moe17topkGatingSoftmaxIDF16_Li16ELi128ELi8ELi32ELb1ELi1ELNS0_23SharedExpertScoringFuncE1EEEvPKT_PKbPfiPiS9_iiiiii, .Lfunc_end178-_ZN4vllm3moe17topkGatingSoftmaxIDF16_Li16ELi128ELi8ELi32ELb1ELi1ELNS0_23SharedExpertScoringFuncE1EEEvPKT_PKbPfiPiS9_iiiiii
                                        ; -- End function
	.section	.AMDGPU.csdata,"",@progbits
; Kernel info:
; codeLenInByte = 3100
; NumSgprs: 21
; NumVgprs: 53
; ScratchSize: 0
; MemoryBound: 0
; FloatMode: 240
; IeeeMode: 1
; LDSByteSize: 0 bytes/workgroup (compile time only)
; SGPRBlocks: 2
; VGPRBlocks: 6
; NumSGPRsForWavesPerEU: 21
; NumVGPRsForWavesPerEU: 53
; Occupancy: 16
; WaveLimiterHint : 0
; COMPUTE_PGM_RSRC2:SCRATCH_EN: 0
; COMPUTE_PGM_RSRC2:USER_SGPR: 15
; COMPUTE_PGM_RSRC2:TRAP_HANDLER: 0
; COMPUTE_PGM_RSRC2:TGID_X_EN: 1
; COMPUTE_PGM_RSRC2:TGID_Y_EN: 0
; COMPUTE_PGM_RSRC2:TGID_Z_EN: 0
; COMPUTE_PGM_RSRC2:TIDIG_COMP_CNT: 1
	.section	.text._ZN4vllm3moe17topkGatingSoftmaxIDF16_Li16ELi128ELi8ELi32ELb0ELi1ELNS0_23SharedExpertScoringFuncE1EEEvPKT_PKbPfiPiS9_iiiiii,"axG",@progbits,_ZN4vllm3moe17topkGatingSoftmaxIDF16_Li16ELi128ELi8ELi32ELb0ELi1ELNS0_23SharedExpertScoringFuncE1EEEvPKT_PKbPfiPiS9_iiiiii,comdat
	.protected	_ZN4vllm3moe17topkGatingSoftmaxIDF16_Li16ELi128ELi8ELi32ELb0ELi1ELNS0_23SharedExpertScoringFuncE1EEEvPKT_PKbPfiPiS9_iiiiii ; -- Begin function _ZN4vllm3moe17topkGatingSoftmaxIDF16_Li16ELi128ELi8ELi32ELb0ELi1ELNS0_23SharedExpertScoringFuncE1EEEvPKT_PKbPfiPiS9_iiiiii
	.globl	_ZN4vllm3moe17topkGatingSoftmaxIDF16_Li16ELi128ELi8ELi32ELb0ELi1ELNS0_23SharedExpertScoringFuncE1EEEvPKT_PKbPfiPiS9_iiiiii
	.p2align	8
	.type	_ZN4vllm3moe17topkGatingSoftmaxIDF16_Li16ELi128ELi8ELi32ELb0ELi1ELNS0_23SharedExpertScoringFuncE1EEEvPKT_PKbPfiPiS9_iiiiii,@function
_ZN4vllm3moe17topkGatingSoftmaxIDF16_Li16ELi128ELi8ELi32ELb0ELi1ELNS0_23SharedExpertScoringFuncE1EEEvPKT_PKbPfiPiS9_iiiiii: ; @_ZN4vllm3moe17topkGatingSoftmaxIDF16_Li16ELi128ELi8ELi32ELb0ELi1ELNS0_23SharedExpertScoringFuncE1EEEvPKT_PKbPfiPiS9_iiiiii
; %bb.0:
	s_load_b32 s16, s[0:1], 0x18
	v_bfe_u32 v1, v0, 10, 10
	v_and_b32_e32 v0, 0x3ff, v0
	s_lshl_b32 s18, s15, 5
	s_mov_b32 s2, exec_lo
	s_delay_alu instid0(VALU_DEP_2) | instskip(NEXT) | instid1(VALU_DEP_2)
	v_lshlrev_b32_e32 v43, 2, v1
	v_lshrrev_b32_e32 v44, 3, v0
	s_delay_alu instid0(VALU_DEP_1) | instskip(SKIP_1) | instid1(VALU_DEP_1)
	v_add3_u32 v10, s18, v43, v44
	s_waitcnt lgkmcnt(0)
	v_cmpx_gt_i32_e64 s16, v10
	s_cbranch_execz .LBB179_23
; %bb.1:
	s_clause 0x1
	s_load_b128 s[4:7], s[0:1], 0x0
	s_load_b64 s[12:13], s[0:1], 0x10
	s_waitcnt lgkmcnt(0)
	s_cmp_eq_u64 s[6:7], 0
	s_cbranch_scc1 .LBB179_3
; %bb.2:
	v_ashrrev_i32_e32 v2, 31, v10
	v_add_co_u32 v1, vcc_lo, s6, v10
	s_delay_alu instid0(VALU_DEP_2) | instskip(SKIP_3) | instid1(VALU_DEP_1)
	v_add_co_ci_u32_e32 v2, vcc_lo, s7, v2, vcc_lo
	global_load_u8 v1, v[1:2], off
	s_waitcnt vmcnt(0)
	v_and_b32_e32 v1, 1, v1
	v_cmp_eq_u32_e32 vcc_lo, 1, v1
	s_xor_b32 s2, vcc_lo, -1
	s_delay_alu instid0(SALU_CYCLE_1)
	s_or_not1_b32 s17, s2, exec_lo
	s_branch .LBB179_4
.LBB179_3:
	s_mov_b32 s17, -1
.LBB179_4:
	s_clause 0x1
	s_load_b64 s[14:15], s[0:1], 0x40
	s_load_b128 s[8:11], s[0:1], 0x30
	v_and_b32_e32 v21, 7, v0
	s_delay_alu instid0(VALU_DEP_1) | instskip(SKIP_3) | instid1(VALU_DEP_1)
	v_dual_mov_b32 v11, 0 :: v_dual_lshlrev_b32 v22, 4, v21
	v_cmp_eq_u32_e64 s2, 0, v21
	s_waitcnt lgkmcnt(0)
	v_mul_lo_u32 v1, v10, s15
	v_ashrrev_i32_e32 v2, 31, v1
	s_delay_alu instid0(VALU_DEP_1) | instskip(SKIP_1) | instid1(VALU_DEP_2)
	v_lshlrev_b64 v[0:1], 1, v[1:2]
	v_lshlrev_b32_e32 v2, 5, v21
	v_add_co_u32 v8, vcc_lo, s4, v0
	s_delay_alu instid0(VALU_DEP_3) | instskip(NEXT) | instid1(VALU_DEP_2)
	v_add_co_ci_u32_e32 v9, vcc_lo, s5, v1, vcc_lo
	v_add_co_u32 v4, vcc_lo, v8, v2
	s_delay_alu instid0(VALU_DEP_2)
	v_add_co_ci_u32_e32 v5, vcc_lo, 0, v9, vcc_lo
	s_clause 0x1
	global_load_b128 v[0:3], v[4:5], off offset:16
	global_load_b128 v[4:7], v[4:5], off
	s_and_saveexec_b32 s3, s2
	s_cbranch_execz .LBB179_6
; %bb.5:
	global_load_u16 v8, v[8:9], off offset:256
	s_mov_b32 s4, 0x3fb8aa3b
	s_waitcnt vmcnt(0)
	v_cvt_f32_f16_e64 v9, -v8
	s_delay_alu instid0(VALU_DEP_1) | instskip(SKIP_1) | instid1(VALU_DEP_2)
	v_mul_f32_e32 v12, 0x3fb8aa3b, v9
	v_cmp_ngt_f32_e32 vcc_lo, 0xc2ce8ed0, v9
	v_rndne_f32_e32 v13, v12
	v_fma_mix_f32 v14, -v8, s4, -v12 op_sel_hi:[1,0,0]
	s_mov_b32 s4, 0x32a5705f
	s_delay_alu instid0(VALU_DEP_2) | instskip(NEXT) | instid1(VALU_DEP_2)
	v_sub_f32_e32 v12, v12, v13
	v_fma_mix_f32 v8, -v8, s4, v14 op_sel_hi:[1,0,0]
	s_delay_alu instid0(VALU_DEP_1) | instskip(SKIP_1) | instid1(VALU_DEP_2)
	v_add_f32_e32 v8, v12, v8
	v_cvt_i32_f32_e32 v12, v13
	v_exp_f32_e32 v8, v8
	s_waitcnt_depctr 0xfff
	v_ldexp_f32 v8, v8, v12
	s_delay_alu instid0(VALU_DEP_1) | instskip(SKIP_1) | instid1(VALU_DEP_2)
	v_cndmask_b32_e32 v8, 0, v8, vcc_lo
	v_cmp_nlt_f32_e32 vcc_lo, 0x42b17218, v9
	v_cndmask_b32_e32 v8, 0x7f800000, v8, vcc_lo
	s_delay_alu instid0(VALU_DEP_1) | instskip(NEXT) | instid1(VALU_DEP_1)
	v_add_f32_e32 v12, 1.0, v8
	v_div_scale_f32 v13, null, v12, v12, 1.0
	v_div_scale_f32 v15, vcc_lo, 1.0, v12, 1.0
	s_delay_alu instid0(VALU_DEP_2) | instskip(SKIP_2) | instid1(VALU_DEP_1)
	v_rcp_f32_e32 v14, v13
	s_waitcnt_depctr 0xfff
	v_fma_f32 v8, -v13, v14, 1.0
	v_fmac_f32_e32 v14, v8, v14
	v_mad_u64_u32 v[8:9], null, v10, s11, s[8:9]
	s_delay_alu instid0(VALU_DEP_2) | instskip(NEXT) | instid1(VALU_DEP_2)
	v_mul_f32_e32 v16, v15, v14
	v_ashrrev_i32_e32 v9, 31, v8
	s_delay_alu instid0(VALU_DEP_2) | instskip(NEXT) | instid1(VALU_DEP_2)
	v_fma_f32 v17, -v13, v16, v15
	v_lshlrev_b64 v[8:9], 2, v[8:9]
	s_delay_alu instid0(VALU_DEP_2) | instskip(NEXT) | instid1(VALU_DEP_1)
	v_fmac_f32_e32 v16, v17, v14
	v_fma_f32 v13, -v13, v16, v15
	s_delay_alu instid0(VALU_DEP_1) | instskip(NEXT) | instid1(VALU_DEP_4)
	v_div_fmas_f32 v13, v13, v14, v16
	v_add_co_u32 v8, vcc_lo, s12, v8
	v_add_co_ci_u32_e32 v9, vcc_lo, s13, v9, vcc_lo
	s_delay_alu instid0(VALU_DEP_3)
	v_div_fixup_f32 v12, v13, v12, 1.0
	global_store_b32 v[8:9], v12, off
.LBB179_6:
	s_or_b32 exec_lo, exec_lo, s3
	s_waitcnt vmcnt(0)
	v_lshrrev_b32_e32 v8, 16, v4
	v_cvt_f32_f16_e32 v24, v4
	v_cvt_f32_f16_e32 v26, v5
	v_lshrrev_b32_e32 v5, 16, v5
	v_or_b32_e32 v28, 1, v22
	v_cvt_f32_f16_e32 v27, v8
	v_cmp_lt_f16_e32 vcc_lo, v4, v8
	v_or_b32_e32 v29, 2, v22
	v_cvt_f32_f16_e32 v25, v5
	v_cvt_f32_f16_e32 v23, v6
	v_or_b32_e32 v30, 3, v22
	v_cndmask_b32_e32 v8, v24, v27, vcc_lo
	v_cndmask_b32_e32 v4, v22, v28, vcc_lo
	v_lshrrev_b32_e32 v6, 16, v6
	v_or_b32_e32 v31, 4, v22
	v_or_b32_e32 v32, 5, v22
	v_cmp_lt_f32_e32 vcc_lo, v8, v26
	v_cvt_f32_f16_e32 v19, v7
	v_cvt_f32_f16_e32 v20, v6
	v_lshrrev_b32_e32 v6, 16, v7
	v_or_b32_e32 v33, 6, v22
	v_cndmask_b32_e32 v5, v8, v26, vcc_lo
	v_cndmask_b32_e32 v4, v4, v29, vcc_lo
	v_cvt_f32_f16_e32 v15, v1
	v_cvt_f32_f16_e32 v18, v6
	v_lshrrev_b32_e32 v1, 16, v1
	v_cmp_lt_f32_e32 vcc_lo, v5, v25
	v_or_b32_e32 v34, 7, v22
	v_cvt_f32_f16_e32 v17, v0
	v_lshrrev_b32_e32 v0, 16, v0
	v_cvt_f32_f16_e32 v14, v1
	v_dual_cndmask_b32 v5, v5, v25 :: v_dual_cndmask_b32 v4, v4, v30
	v_or_b32_e32 v35, 8, v22
	v_cvt_f32_f16_e32 v13, v2
	v_lshrrev_b32_e32 v2, 16, v2
	s_delay_alu instid0(VALU_DEP_4)
	v_cmp_lt_f32_e32 vcc_lo, v5, v23
	v_cvt_f32_f16_e32 v16, v0
	v_or_b32_e32 v36, 9, v22
	v_or_b32_e32 v37, 10, v22
	v_cvt_f32_f16_e32 v9, v2
	v_cndmask_b32_e32 v5, v5, v23, vcc_lo
	v_cndmask_b32_e32 v4, v4, v31, vcc_lo
	v_lshrrev_b32_e32 v2, 16, v3
	v_cvt_f32_f16_e32 v8, v3
	v_or_b32_e32 v38, 11, v22
	v_cmp_lt_f32_e32 vcc_lo, v5, v20
	v_or_b32_e32 v39, 12, v22
	v_cvt_f32_f16_e32 v7, v2
	v_or_b32_e32 v40, 13, v22
	v_or_b32_e32 v41, 14, v22
	v_cndmask_b32_e32 v5, v5, v20, vcc_lo
	v_cndmask_b32_e32 v4, v4, v32, vcc_lo
	v_or_b32_e32 v42, 15, v22
	s_delay_alu instid0(VALU_DEP_3) | instskip(NEXT) | instid1(VALU_DEP_3)
	v_cmp_lt_f32_e32 vcc_lo, v5, v19
	v_dual_cndmask_b32 v5, v5, v19 :: v_dual_cndmask_b32 v4, v4, v33
	s_delay_alu instid0(VALU_DEP_1) | instskip(SKIP_1) | instid1(VALU_DEP_3)
	v_cmp_lt_f32_e32 vcc_lo, v5, v18
	v_cndmask_b32_e32 v5, v5, v18, vcc_lo
	v_cndmask_b32_e32 v4, v4, v34, vcc_lo
	s_delay_alu instid0(VALU_DEP_2) | instskip(NEXT) | instid1(VALU_DEP_2)
	v_cmp_lt_f32_e32 vcc_lo, v5, v17
	v_cndmask_b32_e32 v0, v4, v35, vcc_lo
	v_cndmask_b32_e32 v4, v5, v17, vcc_lo
	s_delay_alu instid0(VALU_DEP_1) | instskip(SKIP_1) | instid1(VALU_DEP_4)
	v_cmp_lt_f32_e32 vcc_lo, v4, v16
	v_cndmask_b32_e32 v4, v4, v16, vcc_lo
	v_cndmask_b32_e32 v0, v0, v36, vcc_lo
	s_delay_alu instid0(VALU_DEP_2) | instskip(SKIP_1) | instid1(VALU_DEP_3)
	v_cmp_lt_f32_e32 vcc_lo, v4, v15
	v_cndmask_b32_e32 v1, v4, v15, vcc_lo
	v_cndmask_b32_e32 v0, v0, v37, vcc_lo
	s_delay_alu instid0(VALU_DEP_2) | instskip(SKIP_1) | instid1(VALU_DEP_3)
	v_cmp_lt_f32_e32 vcc_lo, v1, v14
	v_cndmask_b32_e32 v1, v1, v14, vcc_lo
	v_cndmask_b32_e32 v0, v0, v38, vcc_lo
	s_delay_alu instid0(VALU_DEP_2) | instskip(NEXT) | instid1(VALU_DEP_2)
	v_cmp_lt_f32_e32 vcc_lo, v1, v13
	v_dual_cndmask_b32 v1, v1, v13 :: v_dual_cndmask_b32 v0, v0, v39
	s_delay_alu instid0(VALU_DEP_1) | instskip(NEXT) | instid1(VALU_DEP_2)
	v_cmp_lt_f32_e32 vcc_lo, v1, v9
	v_dual_cndmask_b32 v1, v1, v9 :: v_dual_cndmask_b32 v0, v0, v40
	s_delay_alu instid0(VALU_DEP_1) | instskip(NEXT) | instid1(VALU_DEP_2)
	v_cmp_lt_f32_e32 vcc_lo, v1, v8
	v_dual_cndmask_b32 v1, v1, v8 :: v_dual_cndmask_b32 v0, v0, v41
	s_delay_alu instid0(VALU_DEP_1) | instskip(NEXT) | instid1(VALU_DEP_2)
	v_cmp_lt_f32_e32 vcc_lo, v1, v7
	v_dual_cndmask_b32 v0, v0, v42 :: v_dual_cndmask_b32 v1, v1, v7
	s_delay_alu instid0(VALU_DEP_1) | instskip(NEXT) | instid1(VALU_DEP_2)
	v_mov_b32_dpp v3, v0 quad_perm:[1,0,3,2] row_mask:0xf bank_mask:0xf
	v_mov_b32_dpp v2, v1 quad_perm:[1,0,3,2] row_mask:0xf bank_mask:0xf
	s_delay_alu instid0(VALU_DEP_2) | instskip(NEXT) | instid1(VALU_DEP_2)
	v_cmp_lt_i32_e64 s3, v3, v0
	v_cmp_eq_f32_e32 vcc_lo, v1, v2
	v_cmp_lt_f32_e64 s4, v1, v2
	s_delay_alu instid0(VALU_DEP_3)
	s_and_b32 s3, vcc_lo, s3
	s_delay_alu instid0(VALU_DEP_1) | instid1(SALU_CYCLE_1)
	s_or_b32 vcc_lo, s4, s3
	v_dual_cndmask_b32 v1, v1, v2 :: v_dual_cndmask_b32 v0, v0, v3
	s_delay_alu instid0(VALU_DEP_1) | instskip(NEXT) | instid1(VALU_DEP_2)
	v_mov_b32_dpp v2, v1 quad_perm:[2,3,0,1] row_mask:0xf bank_mask:0xf
	v_mov_b32_dpp v3, v0 quad_perm:[2,3,0,1] row_mask:0xf bank_mask:0xf
	s_delay_alu instid0(VALU_DEP_2) | instskip(NEXT) | instid1(VALU_DEP_2)
	v_cmp_eq_f32_e32 vcc_lo, v1, v2
	v_cmp_lt_i32_e64 s3, v3, v0
	v_cmp_lt_f32_e64 s4, v1, v2
	s_delay_alu instid0(VALU_DEP_2)
	s_and_b32 s3, vcc_lo, s3
	s_delay_alu instid0(VALU_DEP_1) | instid1(SALU_CYCLE_1)
	s_or_b32 vcc_lo, s4, s3
	v_dual_cndmask_b32 v1, v1, v2 :: v_dual_cndmask_b32 v0, v0, v3
	s_delay_alu instid0(VALU_DEP_1) | instskip(NEXT) | instid1(VALU_DEP_2)
	v_mov_b32_dpp v3, v1 row_half_mirror row_mask:0xf bank_mask:0xf
	v_mov_b32_dpp v2, v0 row_half_mirror row_mask:0xf bank_mask:0xf
	s_delay_alu instid0(VALU_DEP_2) | instskip(NEXT) | instid1(VALU_DEP_2)
	v_cmp_eq_f32_e32 vcc_lo, v1, v3
	v_cmp_lt_i32_e64 s3, v2, v0
	v_cmp_lt_f32_e64 s4, v1, v3
	s_delay_alu instid0(VALU_DEP_2)
	s_and_b32 s3, vcc_lo, s3
	s_delay_alu instid0(VALU_DEP_1) | instid1(SALU_CYCLE_1)
	s_or_b32 s3, s4, s3
	s_cmp_gt_i32 s8, 0
	v_cndmask_b32_e64 v12, v1, v3, s3
	s_cselect_b32 s15, -1, 0
	s_delay_alu instid0(SALU_CYCLE_1)
	s_and_b32 vcc_lo, exec_lo, s15
	s_cbranch_vccz .LBB179_18
; %bb.7:
	s_load_b128 s[4:7], s[0:1], 0x20
	v_mul_lo_u32 v1, v10, s11
	v_mul_lo_u32 v3, v10, s14
	;; [unrolled: 1-line block ×3, first 2 shown]
	v_cndmask_b32_e64 v0, v0, v2, s3
	v_mov_b32_e32 v11, 0
	s_and_saveexec_b32 s1, s2
	s_cbranch_execz .LBB179_9
; %bb.8:
	v_sub_f32_e32 v11, v12, v12
	v_cmp_le_i32_e32 vcc_lo, s9, v0
	v_cmp_gt_i32_e64 s0, s10, v0
	v_subrev_nc_u32_e32 v51, s9, v0
	v_ashrrev_i32_e32 v6, 31, v5
	v_mul_f32_e32 v2, 0x3fb8aa3b, v11
	s_delay_alu instid0(VALU_DEP_4) | instskip(NEXT) | instid1(SALU_CYCLE_1)
	s_and_b32 s0, vcc_lo, s0
	s_and_b32 vcc_lo, s17, s0
	s_delay_alu instid0(VALU_DEP_1) | instskip(SKIP_2) | instid1(VALU_DEP_3)
	v_rndne_f32_e32 v47, v2
	v_fma_f32 v4, 0x3fb8aa3b, v11, -v2
	v_lshlrev_b64 v[49:50], 2, v[5:6]
	v_sub_f32_e32 v2, v2, v47
	s_delay_alu instid0(VALU_DEP_3) | instskip(NEXT) | instid1(VALU_DEP_1)
	v_fmamk_f32 v4, v11, 0x32a5705f, v4
	v_add_f32_e32 v4, v2, v4
	v_ashrrev_i32_e32 v2, 31, v1
	s_delay_alu instid0(VALU_DEP_2) | instskip(NEXT) | instid1(VALU_DEP_1)
	v_exp_f32_e32 v52, v4
	v_lshlrev_b64 v[45:46], 2, v[1:2]
	v_ashrrev_i32_e32 v4, 31, v3
	v_cvt_i32_f32_e32 v2, v47
	s_delay_alu instid0(VALU_DEP_2) | instskip(SKIP_3) | instid1(TRANS32_DEP_1)
	v_lshlrev_b64 v[47:48], 2, v[3:4]
	v_cndmask_b32_e32 v4, 0x80, v51, vcc_lo
	v_add_co_u32 v45, vcc_lo, s12, v45
	v_add_co_ci_u32_e32 v46, vcc_lo, s13, v46, vcc_lo
	v_ldexp_f32 v2, v52, v2
	v_cmp_ngt_f32_e32 vcc_lo, 0xc2ce8ed0, v11
	s_delay_alu instid0(VALU_DEP_2)
	v_cndmask_b32_e32 v2, 0, v2, vcc_lo
	s_waitcnt lgkmcnt(0)
	v_add_co_u32 v47, vcc_lo, s4, v47
	v_add_co_ci_u32_e32 v48, vcc_lo, s5, v48, vcc_lo
	v_cmp_nlt_f32_e32 vcc_lo, 0x42b17218, v11
	v_cndmask_b32_e32 v11, 0x7f800000, v2, vcc_lo
	v_add_co_u32 v49, vcc_lo, s6, v49
	v_add_co_ci_u32_e32 v50, vcc_lo, s7, v50, vcc_lo
	global_store_b32 v[47:48], v4, off
	global_store_b32 v[45:46], v11, off
	;; [unrolled: 1-line block ×3, first 2 shown]
.LBB179_9:
	s_or_b32 exec_lo, exec_lo, s1
	v_ashrrev_i32_e32 v4, 31, v0
	s_mov_b32 s0, exec_lo
	s_delay_alu instid0(VALU_DEP_1) | instskip(NEXT) | instid1(VALU_DEP_1)
	v_lshrrev_b32_e32 v2, 28, v4
	v_add_nc_u32_e32 v2, v0, v2
	s_delay_alu instid0(VALU_DEP_1) | instskip(NEXT) | instid1(VALU_DEP_1)
	v_ashrrev_i32_e32 v2, 4, v2
	v_lshrrev_b32_e32 v6, 29, v2
	s_delay_alu instid0(VALU_DEP_1) | instskip(NEXT) | instid1(VALU_DEP_1)
	v_add_nc_u32_e32 v6, v2, v6
	v_and_b32_e32 v6, -8, v6
	s_delay_alu instid0(VALU_DEP_1) | instskip(NEXT) | instid1(VALU_DEP_1)
	v_sub_nc_u32_e32 v6, v2, v6
	v_cmpx_eq_u32_e64 v21, v6
	s_cbranch_execz .LBB179_11
; %bb.10:
	v_lshrrev_b32_e32 v4, 25, v4
	v_lshlrev_b32_e32 v2, 4, v2
	s_delay_alu instid0(VALU_DEP_2) | instskip(NEXT) | instid1(VALU_DEP_2)
	v_add_nc_u32_e32 v4, v0, v4
	v_sub_nc_u32_e32 v0, v0, v2
	s_delay_alu instid0(VALU_DEP_2) | instskip(NEXT) | instid1(VALU_DEP_1)
	v_ashrrev_i32_e32 v2, 7, v4
	v_lshl_add_u32 v0, v2, 4, v0
	s_delay_alu instid0(VALU_DEP_1)
	v_cmp_ne_u32_e32 vcc_lo, 15, v0
	v_cndmask_b32_e32 v7, 0xff800000, v7, vcc_lo
	v_cmp_ne_u32_e32 vcc_lo, 14, v0
	v_cndmask_b32_e32 v8, 0xff800000, v8, vcc_lo
	;; [unrolled: 2-line block ×16, first 2 shown]
.LBB179_11:
	s_or_b32 exec_lo, exec_lo, s0
	s_cmp_eq_u32 s8, 1
	s_cbranch_scc1 .LBB179_18
; %bb.12:
	s_add_i32 s18, s18, s16
	v_add_nc_u32_e32 v0, 1, v5
	v_add3_u32 v6, s18, v44, v43
	v_add_nc_u32_e32 v2, 1, v3
	v_add_nc_u32_e32 v4, 1, v1
	s_add_i32 s3, s8, -1
	s_branch .LBB179_14
.LBB179_13:                             ;   in Loop: Header=BB179_14 Depth=1
	s_or_b32 exec_lo, exec_lo, s0
	v_add_nc_u32_e32 v6, s16, v6
	v_add_nc_u32_e32 v0, 1, v0
	;; [unrolled: 1-line block ×4, first 2 shown]
	s_add_i32 s3, s3, -1
	s_delay_alu instid0(SALU_CYCLE_1)
	s_cmp_eq_u32 s3, 0
	s_cbranch_scc1 .LBB179_18
.LBB179_14:                             ; =>This Inner Loop Header: Depth=1
	v_cmp_gt_f32_e32 vcc_lo, v27, v24
	v_cndmask_b32_e32 v3, v24, v27, vcc_lo
	v_cndmask_b32_e32 v1, v22, v28, vcc_lo
	s_delay_alu instid0(VALU_DEP_2) | instskip(SKIP_1) | instid1(VALU_DEP_3)
	v_cmp_gt_f32_e32 vcc_lo, v26, v3
	v_cndmask_b32_e32 v3, v3, v26, vcc_lo
	v_cndmask_b32_e32 v1, v1, v29, vcc_lo
	s_delay_alu instid0(VALU_DEP_2) | instskip(SKIP_1) | instid1(VALU_DEP_3)
	;; [unrolled: 4-line block ×13, first 2 shown]
	v_cmp_gt_f32_e32 vcc_lo, v8, v3
	v_cndmask_b32_e32 v3, v3, v8, vcc_lo
	v_cndmask_b32_e32 v1, v1, v41, vcc_lo
	s_delay_alu instid0(VALU_DEP_2) | instskip(NEXT) | instid1(VALU_DEP_2)
	v_cmp_gt_f32_e32 vcc_lo, v7, v3
	v_cndmask_b32_e32 v1, v1, v42, vcc_lo
	v_cndmask_b32_e32 v3, v3, v7, vcc_lo
	s_delay_alu instid0(VALU_DEP_2) | instskip(NEXT) | instid1(VALU_DEP_2)
	v_mov_b32_dpp v5, v1 quad_perm:[1,0,3,2] row_mask:0xf bank_mask:0xf
	v_mov_b32_dpp v43, v3 quad_perm:[1,0,3,2] row_mask:0xf bank_mask:0xf
	s_delay_alu instid0(VALU_DEP_2) | instskip(NEXT) | instid1(VALU_DEP_2)
	v_cmp_lt_i32_e32 vcc_lo, v5, v1
	v_cmp_eq_f32_e64 s0, v3, v43
	v_cmp_lt_f32_e64 s1, v3, v43
	s_delay_alu instid0(VALU_DEP_2)
	s_and_b32 s0, s0, vcc_lo
	s_delay_alu instid0(VALU_DEP_1) | instid1(SALU_CYCLE_1)
	s_or_b32 vcc_lo, s1, s0
	v_cndmask_b32_e32 v3, v3, v43, vcc_lo
	v_cndmask_b32_e32 v5, v1, v5, vcc_lo
	s_delay_alu instid0(VALU_DEP_2) | instskip(NEXT) | instid1(VALU_DEP_2)
	v_mov_b32_dpp v1, v3 quad_perm:[2,3,0,1] row_mask:0xf bank_mask:0xf
	v_mov_b32_dpp v43, v5 quad_perm:[2,3,0,1] row_mask:0xf bank_mask:0xf
	s_delay_alu instid0(VALU_DEP_2) | instskip(NEXT) | instid1(VALU_DEP_2)
	v_cmp_eq_f32_e32 vcc_lo, v3, v1
	v_cmp_lt_i32_e64 s0, v43, v5
	v_cmp_lt_f32_e64 s1, v3, v1
	s_delay_alu instid0(VALU_DEP_2)
	s_and_b32 s0, vcc_lo, s0
	s_delay_alu instid0(VALU_DEP_1) | instid1(SALU_CYCLE_1)
	s_or_b32 vcc_lo, s1, s0
	v_cndmask_b32_e32 v1, v3, v1, vcc_lo
	v_cndmask_b32_e32 v5, v5, v43, vcc_lo
	s_delay_alu instid0(VALU_DEP_2) | instskip(NEXT) | instid1(VALU_DEP_2)
	v_mov_b32_dpp v3, v1 row_half_mirror row_mask:0xf bank_mask:0xf
	v_mov_b32_dpp v43, v5 row_half_mirror row_mask:0xf bank_mask:0xf
	s_delay_alu instid0(VALU_DEP_2) | instskip(NEXT) | instid1(VALU_DEP_2)
	v_cmp_eq_f32_e32 vcc_lo, v1, v3
	v_cmp_lt_i32_e64 s0, v43, v5
	v_cmp_lt_f32_e64 s1, v1, v3
	s_delay_alu instid0(VALU_DEP_2)
	s_and_b32 s0, vcc_lo, s0
	s_delay_alu instid0(VALU_DEP_1) | instid1(SALU_CYCLE_1)
	s_or_b32 vcc_lo, s1, s0
	v_cndmask_b32_e32 v43, v5, v43, vcc_lo
	s_and_saveexec_b32 s1, s2
	s_cbranch_execz .LBB179_16
; %bb.15:                               ;   in Loop: Header=BB179_14 Depth=1
	v_cndmask_b32_e32 v1, v1, v3, vcc_lo
	s_delay_alu instid0(VALU_DEP_2) | instskip(SKIP_3) | instid1(VALU_DEP_3)
	v_cmp_le_i32_e32 vcc_lo, s9, v43
	v_cmp_gt_i32_e64 s0, s10, v43
	v_subrev_nc_u32_e32 v51, s9, v43
	v_ashrrev_i32_e32 v5, 31, v4
	s_and_b32 s0, vcc_lo, s0
	s_delay_alu instid0(SALU_CYCLE_1) | instskip(SKIP_1) | instid1(VALU_DEP_1)
	s_and_b32 vcc_lo, s17, s0
	v_sub_f32_e32 v50, v1, v12
	v_mul_f32_e32 v1, 0x3fb8aa3b, v50
	s_delay_alu instid0(VALU_DEP_1) | instskip(SKIP_1) | instid1(VALU_DEP_2)
	v_fma_f32 v3, 0x3fb8aa3b, v50, -v1
	v_rndne_f32_e32 v44, v1
	v_fmac_f32_e32 v3, 0x32a5705f, v50
	s_delay_alu instid0(VALU_DEP_2) | instskip(SKIP_2) | instid1(VALU_DEP_3)
	v_sub_f32_e32 v1, v1, v44
	v_cvt_i32_f32_e32 v49, v44
	v_lshlrev_b64 v[44:45], 2, v[4:5]
	v_add_f32_e32 v1, v1, v3
	v_ashrrev_i32_e32 v3, 31, v2
	s_delay_alu instid0(VALU_DEP_2) | instskip(SKIP_1) | instid1(VALU_DEP_2)
	v_exp_f32_e32 v48, v1
	v_ashrrev_i32_e32 v1, 31, v0
	v_lshlrev_b64 v[46:47], 2, v[2:3]
	s_waitcnt_depctr 0xfff
	v_ldexp_f32 v3, v48, v49
	v_lshlrev_b64 v[48:49], 2, v[0:1]
	v_cndmask_b32_e32 v1, 0x80, v51, vcc_lo
	v_cmp_ngt_f32_e32 vcc_lo, 0xc2ce8ed0, v50
	s_delay_alu instid0(VALU_DEP_4) | instskip(SKIP_3) | instid1(VALU_DEP_4)
	v_cndmask_b32_e32 v3, 0, v3, vcc_lo
	v_add_co_u32 v44, vcc_lo, s12, v44
	v_add_co_ci_u32_e32 v45, vcc_lo, s13, v45, vcc_lo
	v_cmp_nlt_f32_e32 vcc_lo, 0x42b17218, v50
	v_cndmask_b32_e32 v3, 0x7f800000, v3, vcc_lo
	s_waitcnt lgkmcnt(0)
	v_add_co_u32 v46, vcc_lo, s4, v46
	v_add_co_ci_u32_e32 v47, vcc_lo, s5, v47, vcc_lo
	v_add_co_u32 v48, vcc_lo, s6, v48
	v_add_f32_e32 v11, v11, v3
	v_add_co_ci_u32_e32 v49, vcc_lo, s7, v49, vcc_lo
	global_store_b32 v[44:45], v3, off
	global_store_b32 v[46:47], v1, off
	;; [unrolled: 1-line block ×3, first 2 shown]
.LBB179_16:                             ;   in Loop: Header=BB179_14 Depth=1
	s_or_b32 exec_lo, exec_lo, s1
	s_delay_alu instid0(VALU_DEP_1) | instskip(SKIP_1) | instid1(VALU_DEP_1)
	v_ashrrev_i32_e32 v3, 31, v43
	s_mov_b32 s0, exec_lo
	v_lshrrev_b32_e32 v1, 28, v3
	s_delay_alu instid0(VALU_DEP_1) | instskip(NEXT) | instid1(VALU_DEP_1)
	v_add_nc_u32_e32 v1, v43, v1
	v_ashrrev_i32_e32 v1, 4, v1
	s_delay_alu instid0(VALU_DEP_1) | instskip(NEXT) | instid1(VALU_DEP_1)
	v_lshrrev_b32_e32 v5, 29, v1
	v_add_nc_u32_e32 v5, v1, v5
	s_delay_alu instid0(VALU_DEP_1) | instskip(NEXT) | instid1(VALU_DEP_1)
	v_and_b32_e32 v5, -8, v5
	v_sub_nc_u32_e32 v5, v1, v5
	s_delay_alu instid0(VALU_DEP_1)
	v_cmpx_eq_u32_e64 v21, v5
	s_cbranch_execz .LBB179_13
; %bb.17:                               ;   in Loop: Header=BB179_14 Depth=1
	v_lshrrev_b32_e32 v3, 25, v3
	v_lshlrev_b32_e32 v1, 4, v1
	s_delay_alu instid0(VALU_DEP_2) | instskip(NEXT) | instid1(VALU_DEP_2)
	v_add_nc_u32_e32 v3, v43, v3
	v_sub_nc_u32_e32 v1, v43, v1
	s_delay_alu instid0(VALU_DEP_2) | instskip(NEXT) | instid1(VALU_DEP_1)
	v_ashrrev_i32_e32 v3, 7, v3
	v_lshl_add_u32 v1, v3, 4, v1
	s_delay_alu instid0(VALU_DEP_1)
	v_cmp_ne_u32_e32 vcc_lo, 15, v1
	v_cndmask_b32_e32 v7, 0xff800000, v7, vcc_lo
	v_cmp_ne_u32_e32 vcc_lo, 14, v1
	v_cndmask_b32_e32 v8, 0xff800000, v8, vcc_lo
	;; [unrolled: 2-line block ×16, first 2 shown]
	s_branch .LBB179_13
.LBB179_18:
	s_delay_alu instid0(VALU_DEP_1) | instskip(SKIP_3) | instid1(VALU_DEP_4)
	v_sub_f32_e32 v3, v26, v12
	v_sub_f32_e32 v0, v24, v12
	;; [unrolled: 1-line block ×4, first 2 shown]
	v_dual_sub_f32 v18, v18, v12 :: v_dual_mul_f32 v25, 0x3fb8aa3b, v3
	s_delay_alu instid0(VALU_DEP_4)
	v_mul_f32_e32 v2, 0x3fb8aa3b, v0
	v_cmp_ngt_f32_e32 vcc_lo, 0xc2ce8ed0, v0
	v_sub_f32_e32 v19, v19, v12
	v_sub_f32_e32 v14, v14, v12
	;; [unrolled: 1-line block ×3, first 2 shown]
	v_rndne_f32_e32 v22, v2
	v_sub_f32_e32 v1, v27, v12
	v_mul_f32_e32 v27, 0x3fb8aa3b, v6
	v_fma_f32 v21, 0x3fb8aa3b, v0, -v2
	s_delay_alu instid0(VALU_DEP_4) | instskip(NEXT) | instid1(VALU_DEP_4)
	v_sub_f32_e32 v2, v2, v22
	v_mul_f32_e32 v4, 0x3fb8aa3b, v1
	v_cvt_i32_f32_e32 v22, v22
	s_delay_alu instid0(VALU_DEP_2) | instskip(SKIP_1) | instid1(VALU_DEP_1)
	v_fma_f32 v23, 0x3fb8aa3b, v1, -v4
	v_rndne_f32_e32 v24, v4
	v_dual_fmac_f32 v23, 0x32a5705f, v1 :: v_dual_sub_f32 v4, v4, v24
	v_fmac_f32_e32 v21, 0x32a5705f, v0
	v_cvt_i32_f32_e32 v24, v24
	s_delay_alu instid0(VALU_DEP_3) | instskip(NEXT) | instid1(VALU_DEP_3)
	v_add_f32_e32 v4, v4, v23
	v_add_f32_e32 v2, v2, v21
	v_fma_f32 v21, 0x3fb8aa3b, v3, -v25
	v_rndne_f32_e32 v23, v25
	v_mul_f32_e32 v26, 0x3fb8aa3b, v5
	v_exp_f32_e32 v4, v4
	v_exp_f32_e32 v2, v2
	v_fmac_f32_e32 v21, 0x32a5705f, v3
	v_sub_f32_e32 v25, v25, v23
	v_fma_f32 v28, 0x3fb8aa3b, v5, -v26
	v_rndne_f32_e32 v29, v26
	v_cvt_i32_f32_e32 v23, v23
	s_delay_alu instid0(TRANS32_DEP_2) | instskip(NEXT) | instid1(TRANS32_DEP_1)
	v_ldexp_f32 v4, v4, v24
	v_ldexp_f32 v2, v2, v22
	s_delay_alu instid0(VALU_DEP_1) | instskip(SKIP_1) | instid1(VALU_DEP_2)
	v_dual_add_f32 v21, v25, v21 :: v_dual_cndmask_b32 v2, 0, v2
	v_cmp_ngt_f32_e32 vcc_lo, 0xc2ce8ed0, v1
	v_exp_f32_e32 v21, v21
	v_cndmask_b32_e32 v4, 0, v4, vcc_lo
	v_cmp_nlt_f32_e32 vcc_lo, 0x42b17218, v0
	v_cndmask_b32_e32 v0, 0x7f800000, v2, vcc_lo
	v_cmp_nlt_f32_e32 vcc_lo, 0x42b17218, v1
	v_sub_f32_e32 v22, v26, v29
	v_fma_f32 v2, 0x3fb8aa3b, v6, -v27
	v_cndmask_b32_e32 v1, 0x7f800000, v4, vcc_lo
	s_delay_alu instid0(TRANS32_DEP_1) | instskip(SKIP_3) | instid1(VALU_DEP_4)
	v_ldexp_f32 v4, v21, v23
	v_cmp_ngt_f32_e32 vcc_lo, 0xc2ce8ed0, v3
	v_fmac_f32_e32 v28, 0x32a5705f, v5
	v_rndne_f32_e32 v21, v27
	v_dual_add_f32 v0, v0, v1 :: v_dual_cndmask_b32 v1, 0, v4
	v_cmp_nlt_f32_e32 vcc_lo, 0x42b17218, v3
	s_delay_alu instid0(VALU_DEP_4) | instskip(SKIP_3) | instid1(VALU_DEP_4)
	v_add_f32_e32 v22, v22, v28
	v_cvt_i32_f32_e32 v4, v29
	v_sub_f32_e32 v23, v27, v21
	v_cndmask_b32_e32 v1, 0x7f800000, v1, vcc_lo
	v_exp_f32_e32 v22, v22
	v_cmp_ngt_f32_e32 vcc_lo, 0xc2ce8ed0, v5
	s_delay_alu instid0(VALU_DEP_2) | instskip(SKIP_2) | instid1(VALU_DEP_1)
	v_add_f32_e32 v0, v0, v1
	s_waitcnt_depctr 0xfff
	v_ldexp_f32 v3, v22, v4
	v_cndmask_b32_e32 v1, 0, v3, vcc_lo
	v_cmp_nlt_f32_e32 vcc_lo, 0x42b17218, v5
	v_sub_f32_e32 v20, v20, v12
	v_cvt_i32_f32_e32 v5, v21
	v_mul_f32_e32 v21, 0x3fb8aa3b, v19
	v_cndmask_b32_e32 v1, 0x7f800000, v1, vcc_lo
	v_cmp_ngt_f32_e32 vcc_lo, 0xc2ce8ed0, v6
	v_mul_f32_e32 v4, 0x3fb8aa3b, v20
	s_delay_alu instid0(VALU_DEP_3) | instskip(NEXT) | instid1(VALU_DEP_2)
	v_add_f32_e32 v0, v0, v1
	v_fma_f32 v3, 0x3fb8aa3b, v20, -v4
	s_delay_alu instid0(VALU_DEP_1) | instskip(NEXT) | instid1(VALU_DEP_1)
	v_dual_fmac_f32 v2, 0x32a5705f, v6 :: v_dual_fmac_f32 v3, 0x32a5705f, v20
	v_add_f32_e32 v2, v23, v2
	s_delay_alu instid0(VALU_DEP_1) | instskip(SKIP_2) | instid1(VALU_DEP_1)
	v_exp_f32_e32 v2, v2
	s_waitcnt_depctr 0xfff
	v_ldexp_f32 v1, v2, v5
	v_cndmask_b32_e32 v1, 0, v1, vcc_lo
	v_rndne_f32_e32 v22, v4
	v_cmp_nlt_f32_e32 vcc_lo, 0x42b17218, v6
	s_delay_alu instid0(VALU_DEP_2) | instskip(SKIP_2) | instid1(VALU_DEP_3)
	v_dual_sub_f32 v4, v4, v22 :: v_dual_cndmask_b32 v1, 0x7f800000, v1
	v_cvt_i32_f32_e32 v6, v22
	v_cmp_ngt_f32_e32 vcc_lo, 0xc2ce8ed0, v20
	v_add_f32_e32 v2, v4, v3
	v_fma_f32 v3, 0x3fb8aa3b, v19, -v21
	v_rndne_f32_e32 v4, v21
	s_delay_alu instid0(VALU_DEP_2) | instskip(NEXT) | instid1(VALU_DEP_2)
	v_fmac_f32_e32 v3, 0x32a5705f, v19
	v_sub_f32_e32 v5, v21, v4
	v_cvt_i32_f32_e32 v4, v4
	s_delay_alu instid0(VALU_DEP_2)
	v_add_f32_e32 v3, v5, v3
	v_mul_f32_e32 v5, 0x3fb8aa3b, v18
	v_exp_f32_e32 v2, v2
	v_add_f32_e32 v0, v0, v1
	s_waitcnt_depctr 0xfff
	v_ldexp_f32 v1, v2, v6
	v_exp_f32_e32 v2, v3
	v_fma_f32 v3, 0x3fb8aa3b, v18, -v5
	v_rndne_f32_e32 v6, v5
	s_delay_alu instid0(VALU_DEP_3) | instskip(SKIP_1) | instid1(VALU_DEP_4)
	v_cndmask_b32_e32 v1, 0, v1, vcc_lo
	v_cmp_nlt_f32_e32 vcc_lo, 0x42b17218, v20
	v_fmac_f32_e32 v3, 0x32a5705f, v18
	v_mul_f32_e32 v20, 0x3fb8aa3b, v14
	s_delay_alu instid0(TRANS32_DEP_1) | instskip(SKIP_4) | instid1(VALU_DEP_4)
	v_ldexp_f32 v2, v2, v4
	v_dual_sub_f32 v4, v17, v12 :: v_dual_cndmask_b32 v1, 0x7f800000, v1
	v_cmp_ngt_f32_e32 vcc_lo, 0xc2ce8ed0, v19
	v_sub_f32_e32 v5, v5, v6
	v_cvt_i32_f32_e32 v6, v6
	v_dual_add_f32 v0, v0, v1 :: v_dual_cndmask_b32 v1, 0, v2
	v_cmp_nlt_f32_e32 vcc_lo, 0x42b17218, v19
	s_delay_alu instid0(VALU_DEP_2) | instskip(SKIP_3) | instid1(VALU_DEP_4)
	v_cndmask_b32_e32 v1, 0x7f800000, v1, vcc_lo
	v_add_f32_e32 v3, v5, v3
	v_sub_f32_e32 v5, v16, v12
	v_cmp_ngt_f32_e32 vcc_lo, 0xc2ce8ed0, v18
	v_add_f32_e32 v0, v0, v1
	s_delay_alu instid0(VALU_DEP_4) | instskip(NEXT) | instid1(VALU_DEP_3)
	v_exp_f32_e32 v2, v3
	v_mul_f32_e32 v19, 0x3fb8aa3b, v5
	s_waitcnt_depctr 0xfff
	v_ldexp_f32 v1, v2, v6
	v_rndne_f32_e32 v6, v19
	v_mul_f32_e32 v3, 0x3fb8aa3b, v4
	s_delay_alu instid0(VALU_DEP_3) | instskip(SKIP_1) | instid1(VALU_DEP_3)
	v_cndmask_b32_e32 v1, 0, v1, vcc_lo
	v_cmp_nlt_f32_e32 vcc_lo, 0x42b17218, v18
	v_fma_f32 v16, 0x3fb8aa3b, v4, -v3
	v_rndne_f32_e32 v17, v3
	s_delay_alu instid0(VALU_DEP_4) | instskip(NEXT) | instid1(VALU_DEP_3)
	v_cndmask_b32_e32 v1, 0x7f800000, v1, vcc_lo
	v_fmac_f32_e32 v16, 0x32a5705f, v4
	s_delay_alu instid0(VALU_DEP_3) | instskip(SKIP_1) | instid1(VALU_DEP_4)
	v_sub_f32_e32 v2, v3, v17
	v_fma_f32 v3, 0x3fb8aa3b, v5, -v19
	v_dual_sub_f32 v15, v15, v12 :: v_dual_add_f32 v0, v0, v1
	v_cvt_i32_f32_e32 v17, v17
	s_delay_alu instid0(VALU_DEP_3) | instskip(SKIP_2) | instid1(VALU_DEP_3)
	v_dual_add_f32 v2, v2, v16 :: v_dual_fmac_f32 v3, 0x32a5705f, v5
	v_sub_f32_e32 v16, v19, v6
	v_cmp_ngt_f32_e32 vcc_lo, 0xc2ce8ed0, v4
	v_exp_f32_e32 v2, v2
	s_delay_alu instid0(VALU_DEP_2)
	v_add_f32_e32 v3, v16, v3
	s_waitcnt_depctr 0xfff
	v_ldexp_f32 v1, v2, v17
	v_rndne_f32_e32 v17, v20
	v_mul_f32_e32 v19, 0x3fb8aa3b, v15
	v_cvt_i32_f32_e32 v2, v6
	s_delay_alu instid0(VALU_DEP_4) | instskip(SKIP_1) | instid1(VALU_DEP_4)
	v_cndmask_b32_e32 v1, 0, v1, vcc_lo
	v_cmp_nlt_f32_e32 vcc_lo, 0x42b17218, v4
	v_fma_f32 v16, 0x3fb8aa3b, v15, -v19
	v_rndne_f32_e32 v18, v19
	s_delay_alu instid0(VALU_DEP_4) | instskip(NEXT) | instid1(VALU_DEP_2)
	v_cndmask_b32_e32 v1, 0x7f800000, v1, vcc_lo
	v_dual_fmac_f32 v16, 0x32a5705f, v15 :: v_dual_sub_f32 v19, v19, v18
	v_cvt_i32_f32_e32 v4, v18
	v_cmp_ngt_f32_e32 vcc_lo, 0xc2ce8ed0, v5
	s_delay_alu instid0(VALU_DEP_4) | instskip(NEXT) | instid1(VALU_DEP_4)
	v_add_f32_e32 v0, v0, v1
	v_add_f32_e32 v6, v19, v16
	v_fma_f32 v16, 0x3fb8aa3b, v14, -v20
	s_delay_alu instid0(VALU_DEP_1)
	v_fmac_f32_e32 v16, 0x32a5705f, v14
	v_exp_f32_e32 v3, v3
	s_waitcnt_depctr 0xfff
	v_ldexp_f32 v2, v3, v2
	v_exp_f32_e32 v3, v6
	v_sub_f32_e32 v6, v20, v17
	s_delay_alu instid0(VALU_DEP_2) | instskip(SKIP_1) | instid1(VALU_DEP_3)
	v_cndmask_b32_e32 v2, 0, v2, vcc_lo
	v_cmp_nlt_f32_e32 vcc_lo, 0x42b17218, v5
	v_add_f32_e32 v6, v6, v16
	s_waitcnt_depctr 0xfff
	v_ldexp_f32 v1, v3, v4
	v_sub_f32_e32 v4, v13, v12
	v_exp_f32_e32 v3, v6
	v_sub_f32_e32 v6, v9, v12
	v_mul_f32_e32 v13, 0x3fb8aa3b, v8
	s_delay_alu instid0(VALU_DEP_3) | instskip(SKIP_3) | instid1(VALU_DEP_3)
	v_mul_f32_e32 v5, 0x3fb8aa3b, v4
	v_cndmask_b32_e32 v2, 0x7f800000, v2, vcc_lo
	v_cmp_ngt_f32_e32 vcc_lo, 0xc2ce8ed0, v15
	v_mul_f32_e32 v9, 0x3fb8aa3b, v6
	v_dual_add_f32 v0, v0, v2 :: v_dual_cndmask_b32 v1, 0, v1
	v_cvt_i32_f32_e32 v2, v17
	v_cmp_nlt_f32_e32 vcc_lo, 0x42b17218, v15
	s_delay_alu instid0(VALU_DEP_2) | instskip(NEXT) | instid1(VALU_DEP_4)
	v_ldexp_f32 v2, v3, v2
	v_cndmask_b32_e32 v1, 0x7f800000, v1, vcc_lo
	v_cmp_ngt_f32_e32 vcc_lo, 0xc2ce8ed0, v14
	s_delay_alu instid0(VALU_DEP_2)
	v_add_f32_e32 v0, v0, v1
	v_fma_f32 v1, 0x3fb8aa3b, v4, -v5
	v_rndne_f32_e32 v3, v5
	v_cndmask_b32_e32 v2, 0, v2, vcc_lo
	v_cmp_nlt_f32_e32 vcc_lo, 0x42b17218, v14
	v_rndne_f32_e32 v14, v13
	v_fmac_f32_e32 v1, 0x32a5705f, v4
	v_sub_f32_e32 v5, v5, v3
	v_cvt_i32_f32_e32 v3, v3
	v_cndmask_b32_e32 v2, 0x7f800000, v2, vcc_lo
	v_cmp_ngt_f32_e32 vcc_lo, 0xc2ce8ed0, v4
	s_delay_alu instid0(VALU_DEP_4) | instskip(SKIP_1) | instid1(VALU_DEP_4)
	v_add_f32_e32 v1, v5, v1
	v_rndne_f32_e32 v5, v9
	v_add_f32_e32 v0, v0, v2
	v_fma_f32 v2, 0x3fb8aa3b, v6, -v9
	v_sub_f32_e32 v7, v7, v12
	v_exp_f32_e32 v1, v1
	v_fma_f32 v12, 0x3fb8aa3b, v8, -v13
	s_delay_alu instid0(VALU_DEP_3) | instskip(SKIP_1) | instid1(VALU_DEP_3)
	v_dual_sub_f32 v9, v9, v5 :: v_dual_fmac_f32 v2, 0x32a5705f, v6
	v_cvt_i32_f32_e32 v5, v5
	v_fmac_f32_e32 v12, 0x32a5705f, v8
	s_delay_alu instid0(VALU_DEP_3) | instskip(SKIP_4) | instid1(VALU_DEP_2)
	v_dual_mul_f32 v15, 0x3fb8aa3b, v7 :: v_dual_add_f32 v2, v9, v2
	s_waitcnt_depctr 0xfff
	v_ldexp_f32 v1, v1, v3
	v_rndne_f32_e32 v16, v15
	v_exp_f32_e32 v2, v2
	v_cndmask_b32_e32 v1, 0, v1, vcc_lo
	v_cmp_nlt_f32_e32 vcc_lo, 0x42b17218, v4
	v_cvt_i32_f32_e32 v4, v14
	s_delay_alu instid0(VALU_DEP_3)
	v_cndmask_b32_e32 v1, 0x7f800000, v1, vcc_lo
	v_sub_f32_e32 v9, v13, v14
	s_waitcnt_depctr 0xfff
	v_ldexp_f32 v2, v2, v5
	v_cmp_ngt_f32_e32 vcc_lo, 0xc2ce8ed0, v6
	v_fma_f32 v13, 0x3fb8aa3b, v7, -v15
	v_dual_add_f32 v0, v0, v1 :: v_dual_add_f32 v3, v9, v12
	s_delay_alu instid0(VALU_DEP_4) | instskip(SKIP_2) | instid1(VALU_DEP_4)
	v_cndmask_b32_e32 v2, 0, v2, vcc_lo
	v_cmp_nlt_f32_e32 vcc_lo, 0x42b17218, v6
	v_sub_f32_e32 v9, v15, v16
	v_exp_f32_e32 v3, v3
	s_delay_alu instid0(VALU_DEP_3) | instskip(SKIP_2) | instid1(VALU_DEP_2)
	v_cndmask_b32_e32 v2, 0x7f800000, v2, vcc_lo
	v_fmac_f32_e32 v13, 0x32a5705f, v7
	v_cmp_ngt_f32_e32 vcc_lo, 0xc2ce8ed0, v8
	v_dual_add_f32 v0, v0, v2 :: v_dual_add_f32 v9, v9, v13
	s_waitcnt_depctr 0xfff
	v_ldexp_f32 v1, v3, v4
	v_cvt_i32_f32_e32 v3, v16
	v_exp_f32_e32 v5, v9
	s_delay_alu instid0(VALU_DEP_2) | instskip(SKIP_1) | instid1(VALU_DEP_2)
	v_cndmask_b32_e32 v1, 0, v1, vcc_lo
	v_cmp_nlt_f32_e32 vcc_lo, 0x42b17218, v8
	v_cndmask_b32_e32 v1, 0x7f800000, v1, vcc_lo
	v_cmp_ngt_f32_e32 vcc_lo, 0xc2ce8ed0, v7
	s_waitcnt_depctr 0xfff
	v_ldexp_f32 v3, v5, v3
	s_delay_alu instid0(VALU_DEP_1) | instskip(SKIP_1) | instid1(VALU_DEP_2)
	v_cndmask_b32_e32 v2, 0, v3, vcc_lo
	v_cmp_nlt_f32_e32 vcc_lo, 0x42b17218, v7
	v_dual_add_f32 v0, v0, v1 :: v_dual_cndmask_b32 v1, 0x7f800000, v2
	s_delay_alu instid0(VALU_DEP_1) | instskip(NEXT) | instid1(VALU_DEP_1)
	v_add_f32_e32 v0, v0, v1
	v_mov_b32_dpp v1, v0 quad_perm:[1,0,3,2] row_mask:0xf bank_mask:0xf
	s_delay_alu instid0(VALU_DEP_1) | instskip(NEXT) | instid1(VALU_DEP_1)
	v_add_f32_e32 v0, v0, v1
	v_mov_b32_dpp v1, v0 quad_perm:[2,3,0,1] row_mask:0xf bank_mask:0xf
	s_delay_alu instid0(VALU_DEP_1) | instskip(NEXT) | instid1(VALU_DEP_1)
	v_add_f32_e32 v0, v0, v1
	v_mov_b32_dpp v1, v0 row_half_mirror row_mask:0xf bank_mask:0xf
	s_and_b32 exec_lo, exec_lo, s2
	s_cbranch_execz .LBB179_23
; %bb.19:
	s_delay_alu instid0(VALU_DEP_1) | instskip(NEXT) | instid1(VALU_DEP_1)
	v_add_f32_e32 v0, v0, v1
	v_add_f32_e32 v0, v11, v0
	s_delay_alu instid0(VALU_DEP_1)
	v_cmp_neq_f32_e32 vcc_lo, 0, v0
	s_and_b32 exec_lo, exec_lo, vcc_lo
	s_cbranch_execz .LBB179_23
; %bb.20:
	s_and_not1_b32 vcc_lo, exec_lo, s15
	s_cbranch_vccnz .LBB179_23
; %bb.21:
	v_div_scale_f32 v2, null, v0, v0, 1.0
	v_div_scale_f32 v4, vcc_lo, 1.0, v0, 1.0
	s_delay_alu instid0(VALU_DEP_2) | instskip(SKIP_2) | instid1(VALU_DEP_1)
	v_rcp_f32_e32 v3, v2
	s_waitcnt_depctr 0xfff
	v_fma_f32 v1, -v2, v3, 1.0
	v_fmac_f32_e32 v3, v1, v3
	v_mul_lo_u32 v1, v10, s11
	s_delay_alu instid0(VALU_DEP_2) | instskip(NEXT) | instid1(VALU_DEP_1)
	v_mul_f32_e32 v5, v4, v3
	v_fma_f32 v6, -v2, v5, v4
	s_delay_alu instid0(VALU_DEP_1) | instskip(NEXT) | instid1(VALU_DEP_1)
	v_fmac_f32_e32 v5, v6, v3
	v_fma_f32 v4, -v2, v5, v4
	v_ashrrev_i32_e32 v2, 31, v1
	s_delay_alu instid0(VALU_DEP_2) | instskip(NEXT) | instid1(VALU_DEP_2)
	v_div_fmas_f32 v5, v4, v3, v5
	v_lshlrev_b64 v[3:4], 2, v[1:2]
	s_delay_alu instid0(VALU_DEP_2) | instskip(NEXT) | instid1(VALU_DEP_2)
	v_div_fixup_f32 v2, v5, v0, 1.0
	v_add_co_u32 v0, vcc_lo, s12, v3
	s_delay_alu instid0(VALU_DEP_3)
	v_add_co_ci_u32_e32 v1, vcc_lo, s13, v4, vcc_lo
.LBB179_22:                             ; =>This Inner Loop Header: Depth=1
	global_load_b32 v3, v[0:1], off
	s_add_i32 s8, s8, -1
	s_delay_alu instid0(SALU_CYCLE_1)
	s_cmp_lg_u32 s8, 0
	s_waitcnt vmcnt(0)
	v_mul_f32_e32 v3, v2, v3
	global_store_b32 v[0:1], v3, off
	v_add_co_u32 v0, vcc_lo, v0, 4
	v_add_co_ci_u32_e32 v1, vcc_lo, 0, v1, vcc_lo
	s_cbranch_scc1 .LBB179_22
.LBB179_23:
	s_nop 0
	s_sendmsg sendmsg(MSG_DEALLOC_VGPRS)
	s_endpgm
	.section	.rodata,"a",@progbits
	.p2align	6, 0x0
	.amdhsa_kernel _ZN4vllm3moe17topkGatingSoftmaxIDF16_Li16ELi128ELi8ELi32ELb0ELi1ELNS0_23SharedExpertScoringFuncE1EEEvPKT_PKbPfiPiS9_iiiiii
		.amdhsa_group_segment_fixed_size 0
		.amdhsa_private_segment_fixed_size 0
		.amdhsa_kernarg_size 72
		.amdhsa_user_sgpr_count 15
		.amdhsa_user_sgpr_dispatch_ptr 0
		.amdhsa_user_sgpr_queue_ptr 0
		.amdhsa_user_sgpr_kernarg_segment_ptr 1
		.amdhsa_user_sgpr_dispatch_id 0
		.amdhsa_user_sgpr_private_segment_size 0
		.amdhsa_wavefront_size32 1
		.amdhsa_uses_dynamic_stack 0
		.amdhsa_enable_private_segment 0
		.amdhsa_system_sgpr_workgroup_id_x 1
		.amdhsa_system_sgpr_workgroup_id_y 0
		.amdhsa_system_sgpr_workgroup_id_z 0
		.amdhsa_system_sgpr_workgroup_info 0
		.amdhsa_system_vgpr_workitem_id 1
		.amdhsa_next_free_vgpr 53
		.amdhsa_next_free_sgpr 19
		.amdhsa_reserve_vcc 1
		.amdhsa_float_round_mode_32 0
		.amdhsa_float_round_mode_16_64 0
		.amdhsa_float_denorm_mode_32 3
		.amdhsa_float_denorm_mode_16_64 3
		.amdhsa_dx10_clamp 1
		.amdhsa_ieee_mode 1
		.amdhsa_fp16_overflow 0
		.amdhsa_workgroup_processor_mode 1
		.amdhsa_memory_ordered 1
		.amdhsa_forward_progress 0
		.amdhsa_shared_vgpr_count 0
		.amdhsa_exception_fp_ieee_invalid_op 0
		.amdhsa_exception_fp_denorm_src 0
		.amdhsa_exception_fp_ieee_div_zero 0
		.amdhsa_exception_fp_ieee_overflow 0
		.amdhsa_exception_fp_ieee_underflow 0
		.amdhsa_exception_fp_ieee_inexact 0
		.amdhsa_exception_int_div_zero 0
	.end_amdhsa_kernel
	.section	.text._ZN4vllm3moe17topkGatingSoftmaxIDF16_Li16ELi128ELi8ELi32ELb0ELi1ELNS0_23SharedExpertScoringFuncE1EEEvPKT_PKbPfiPiS9_iiiiii,"axG",@progbits,_ZN4vllm3moe17topkGatingSoftmaxIDF16_Li16ELi128ELi8ELi32ELb0ELi1ELNS0_23SharedExpertScoringFuncE1EEEvPKT_PKbPfiPiS9_iiiiii,comdat
.Lfunc_end179:
	.size	_ZN4vllm3moe17topkGatingSoftmaxIDF16_Li16ELi128ELi8ELi32ELb0ELi1ELNS0_23SharedExpertScoringFuncE1EEEvPKT_PKbPfiPiS9_iiiiii, .Lfunc_end179-_ZN4vllm3moe17topkGatingSoftmaxIDF16_Li16ELi128ELi8ELi32ELb0ELi1ELNS0_23SharedExpertScoringFuncE1EEEvPKT_PKbPfiPiS9_iiiiii
                                        ; -- End function
	.section	.AMDGPU.csdata,"",@progbits
; Kernel info:
; codeLenInByte = 4836
; NumSgprs: 21
; NumVgprs: 53
; ScratchSize: 0
; MemoryBound: 0
; FloatMode: 240
; IeeeMode: 1
; LDSByteSize: 0 bytes/workgroup (compile time only)
; SGPRBlocks: 2
; VGPRBlocks: 6
; NumSGPRsForWavesPerEU: 21
; NumVGPRsForWavesPerEU: 53
; Occupancy: 16
; WaveLimiterHint : 0
; COMPUTE_PGM_RSRC2:SCRATCH_EN: 0
; COMPUTE_PGM_RSRC2:USER_SGPR: 15
; COMPUTE_PGM_RSRC2:TRAP_HANDLER: 0
; COMPUTE_PGM_RSRC2:TGID_X_EN: 1
; COMPUTE_PGM_RSRC2:TGID_Y_EN: 0
; COMPUTE_PGM_RSRC2:TGID_Z_EN: 0
; COMPUTE_PGM_RSRC2:TIDIG_COMP_CNT: 1
	.section	.text._ZN4vllm3moe17topkGatingSoftmaxIDF16_Li16ELi128ELi8ELi32ELb1ELi2ELNS0_23SharedExpertScoringFuncE1EEEvPKT_PKbPfiPiS9_iiiiii,"axG",@progbits,_ZN4vllm3moe17topkGatingSoftmaxIDF16_Li16ELi128ELi8ELi32ELb1ELi2ELNS0_23SharedExpertScoringFuncE1EEEvPKT_PKbPfiPiS9_iiiiii,comdat
	.protected	_ZN4vllm3moe17topkGatingSoftmaxIDF16_Li16ELi128ELi8ELi32ELb1ELi2ELNS0_23SharedExpertScoringFuncE1EEEvPKT_PKbPfiPiS9_iiiiii ; -- Begin function _ZN4vllm3moe17topkGatingSoftmaxIDF16_Li16ELi128ELi8ELi32ELb1ELi2ELNS0_23SharedExpertScoringFuncE1EEEvPKT_PKbPfiPiS9_iiiiii
	.globl	_ZN4vllm3moe17topkGatingSoftmaxIDF16_Li16ELi128ELi8ELi32ELb1ELi2ELNS0_23SharedExpertScoringFuncE1EEEvPKT_PKbPfiPiS9_iiiiii
	.p2align	8
	.type	_ZN4vllm3moe17topkGatingSoftmaxIDF16_Li16ELi128ELi8ELi32ELb1ELi2ELNS0_23SharedExpertScoringFuncE1EEEvPKT_PKbPfiPiS9_iiiiii,@function
_ZN4vllm3moe17topkGatingSoftmaxIDF16_Li16ELi128ELi8ELi32ELb1ELi2ELNS0_23SharedExpertScoringFuncE1EEEvPKT_PKbPfiPiS9_iiiiii: ; @_ZN4vllm3moe17topkGatingSoftmaxIDF16_Li16ELi128ELi8ELi32ELb1ELi2ELNS0_23SharedExpertScoringFuncE1EEEvPKT_PKbPfiPiS9_iiiiii
; %bb.0:
	s_load_b32 s16, s[0:1], 0x18
	v_bfe_u32 v1, v0, 10, 10
	v_and_b32_e32 v0, 0x3ff, v0
	s_lshl_b32 s18, s15, 5
	s_mov_b32 s2, exec_lo
	s_delay_alu instid0(VALU_DEP_2) | instskip(NEXT) | instid1(VALU_DEP_2)
	v_lshlrev_b32_e32 v42, 2, v1
	v_lshrrev_b32_e32 v43, 3, v0
	s_delay_alu instid0(VALU_DEP_1) | instskip(SKIP_1) | instid1(VALU_DEP_1)
	v_add3_u32 v8, s18, v42, v43
	s_waitcnt lgkmcnt(0)
	v_cmpx_gt_i32_e64 s16, v8
	s_cbranch_execz .LBB180_22
; %bb.1:
	s_clause 0x1
	s_load_b128 s[4:7], s[0:1], 0x0
	s_load_b64 s[12:13], s[0:1], 0x10
	s_waitcnt lgkmcnt(0)
	s_cmp_eq_u64 s[6:7], 0
	s_cbranch_scc1 .LBB180_3
; %bb.2:
	v_ashrrev_i32_e32 v2, 31, v8
	v_add_co_u32 v1, vcc_lo, s6, v8
	s_delay_alu instid0(VALU_DEP_2) | instskip(SKIP_3) | instid1(VALU_DEP_1)
	v_add_co_ci_u32_e32 v2, vcc_lo, s7, v2, vcc_lo
	global_load_u8 v1, v[1:2], off
	s_waitcnt vmcnt(0)
	v_and_b32_e32 v1, 1, v1
	v_cmp_eq_u32_e32 vcc_lo, 1, v1
	s_xor_b32 s2, vcc_lo, -1
	s_delay_alu instid0(SALU_CYCLE_1)
	s_or_not1_b32 s17, s2, exec_lo
	s_branch .LBB180_4
.LBB180_3:
	s_mov_b32 s17, -1
.LBB180_4:
	s_load_b64 s[14:15], s[0:1], 0x40
	v_and_b32_e32 v9, 7, v0
	s_mov_b32 s2, exec_lo
	s_delay_alu instid0(VALU_DEP_1) | instskip(SKIP_2) | instid1(VALU_DEP_1)
	v_dual_mov_b32 v11, 0 :: v_dual_lshlrev_b32 v10, 4, v9
	s_waitcnt lgkmcnt(0)
	v_mul_lo_u32 v1, v8, s15
	v_ashrrev_i32_e32 v2, 31, v1
	s_delay_alu instid0(VALU_DEP_1) | instskip(SKIP_1) | instid1(VALU_DEP_2)
	v_lshlrev_b64 v[0:1], 1, v[1:2]
	v_lshlrev_b32_e32 v2, 5, v9
	v_add_co_u32 v12, vcc_lo, s4, v0
	s_delay_alu instid0(VALU_DEP_3) | instskip(SKIP_1) | instid1(VALU_DEP_2)
	v_add_co_ci_u32_e32 v13, vcc_lo, s5, v1, vcc_lo
	s_load_b128 s[4:7], s[0:1], 0x30
	v_add_co_u32 v4, vcc_lo, v12, v2
	s_delay_alu instid0(VALU_DEP_2)
	v_add_co_ci_u32_e32 v5, vcc_lo, 0, v13, vcc_lo
	s_clause 0x1
	global_load_b128 v[0:3], v[4:5], off offset:16
	global_load_b128 v[4:7], v[4:5], off
	v_cmpx_gt_u32_e32 2, v9
	s_cbranch_execz .LBB180_6
; %bb.5:
	v_lshlrev_b32_e32 v14, 1, v9
	s_mov_b32 s3, 0x3fb8aa3b
	s_delay_alu instid0(VALU_DEP_1) | instskip(SKIP_4) | instid1(VALU_DEP_1)
	v_add_co_u32 v12, vcc_lo, v12, v14
	v_add_co_ci_u32_e32 v13, vcc_lo, 0, v13, vcc_lo
	global_load_u16 v12, v[12:13], off offset:256
	s_waitcnt vmcnt(0)
	v_cvt_f32_f16_e64 v13, -v12
	v_mul_f32_e32 v14, 0x3fb8aa3b, v13
	v_cmp_ngt_f32_e32 vcc_lo, 0xc2ce8ed0, v13
	s_delay_alu instid0(VALU_DEP_2)
	v_fma_mix_f32 v15, -v12, s3, -v14 op_sel_hi:[1,0,0]
	v_rndne_f32_e32 v16, v14
	s_mov_b32 s3, 0x32a5705f
	s_delay_alu instid0(VALU_DEP_2) | instid1(SALU_CYCLE_1)
	v_fma_mix_f32 v12, -v12, s3, v15 op_sel_hi:[1,0,0]
	s_delay_alu instid0(VALU_DEP_2) | instskip(NEXT) | instid1(VALU_DEP_1)
	v_sub_f32_e32 v14, v14, v16
	v_add_f32_e32 v12, v14, v12
	v_cvt_i32_f32_e32 v14, v16
	s_delay_alu instid0(VALU_DEP_2) | instskip(SKIP_2) | instid1(VALU_DEP_1)
	v_exp_f32_e32 v12, v12
	s_waitcnt_depctr 0xfff
	v_ldexp_f32 v12, v12, v14
	v_cndmask_b32_e32 v12, 0, v12, vcc_lo
	v_cmp_nlt_f32_e32 vcc_lo, 0x42b17218, v13
	s_delay_alu instid0(VALU_DEP_2) | instskip(NEXT) | instid1(VALU_DEP_1)
	v_cndmask_b32_e32 v12, 0x7f800000, v12, vcc_lo
	v_add_f32_e32 v14, 1.0, v12
	s_delay_alu instid0(VALU_DEP_1) | instskip(SKIP_1) | instid1(VALU_DEP_2)
	v_div_scale_f32 v13, null, v14, v14, 1.0
	v_div_scale_f32 v16, vcc_lo, 1.0, v14, 1.0
	v_rcp_f32_e32 v15, v13
	s_waitcnt_depctr 0xfff
	v_fma_f32 v12, -v13, v15, 1.0
	s_delay_alu instid0(VALU_DEP_1) | instskip(SKIP_2) | instid1(VALU_DEP_2)
	v_fmac_f32_e32 v15, v12, v15
	s_waitcnt lgkmcnt(0)
	v_mul_lo_u32 v12, v8, s7
	v_mul_f32_e32 v17, v16, v15
	s_delay_alu instid0(VALU_DEP_2) | instskip(NEXT) | instid1(VALU_DEP_2)
	v_add3_u32 v12, v12, s4, v9
	v_fma_f32 v18, -v13, v17, v16
	s_delay_alu instid0(VALU_DEP_1) | instskip(NEXT) | instid1(VALU_DEP_1)
	v_fmac_f32_e32 v17, v18, v15
	v_fma_f32 v16, -v13, v17, v16
	s_delay_alu instid0(VALU_DEP_4) | instskip(NEXT) | instid1(VALU_DEP_2)
	v_ashrrev_i32_e32 v13, 31, v12
	v_div_fmas_f32 v15, v16, v15, v17
	s_delay_alu instid0(VALU_DEP_2) | instskip(NEXT) | instid1(VALU_DEP_2)
	v_lshlrev_b64 v[12:13], 2, v[12:13]
	v_div_fixup_f32 v14, v15, v14, 1.0
	s_delay_alu instid0(VALU_DEP_2) | instskip(NEXT) | instid1(VALU_DEP_3)
	v_add_co_u32 v12, vcc_lo, s12, v12
	v_add_co_ci_u32_e32 v13, vcc_lo, s13, v13, vcc_lo
	global_store_b32 v[12:13], v14, off
.LBB180_6:
	s_or_b32 exec_lo, exec_lo, s2
	s_waitcnt vmcnt(0)
	v_lshrrev_b32_e32 v15, 16, v4
	v_cvt_f32_f16_e32 v12, v4
	v_or_b32_e32 v13, 1, v10
	v_or_b32_e32 v16, 2, v10
	v_cvt_f32_f16_e32 v19, v6
	v_cvt_f32_f16_e32 v14, v15
	v_cmp_lt_f16_e32 vcc_lo, v4, v15
	v_cvt_f32_f16_e32 v15, v5
	v_lshrrev_b32_e32 v5, 16, v5
	v_lshrrev_b32_e32 v6, 16, v6
	v_or_b32_e32 v20, 4, v10
	v_cndmask_b32_e32 v4, v10, v13, vcc_lo
	v_cvt_f32_f16_e32 v23, v7
	v_cvt_f32_f16_e32 v17, v5
	v_cndmask_b32_e32 v18, v12, v14, vcc_lo
	v_cvt_f32_f16_e32 v21, v6
	v_or_b32_e32 v22, 5, v10
	v_lshrrev_b32_e32 v6, 16, v7
	v_or_b32_e32 v7, 6, v10
	v_cmp_lt_f32_e32 vcc_lo, v18, v15
	v_cvt_f32_f16_e32 v30, v1
	v_lshrrev_b32_e32 v1, 16, v1
	v_cvt_f32_f16_e32 v24, v6
	v_or_b32_e32 v25, 7, v10
	v_dual_cndmask_b32 v4, v4, v16 :: v_dual_cndmask_b32 v5, v18, v15
	v_or_b32_e32 v18, 3, v10
	v_cvt_f32_f16_e32 v32, v1
	v_cvt_f32_f16_e32 v26, v0
	v_lshrrev_b32_e32 v0, 16, v0
	v_cmp_lt_f32_e32 vcc_lo, v5, v17
	v_or_b32_e32 v27, 8, v10
	v_cvt_f32_f16_e32 v34, v2
	v_lshrrev_b32_e32 v2, 16, v2
	v_cvt_f32_f16_e32 v28, v0
	v_dual_cndmask_b32 v5, v5, v17 :: v_dual_cndmask_b32 v4, v4, v18
	v_or_b32_e32 v29, 9, v10
	s_delay_alu instid0(VALU_DEP_4) | instskip(SKIP_1) | instid1(VALU_DEP_4)
	v_cvt_f32_f16_e32 v36, v2
	v_cvt_f32_f16_e32 v38, v3
	v_cmp_lt_f32_e32 vcc_lo, v5, v19
	v_or_b32_e32 v31, 10, v10
	v_lshrrev_b32_e32 v2, 16, v3
	v_or_b32_e32 v33, 11, v10
	v_or_b32_e32 v35, 12, v10
	v_dual_cndmask_b32 v5, v5, v19 :: v_dual_cndmask_b32 v4, v4, v20
	s_delay_alu instid0(VALU_DEP_4) | instskip(SKIP_2) | instid1(VALU_DEP_4)
	v_cvt_f32_f16_e32 v40, v2
	v_or_b32_e32 v37, 13, v10
	v_or_b32_e32 v39, 14, v10
	v_cmp_lt_f32_e32 vcc_lo, v5, v21
	v_or_b32_e32 v41, 15, v10
	v_dual_cndmask_b32 v5, v5, v21 :: v_dual_cndmask_b32 v4, v4, v22
	s_delay_alu instid0(VALU_DEP_1) | instskip(SKIP_1) | instid1(VALU_DEP_3)
	v_cmp_lt_f32_e32 vcc_lo, v5, v23
	v_cndmask_b32_e32 v5, v5, v23, vcc_lo
	v_cndmask_b32_e32 v4, v4, v7, vcc_lo
	s_delay_alu instid0(VALU_DEP_2) | instskip(NEXT) | instid1(VALU_DEP_2)
	v_cmp_lt_f32_e32 vcc_lo, v5, v24
	v_dual_cndmask_b32 v5, v5, v24 :: v_dual_cndmask_b32 v4, v4, v25
	s_delay_alu instid0(VALU_DEP_1) | instskip(NEXT) | instid1(VALU_DEP_2)
	v_cmp_lt_f32_e32 vcc_lo, v5, v26
	v_cndmask_b32_e32 v0, v4, v27, vcc_lo
	v_cndmask_b32_e32 v4, v5, v26, vcc_lo
	s_delay_alu instid0(VALU_DEP_1) | instskip(SKIP_1) | instid1(VALU_DEP_4)
	v_cmp_lt_f32_e32 vcc_lo, v4, v28
	v_cndmask_b32_e32 v4, v4, v28, vcc_lo
	v_cndmask_b32_e32 v0, v0, v29, vcc_lo
	s_delay_alu instid0(VALU_DEP_2) | instskip(SKIP_1) | instid1(VALU_DEP_3)
	v_cmp_lt_f32_e32 vcc_lo, v4, v30
	v_cndmask_b32_e32 v1, v4, v30, vcc_lo
	v_cndmask_b32_e32 v0, v0, v31, vcc_lo
	s_delay_alu instid0(VALU_DEP_2) | instskip(NEXT) | instid1(VALU_DEP_2)
	v_cmp_lt_f32_e32 vcc_lo, v1, v32
	v_dual_cndmask_b32 v1, v1, v32 :: v_dual_cndmask_b32 v0, v0, v33
	s_delay_alu instid0(VALU_DEP_1) | instskip(NEXT) | instid1(VALU_DEP_2)
	v_cmp_lt_f32_e32 vcc_lo, v1, v34
	v_dual_cndmask_b32 v1, v1, v34 :: v_dual_cndmask_b32 v0, v0, v35
	s_delay_alu instid0(VALU_DEP_1) | instskip(NEXT) | instid1(VALU_DEP_2)
	;; [unrolled: 3-line block ×5, first 2 shown]
	v_mov_b32_dpp v3, v1 quad_perm:[1,0,3,2] row_mask:0xf bank_mask:0xf
	v_mov_b32_dpp v2, v0 quad_perm:[1,0,3,2] row_mask:0xf bank_mask:0xf
	s_delay_alu instid0(VALU_DEP_2) | instskip(NEXT) | instid1(VALU_DEP_2)
	v_cmp_eq_f32_e64 s2, v1, v3
	v_cmp_lt_i32_e32 vcc_lo, v2, v0
	v_cmp_lt_f32_e64 s3, v1, v3
	s_delay_alu instid0(VALU_DEP_3)
	s_and_b32 s2, s2, vcc_lo
	s_delay_alu instid0(VALU_DEP_1) | instid1(SALU_CYCLE_1)
	s_or_b32 vcc_lo, s3, s2
	v_dual_cndmask_b32 v1, v1, v3 :: v_dual_cndmask_b32 v0, v0, v2
	s_delay_alu instid0(VALU_DEP_1) | instskip(NEXT) | instid1(VALU_DEP_2)
	v_mov_b32_dpp v2, v1 quad_perm:[2,3,0,1] row_mask:0xf bank_mask:0xf
	v_mov_b32_dpp v3, v0 quad_perm:[2,3,0,1] row_mask:0xf bank_mask:0xf
	s_delay_alu instid0(VALU_DEP_2) | instskip(NEXT) | instid1(VALU_DEP_2)
	v_cmp_eq_f32_e32 vcc_lo, v1, v2
	v_cmp_lt_i32_e64 s2, v3, v0
	v_cmp_lt_f32_e64 s3, v1, v2
	s_delay_alu instid0(VALU_DEP_2)
	s_and_b32 s2, vcc_lo, s2
	s_delay_alu instid0(VALU_DEP_1) | instid1(SALU_CYCLE_1)
	s_or_b32 vcc_lo, s3, s2
	s_waitcnt lgkmcnt(0)
	s_cmp_gt_i32 s4, 0
	v_cndmask_b32_e32 v2, v1, v2, vcc_lo
	v_cndmask_b32_e32 v0, v0, v3, vcc_lo
	v_cmp_eq_u32_e32 vcc_lo, 0, v9
	s_cselect_b32 s3, -1, 0
	s_cmp_lt_i32 s4, 1
	v_mov_b32_dpp v4, v2 row_half_mirror row_mask:0xf bank_mask:0xf
	v_mov_b32_dpp v6, v0 row_half_mirror row_mask:0xf bank_mask:0xf
	s_cbranch_scc1 .LBB180_18
; %bb.7:
	s_load_b128 s[8:11], s[0:1], 0x20
	s_delay_alu instid0(VALU_DEP_2) | instskip(NEXT) | instid1(VALU_DEP_2)
	v_cmp_eq_f32_e64 s0, v2, v4
	v_cmp_lt_i32_e64 s1, v6, v0
	v_cmp_lt_f32_e64 s2, v2, v4
	v_mul_lo_u32 v1, v8, s7
	v_mul_lo_u32 v3, v8, s14
	;; [unrolled: 1-line block ×3, first 2 shown]
	s_and_b32 s0, s0, s1
	v_mov_b32_e32 v11, 0
	s_or_b32 s0, s2, s0
	s_delay_alu instid0(SALU_CYCLE_1)
	v_cndmask_b32_e64 v0, v0, v6, s0
	v_cndmask_b32_e64 v44, v2, v4, s0
	s_and_saveexec_b32 s2, vcc_lo
	s_cbranch_execz .LBB180_9
; %bb.8:
	s_delay_alu instid0(VALU_DEP_1)
	v_sub_f32_e32 v11, v44, v44
	v_cmp_le_i32_e64 s0, s5, v0
	v_cmp_gt_i32_e64 s1, s6, v0
	v_subrev_nc_u32_e32 v51, s5, v0
	v_ashrrev_i32_e32 v6, 31, v5
	v_mul_f32_e32 v2, 0x3fb8aa3b, v11
	s_delay_alu instid0(VALU_DEP_4) | instskip(NEXT) | instid1(SALU_CYCLE_1)
	s_and_b32 s0, s0, s1
	s_and_b32 s0, s17, s0
	s_delay_alu instid0(VALU_DEP_1) | instskip(SKIP_2) | instid1(VALU_DEP_3)
	v_rndne_f32_e32 v47, v2
	v_fma_f32 v4, 0x3fb8aa3b, v11, -v2
	v_lshlrev_b64 v[49:50], 2, v[5:6]
	v_sub_f32_e32 v2, v2, v47
	s_delay_alu instid0(VALU_DEP_3) | instskip(NEXT) | instid1(VALU_DEP_1)
	v_fmamk_f32 v4, v11, 0x32a5705f, v4
	v_add_f32_e32 v4, v2, v4
	v_ashrrev_i32_e32 v2, 31, v1
	s_delay_alu instid0(VALU_DEP_2) | instskip(NEXT) | instid1(VALU_DEP_1)
	v_exp_f32_e32 v52, v4
	v_lshlrev_b64 v[45:46], 2, v[1:2]
	v_ashrrev_i32_e32 v4, 31, v3
	v_cvt_i32_f32_e32 v2, v47
	s_delay_alu instid0(VALU_DEP_2) | instskip(SKIP_2) | instid1(VALU_DEP_1)
	v_lshlrev_b64 v[47:48], 2, v[3:4]
	v_cndmask_b32_e64 v4, 0x80, v51, s0
	v_add_co_u32 v45, s0, s12, v45
	v_add_co_ci_u32_e64 v46, s0, s13, v46, s0
	s_delay_alu instid0(TRANS32_DEP_1) | instskip(SKIP_1) | instid1(VALU_DEP_1)
	v_ldexp_f32 v2, v52, v2
	v_cmp_ngt_f32_e64 s0, 0xc2ce8ed0, v11
	v_cndmask_b32_e64 v2, 0, v2, s0
	s_waitcnt lgkmcnt(0)
	v_add_co_u32 v47, s0, s8, v47
	s_delay_alu instid0(VALU_DEP_1) | instskip(SKIP_1) | instid1(VALU_DEP_1)
	v_add_co_ci_u32_e64 v48, s0, s9, v48, s0
	v_cmp_nlt_f32_e64 s0, 0x42b17218, v11
	v_cndmask_b32_e64 v11, 0x7f800000, v2, s0
	v_add_co_u32 v49, s0, s10, v49
	s_delay_alu instid0(VALU_DEP_1)
	v_add_co_ci_u32_e64 v50, s0, s11, v50, s0
	global_store_b32 v[47:48], v4, off
	global_store_b32 v[45:46], v11, off
	;; [unrolled: 1-line block ×3, first 2 shown]
.LBB180_9:
	s_or_b32 exec_lo, exec_lo, s2
	v_ashrrev_i32_e32 v4, 31, v0
	s_mov_b32 s1, exec_lo
	s_delay_alu instid0(VALU_DEP_1) | instskip(NEXT) | instid1(VALU_DEP_1)
	v_lshrrev_b32_e32 v2, 28, v4
	v_add_nc_u32_e32 v2, v0, v2
	s_delay_alu instid0(VALU_DEP_1) | instskip(NEXT) | instid1(VALU_DEP_1)
	v_ashrrev_i32_e32 v2, 4, v2
	v_lshrrev_b32_e32 v6, 29, v2
	s_delay_alu instid0(VALU_DEP_1) | instskip(NEXT) | instid1(VALU_DEP_1)
	v_add_nc_u32_e32 v6, v2, v6
	v_and_b32_e32 v6, -8, v6
	s_delay_alu instid0(VALU_DEP_1) | instskip(NEXT) | instid1(VALU_DEP_1)
	v_sub_nc_u32_e32 v6, v2, v6
	v_cmpx_eq_u32_e64 v9, v6
	s_cbranch_execz .LBB180_11
; %bb.10:
	v_lshrrev_b32_e32 v4, 25, v4
	v_lshlrev_b32_e32 v2, 4, v2
	s_delay_alu instid0(VALU_DEP_2) | instskip(NEXT) | instid1(VALU_DEP_2)
	v_add_nc_u32_e32 v4, v0, v4
	v_sub_nc_u32_e32 v0, v0, v2
	s_delay_alu instid0(VALU_DEP_2) | instskip(NEXT) | instid1(VALU_DEP_1)
	v_ashrrev_i32_e32 v2, 7, v4
	v_lshl_add_u32 v0, v2, 4, v0
	s_delay_alu instid0(VALU_DEP_1) | instskip(NEXT) | instid1(VALU_DEP_1)
	v_cmp_ne_u32_e64 s0, 15, v0
	v_cndmask_b32_e64 v40, 0xff800000, v40, s0
	v_cmp_ne_u32_e64 s0, 14, v0
	s_delay_alu instid0(VALU_DEP_1) | instskip(SKIP_1) | instid1(VALU_DEP_1)
	v_cndmask_b32_e64 v38, 0xff800000, v38, s0
	v_cmp_ne_u32_e64 s0, 13, v0
	v_cndmask_b32_e64 v36, 0xff800000, v36, s0
	v_cmp_ne_u32_e64 s0, 12, v0
	s_delay_alu instid0(VALU_DEP_1) | instskip(SKIP_1) | instid1(VALU_DEP_1)
	v_cndmask_b32_e64 v34, 0xff800000, v34, s0
	;; [unrolled: 5-line block ×7, first 2 shown]
	v_cmp_ne_u32_e64 s0, 1, v0
	v_cndmask_b32_e64 v14, 0xff800000, v14, s0
	v_cmp_ne_u32_e64 s0, 0, v0
	s_delay_alu instid0(VALU_DEP_1)
	v_cndmask_b32_e64 v12, 0xff800000, v12, s0
.LBB180_11:
	s_or_b32 exec_lo, exec_lo, s1
	s_cmp_eq_u32 s4, 1
	s_cbranch_scc1 .LBB180_18
; %bb.12:
	s_add_i32 s18, s18, s16
	v_add_nc_u32_e32 v0, 1, v5
	v_add3_u32 v6, s18, v43, v42
	v_add_nc_u32_e32 v2, 1, v3
	v_add_nc_u32_e32 v4, 1, v1
	s_add_i32 s14, s4, -1
	s_branch .LBB180_14
.LBB180_13:                             ;   in Loop: Header=BB180_14 Depth=1
	s_or_b32 exec_lo, exec_lo, s1
	v_add_nc_u32_e32 v6, s16, v6
	v_add_nc_u32_e32 v0, 1, v0
	v_add_nc_u32_e32 v2, 1, v2
	v_add_nc_u32_e32 v4, 1, v4
	s_add_i32 s14, s14, -1
	s_delay_alu instid0(SALU_CYCLE_1)
	s_cmp_eq_u32 s14, 0
	s_cbranch_scc1 .LBB180_18
.LBB180_14:                             ; =>This Inner Loop Header: Depth=1
	v_cmp_gt_f32_e64 s0, v14, v12
	s_delay_alu instid0(VALU_DEP_1) | instskip(SKIP_1) | instid1(VALU_DEP_2)
	v_cndmask_b32_e64 v3, v12, v14, s0
	v_cndmask_b32_e64 v1, v10, v13, s0
	v_cmp_gt_f32_e64 s0, v15, v3
	s_delay_alu instid0(VALU_DEP_1) | instskip(NEXT) | instid1(VALU_DEP_3)
	v_cndmask_b32_e64 v3, v3, v15, s0
	v_cndmask_b32_e64 v1, v1, v16, s0
	s_delay_alu instid0(VALU_DEP_2) | instskip(NEXT) | instid1(VALU_DEP_1)
	v_cmp_gt_f32_e64 s0, v17, v3
	v_cndmask_b32_e64 v3, v3, v17, s0
	s_delay_alu instid0(VALU_DEP_3) | instskip(NEXT) | instid1(VALU_DEP_2)
	v_cndmask_b32_e64 v1, v1, v18, s0
	v_cmp_gt_f32_e64 s0, v19, v3
	s_delay_alu instid0(VALU_DEP_1) | instskip(NEXT) | instid1(VALU_DEP_3)
	v_cndmask_b32_e64 v3, v3, v19, s0
	v_cndmask_b32_e64 v1, v1, v20, s0
	s_delay_alu instid0(VALU_DEP_2) | instskip(NEXT) | instid1(VALU_DEP_1)
	v_cmp_gt_f32_e64 s0, v21, v3
	v_cndmask_b32_e64 v3, v3, v21, s0
	s_delay_alu instid0(VALU_DEP_3) | instskip(NEXT) | instid1(VALU_DEP_2)
	;; [unrolled: 9-line block ×6, first 2 shown]
	v_cndmask_b32_e64 v1, v1, v37, s0
	v_cmp_gt_f32_e64 s0, v38, v3
	s_delay_alu instid0(VALU_DEP_1) | instskip(NEXT) | instid1(VALU_DEP_3)
	v_cndmask_b32_e64 v3, v3, v38, s0
	v_cndmask_b32_e64 v1, v1, v39, s0
	s_delay_alu instid0(VALU_DEP_2) | instskip(NEXT) | instid1(VALU_DEP_1)
	v_cmp_gt_f32_e64 s0, v40, v3
	v_cndmask_b32_e64 v1, v1, v41, s0
	v_cndmask_b32_e64 v3, v3, v40, s0
	s_delay_alu instid0(VALU_DEP_2) | instskip(NEXT) | instid1(VALU_DEP_2)
	v_mov_b32_dpp v5, v1 quad_perm:[1,0,3,2] row_mask:0xf bank_mask:0xf
	v_mov_b32_dpp v42, v3 quad_perm:[1,0,3,2] row_mask:0xf bank_mask:0xf
	s_delay_alu instid0(VALU_DEP_2) | instskip(NEXT) | instid1(VALU_DEP_2)
	v_cmp_lt_i32_e64 s0, v5, v1
	v_cmp_eq_f32_e64 s1, v3, v42
	v_cmp_lt_f32_e64 s2, v3, v42
	s_delay_alu instid0(VALU_DEP_2)
	s_and_b32 s0, s1, s0
	s_delay_alu instid0(VALU_DEP_1) | instid1(SALU_CYCLE_1)
	s_or_b32 s0, s2, s0
	s_delay_alu instid0(SALU_CYCLE_1) | instskip(SKIP_1) | instid1(VALU_DEP_2)
	v_cndmask_b32_e64 v3, v3, v42, s0
	v_cndmask_b32_e64 v5, v1, v5, s0
	v_mov_b32_dpp v1, v3 quad_perm:[2,3,0,1] row_mask:0xf bank_mask:0xf
	s_delay_alu instid0(VALU_DEP_2) | instskip(NEXT) | instid1(VALU_DEP_2)
	v_mov_b32_dpp v42, v5 quad_perm:[2,3,0,1] row_mask:0xf bank_mask:0xf
	v_cmp_eq_f32_e64 s0, v3, v1
	s_delay_alu instid0(VALU_DEP_2) | instskip(SKIP_1) | instid1(VALU_DEP_2)
	v_cmp_lt_i32_e64 s1, v42, v5
	v_cmp_lt_f32_e64 s2, v3, v1
	s_and_b32 s0, s0, s1
	s_delay_alu instid0(VALU_DEP_1) | instid1(SALU_CYCLE_1)
	s_or_b32 s0, s2, s0
	s_delay_alu instid0(SALU_CYCLE_1) | instskip(SKIP_1) | instid1(VALU_DEP_2)
	v_cndmask_b32_e64 v1, v3, v1, s0
	v_cndmask_b32_e64 v5, v5, v42, s0
	v_mov_b32_dpp v3, v1 row_half_mirror row_mask:0xf bank_mask:0xf
	s_delay_alu instid0(VALU_DEP_2) | instskip(NEXT) | instid1(VALU_DEP_2)
	v_mov_b32_dpp v42, v5 row_half_mirror row_mask:0xf bank_mask:0xf
	v_cmp_eq_f32_e64 s0, v1, v3
	s_delay_alu instid0(VALU_DEP_2) | instskip(SKIP_1) | instid1(VALU_DEP_2)
	v_cmp_lt_i32_e64 s1, v42, v5
	v_cmp_lt_f32_e64 s2, v1, v3
	s_and_b32 s0, s0, s1
	s_delay_alu instid0(VALU_DEP_1) | instid1(SALU_CYCLE_1)
	s_or_b32 s0, s2, s0
	s_delay_alu instid0(SALU_CYCLE_1)
	v_cndmask_b32_e64 v42, v5, v42, s0
	s_and_saveexec_b32 s2, vcc_lo
	s_cbranch_execz .LBB180_16
; %bb.15:                               ;   in Loop: Header=BB180_14 Depth=1
	v_cndmask_b32_e64 v1, v1, v3, s0
	s_delay_alu instid0(VALU_DEP_2) | instskip(SKIP_4) | instid1(VALU_DEP_4)
	v_cmp_le_i32_e64 s0, s5, v42
	v_cmp_gt_i32_e64 s1, s6, v42
	v_ashrrev_i32_e32 v5, 31, v4
	v_subrev_nc_u32_e32 v51, s5, v42
	v_sub_f32_e32 v43, v1, v44
	s_and_b32 s0, s0, s1
	s_delay_alu instid0(SALU_CYCLE_1) | instskip(NEXT) | instid1(VALU_DEP_1)
	s_and_b32 s0, s17, s0
	v_mul_f32_e32 v1, 0x3fb8aa3b, v43
	s_delay_alu instid0(VALU_DEP_1) | instskip(SKIP_1) | instid1(VALU_DEP_2)
	v_fma_f32 v3, 0x3fb8aa3b, v43, -v1
	v_rndne_f32_e32 v45, v1
	v_fmac_f32_e32 v3, 0x32a5705f, v43
	s_delay_alu instid0(VALU_DEP_2) | instskip(SKIP_2) | instid1(VALU_DEP_3)
	v_sub_f32_e32 v1, v1, v45
	v_cvt_i32_f32_e32 v50, v45
	v_lshlrev_b64 v[45:46], 2, v[4:5]
	v_add_f32_e32 v1, v1, v3
	v_ashrrev_i32_e32 v3, 31, v2
	s_delay_alu instid0(VALU_DEP_2) | instskip(SKIP_1) | instid1(VALU_DEP_2)
	v_exp_f32_e32 v49, v1
	v_ashrrev_i32_e32 v1, 31, v0
	v_lshlrev_b64 v[47:48], 2, v[2:3]
	s_waitcnt_depctr 0xfff
	v_ldexp_f32 v3, v49, v50
	v_lshlrev_b64 v[49:50], 2, v[0:1]
	v_cndmask_b32_e64 v1, 0x80, v51, s0
	v_cmp_ngt_f32_e64 s0, 0xc2ce8ed0, v43
	s_delay_alu instid0(VALU_DEP_1) | instskip(SKIP_1) | instid1(VALU_DEP_1)
	v_cndmask_b32_e64 v3, 0, v3, s0
	v_add_co_u32 v45, s0, s12, v45
	v_add_co_ci_u32_e64 v46, s0, s13, v46, s0
	v_cmp_nlt_f32_e64 s0, 0x42b17218, v43
	s_delay_alu instid0(VALU_DEP_1) | instskip(SKIP_2) | instid1(VALU_DEP_1)
	v_cndmask_b32_e64 v3, 0x7f800000, v3, s0
	s_waitcnt lgkmcnt(0)
	v_add_co_u32 v47, s0, s8, v47
	v_add_co_ci_u32_e64 v48, s0, s9, v48, s0
	v_add_co_u32 v49, s0, s10, v49
	v_add_f32_e32 v11, v11, v3
	v_add_co_ci_u32_e64 v50, s0, s11, v50, s0
	global_store_b32 v[45:46], v3, off
	global_store_b32 v[47:48], v1, off
	;; [unrolled: 1-line block ×3, first 2 shown]
.LBB180_16:                             ;   in Loop: Header=BB180_14 Depth=1
	s_or_b32 exec_lo, exec_lo, s2
	s_delay_alu instid0(VALU_DEP_1) | instskip(SKIP_1) | instid1(VALU_DEP_1)
	v_ashrrev_i32_e32 v3, 31, v42
	s_mov_b32 s1, exec_lo
	v_lshrrev_b32_e32 v1, 28, v3
	s_delay_alu instid0(VALU_DEP_1) | instskip(NEXT) | instid1(VALU_DEP_1)
	v_add_nc_u32_e32 v1, v42, v1
	v_ashrrev_i32_e32 v1, 4, v1
	s_delay_alu instid0(VALU_DEP_1) | instskip(NEXT) | instid1(VALU_DEP_1)
	v_lshrrev_b32_e32 v5, 29, v1
	v_add_nc_u32_e32 v5, v1, v5
	s_delay_alu instid0(VALU_DEP_1) | instskip(NEXT) | instid1(VALU_DEP_1)
	v_and_b32_e32 v5, -8, v5
	v_sub_nc_u32_e32 v5, v1, v5
	s_delay_alu instid0(VALU_DEP_1)
	v_cmpx_eq_u32_e64 v9, v5
	s_cbranch_execz .LBB180_13
; %bb.17:                               ;   in Loop: Header=BB180_14 Depth=1
	v_lshrrev_b32_e32 v3, 25, v3
	v_lshlrev_b32_e32 v1, 4, v1
	s_delay_alu instid0(VALU_DEP_2) | instskip(NEXT) | instid1(VALU_DEP_2)
	v_add_nc_u32_e32 v3, v42, v3
	v_sub_nc_u32_e32 v1, v42, v1
	s_delay_alu instid0(VALU_DEP_2) | instskip(NEXT) | instid1(VALU_DEP_1)
	v_ashrrev_i32_e32 v3, 7, v3
	v_lshl_add_u32 v1, v3, 4, v1
	s_delay_alu instid0(VALU_DEP_1) | instskip(NEXT) | instid1(VALU_DEP_1)
	v_cmp_ne_u32_e64 s0, 15, v1
	v_cndmask_b32_e64 v40, 0xff800000, v40, s0
	v_cmp_ne_u32_e64 s0, 14, v1
	s_delay_alu instid0(VALU_DEP_1) | instskip(SKIP_1) | instid1(VALU_DEP_1)
	v_cndmask_b32_e64 v38, 0xff800000, v38, s0
	v_cmp_ne_u32_e64 s0, 13, v1
	v_cndmask_b32_e64 v36, 0xff800000, v36, s0
	v_cmp_ne_u32_e64 s0, 12, v1
	s_delay_alu instid0(VALU_DEP_1) | instskip(SKIP_1) | instid1(VALU_DEP_1)
	v_cndmask_b32_e64 v34, 0xff800000, v34, s0
	;; [unrolled: 5-line block ×7, first 2 shown]
	v_cmp_ne_u32_e64 s0, 1, v1
	v_cndmask_b32_e64 v14, 0xff800000, v14, s0
	v_cmp_ne_u32_e64 s0, 0, v1
	s_delay_alu instid0(VALU_DEP_1)
	v_cndmask_b32_e64 v12, 0xff800000, v12, s0
	s_branch .LBB180_13
.LBB180_18:
	v_cmp_eq_u32_e32 vcc_lo, 0, v9
	v_cmp_neq_f32_e64 s0, 0, v11
	s_delay_alu instid0(VALU_DEP_1) | instskip(NEXT) | instid1(SALU_CYCLE_1)
	s_and_b32 s0, vcc_lo, s0
	s_and_b32 exec_lo, exec_lo, s0
	s_cbranch_execz .LBB180_22
; %bb.19:
	s_and_not1_b32 vcc_lo, exec_lo, s3
	s_cbranch_vccnz .LBB180_22
; %bb.20:
	v_div_scale_f32 v1, null, v11, v11, 1.0
	v_div_scale_f32 v3, vcc_lo, 1.0, v11, 1.0
	s_delay_alu instid0(VALU_DEP_2) | instskip(SKIP_2) | instid1(VALU_DEP_1)
	v_rcp_f32_e32 v2, v1
	s_waitcnt_depctr 0xfff
	v_fma_f32 v0, -v1, v2, 1.0
	v_fmac_f32_e32 v2, v0, v2
	v_mul_lo_u32 v0, v8, s7
	s_delay_alu instid0(VALU_DEP_2) | instskip(NEXT) | instid1(VALU_DEP_1)
	v_mul_f32_e32 v4, v3, v2
	v_fma_f32 v5, -v1, v4, v3
	s_delay_alu instid0(VALU_DEP_1) | instskip(NEXT) | instid1(VALU_DEP_1)
	v_fmac_f32_e32 v4, v5, v2
	v_fma_f32 v3, -v1, v4, v3
	v_ashrrev_i32_e32 v1, 31, v0
	s_delay_alu instid0(VALU_DEP_2) | instskip(NEXT) | instid1(VALU_DEP_2)
	v_div_fmas_f32 v2, v3, v2, v4
	v_lshlrev_b64 v[0:1], 2, v[0:1]
	s_delay_alu instid0(VALU_DEP_2) | instskip(NEXT) | instid1(VALU_DEP_2)
	v_div_fixup_f32 v2, v2, v11, 1.0
	v_add_co_u32 v0, vcc_lo, s12, v0
	s_delay_alu instid0(VALU_DEP_3)
	v_add_co_ci_u32_e32 v1, vcc_lo, s13, v1, vcc_lo
.LBB180_21:                             ; =>This Inner Loop Header: Depth=1
	global_load_b32 v3, v[0:1], off
	s_add_i32 s4, s4, -1
	s_delay_alu instid0(SALU_CYCLE_1)
	s_cmp_lg_u32 s4, 0
	s_waitcnt vmcnt(0)
	v_mul_f32_e32 v3, v2, v3
	global_store_b32 v[0:1], v3, off
	v_add_co_u32 v0, vcc_lo, v0, 4
	v_add_co_ci_u32_e32 v1, vcc_lo, 0, v1, vcc_lo
	s_cbranch_scc1 .LBB180_21
.LBB180_22:
	s_nop 0
	s_sendmsg sendmsg(MSG_DEALLOC_VGPRS)
	s_endpgm
	.section	.rodata,"a",@progbits
	.p2align	6, 0x0
	.amdhsa_kernel _ZN4vllm3moe17topkGatingSoftmaxIDF16_Li16ELi128ELi8ELi32ELb1ELi2ELNS0_23SharedExpertScoringFuncE1EEEvPKT_PKbPfiPiS9_iiiiii
		.amdhsa_group_segment_fixed_size 0
		.amdhsa_private_segment_fixed_size 0
		.amdhsa_kernarg_size 72
		.amdhsa_user_sgpr_count 15
		.amdhsa_user_sgpr_dispatch_ptr 0
		.amdhsa_user_sgpr_queue_ptr 0
		.amdhsa_user_sgpr_kernarg_segment_ptr 1
		.amdhsa_user_sgpr_dispatch_id 0
		.amdhsa_user_sgpr_private_segment_size 0
		.amdhsa_wavefront_size32 1
		.amdhsa_uses_dynamic_stack 0
		.amdhsa_enable_private_segment 0
		.amdhsa_system_sgpr_workgroup_id_x 1
		.amdhsa_system_sgpr_workgroup_id_y 0
		.amdhsa_system_sgpr_workgroup_id_z 0
		.amdhsa_system_sgpr_workgroup_info 0
		.amdhsa_system_vgpr_workitem_id 1
		.amdhsa_next_free_vgpr 53
		.amdhsa_next_free_sgpr 19
		.amdhsa_reserve_vcc 1
		.amdhsa_float_round_mode_32 0
		.amdhsa_float_round_mode_16_64 0
		.amdhsa_float_denorm_mode_32 3
		.amdhsa_float_denorm_mode_16_64 3
		.amdhsa_dx10_clamp 1
		.amdhsa_ieee_mode 1
		.amdhsa_fp16_overflow 0
		.amdhsa_workgroup_processor_mode 1
		.amdhsa_memory_ordered 1
		.amdhsa_forward_progress 0
		.amdhsa_shared_vgpr_count 0
		.amdhsa_exception_fp_ieee_invalid_op 0
		.amdhsa_exception_fp_denorm_src 0
		.amdhsa_exception_fp_ieee_div_zero 0
		.amdhsa_exception_fp_ieee_overflow 0
		.amdhsa_exception_fp_ieee_underflow 0
		.amdhsa_exception_fp_ieee_inexact 0
		.amdhsa_exception_int_div_zero 0
	.end_amdhsa_kernel
	.section	.text._ZN4vllm3moe17topkGatingSoftmaxIDF16_Li16ELi128ELi8ELi32ELb1ELi2ELNS0_23SharedExpertScoringFuncE1EEEvPKT_PKbPfiPiS9_iiiiii,"axG",@progbits,_ZN4vllm3moe17topkGatingSoftmaxIDF16_Li16ELi128ELi8ELi32ELb1ELi2ELNS0_23SharedExpertScoringFuncE1EEEvPKT_PKbPfiPiS9_iiiiii,comdat
.Lfunc_end180:
	.size	_ZN4vllm3moe17topkGatingSoftmaxIDF16_Li16ELi128ELi8ELi32ELb1ELi2ELNS0_23SharedExpertScoringFuncE1EEEvPKT_PKbPfiPiS9_iiiiii, .Lfunc_end180-_ZN4vllm3moe17topkGatingSoftmaxIDF16_Li16ELi128ELi8ELi32ELb1ELi2ELNS0_23SharedExpertScoringFuncE1EEEvPKT_PKbPfiPiS9_iiiiii
                                        ; -- End function
	.section	.AMDGPU.csdata,"",@progbits
; Kernel info:
; codeLenInByte = 3800
; NumSgprs: 21
; NumVgprs: 53
; ScratchSize: 0
; MemoryBound: 0
; FloatMode: 240
; IeeeMode: 1
; LDSByteSize: 0 bytes/workgroup (compile time only)
; SGPRBlocks: 2
; VGPRBlocks: 6
; NumSGPRsForWavesPerEU: 21
; NumVGPRsForWavesPerEU: 53
; Occupancy: 16
; WaveLimiterHint : 0
; COMPUTE_PGM_RSRC2:SCRATCH_EN: 0
; COMPUTE_PGM_RSRC2:USER_SGPR: 15
; COMPUTE_PGM_RSRC2:TRAP_HANDLER: 0
; COMPUTE_PGM_RSRC2:TGID_X_EN: 1
; COMPUTE_PGM_RSRC2:TGID_Y_EN: 0
; COMPUTE_PGM_RSRC2:TGID_Z_EN: 0
; COMPUTE_PGM_RSRC2:TIDIG_COMP_CNT: 1
	.section	.text._ZN4vllm3moe17topkGatingSoftmaxIDF16_Li16ELi128ELi8ELi32ELb0ELi2ELNS0_23SharedExpertScoringFuncE1EEEvPKT_PKbPfiPiS9_iiiiii,"axG",@progbits,_ZN4vllm3moe17topkGatingSoftmaxIDF16_Li16ELi128ELi8ELi32ELb0ELi2ELNS0_23SharedExpertScoringFuncE1EEEvPKT_PKbPfiPiS9_iiiiii,comdat
	.protected	_ZN4vllm3moe17topkGatingSoftmaxIDF16_Li16ELi128ELi8ELi32ELb0ELi2ELNS0_23SharedExpertScoringFuncE1EEEvPKT_PKbPfiPiS9_iiiiii ; -- Begin function _ZN4vllm3moe17topkGatingSoftmaxIDF16_Li16ELi128ELi8ELi32ELb0ELi2ELNS0_23SharedExpertScoringFuncE1EEEvPKT_PKbPfiPiS9_iiiiii
	.globl	_ZN4vllm3moe17topkGatingSoftmaxIDF16_Li16ELi128ELi8ELi32ELb0ELi2ELNS0_23SharedExpertScoringFuncE1EEEvPKT_PKbPfiPiS9_iiiiii
	.p2align	8
	.type	_ZN4vllm3moe17topkGatingSoftmaxIDF16_Li16ELi128ELi8ELi32ELb0ELi2ELNS0_23SharedExpertScoringFuncE1EEEvPKT_PKbPfiPiS9_iiiiii,@function
_ZN4vllm3moe17topkGatingSoftmaxIDF16_Li16ELi128ELi8ELi32ELb0ELi2ELNS0_23SharedExpertScoringFuncE1EEEvPKT_PKbPfiPiS9_iiiiii: ; @_ZN4vllm3moe17topkGatingSoftmaxIDF16_Li16ELi128ELi8ELi32ELb0ELi2ELNS0_23SharedExpertScoringFuncE1EEEvPKT_PKbPfiPiS9_iiiiii
; %bb.0:
	s_load_b32 s16, s[0:1], 0x18
	v_bfe_u32 v1, v0, 10, 10
	v_and_b32_e32 v0, 0x3ff, v0
	s_lshl_b32 s18, s15, 5
	s_mov_b32 s2, exec_lo
	s_delay_alu instid0(VALU_DEP_2) | instskip(NEXT) | instid1(VALU_DEP_2)
	v_lshlrev_b32_e32 v43, 2, v1
	v_lshrrev_b32_e32 v44, 3, v0
	s_delay_alu instid0(VALU_DEP_1) | instskip(SKIP_1) | instid1(VALU_DEP_1)
	v_add3_u32 v8, s18, v43, v44
	s_waitcnt lgkmcnt(0)
	v_cmpx_gt_i32_e64 s16, v8
	s_cbranch_execz .LBB181_23
; %bb.1:
	s_clause 0x1
	s_load_b128 s[4:7], s[0:1], 0x0
	s_load_b64 s[12:13], s[0:1], 0x10
	s_waitcnt lgkmcnt(0)
	s_cmp_eq_u64 s[6:7], 0
	s_cbranch_scc1 .LBB181_3
; %bb.2:
	v_ashrrev_i32_e32 v2, 31, v8
	v_add_co_u32 v1, vcc_lo, s6, v8
	s_delay_alu instid0(VALU_DEP_2) | instskip(SKIP_3) | instid1(VALU_DEP_1)
	v_add_co_ci_u32_e32 v2, vcc_lo, s7, v2, vcc_lo
	global_load_u8 v1, v[1:2], off
	s_waitcnt vmcnt(0)
	v_and_b32_e32 v1, 1, v1
	v_cmp_eq_u32_e32 vcc_lo, 1, v1
	s_xor_b32 s2, vcc_lo, -1
	s_delay_alu instid0(SALU_CYCLE_1)
	s_or_not1_b32 s17, s2, exec_lo
	s_branch .LBB181_4
.LBB181_3:
	s_mov_b32 s17, -1
.LBB181_4:
	s_load_b64 s[14:15], s[0:1], 0x40
	v_dual_mov_b32 v10, 0 :: v_dual_and_b32 v9, 7, v0
	s_mov_b32 s2, exec_lo
	s_delay_alu instid0(VALU_DEP_1) | instskip(SKIP_2) | instid1(VALU_DEP_1)
	v_lshlrev_b32_e32 v22, 4, v9
	s_waitcnt lgkmcnt(0)
	v_mul_lo_u32 v1, v8, s15
	v_ashrrev_i32_e32 v2, 31, v1
	s_delay_alu instid0(VALU_DEP_1) | instskip(SKIP_1) | instid1(VALU_DEP_2)
	v_lshlrev_b64 v[0:1], 1, v[1:2]
	v_lshlrev_b32_e32 v2, 5, v9
	v_add_co_u32 v11, vcc_lo, s4, v0
	s_delay_alu instid0(VALU_DEP_3) | instskip(SKIP_1) | instid1(VALU_DEP_2)
	v_add_co_ci_u32_e32 v12, vcc_lo, s5, v1, vcc_lo
	s_load_b128 s[4:7], s[0:1], 0x30
	v_add_co_u32 v4, vcc_lo, v11, v2
	s_delay_alu instid0(VALU_DEP_2)
	v_add_co_ci_u32_e32 v5, vcc_lo, 0, v12, vcc_lo
	s_clause 0x1
	global_load_b128 v[0:3], v[4:5], off offset:16
	global_load_b128 v[4:7], v[4:5], off
	v_cmpx_gt_u32_e32 2, v9
	s_cbranch_execz .LBB181_6
; %bb.5:
	v_lshlrev_b32_e32 v13, 1, v9
	s_mov_b32 s3, 0x3fb8aa3b
	s_delay_alu instid0(VALU_DEP_1) | instskip(SKIP_4) | instid1(VALU_DEP_1)
	v_add_co_u32 v11, vcc_lo, v11, v13
	v_add_co_ci_u32_e32 v12, vcc_lo, 0, v12, vcc_lo
	global_load_u16 v11, v[11:12], off offset:256
	s_waitcnt vmcnt(0)
	v_cvt_f32_f16_e64 v12, -v11
	v_mul_f32_e32 v13, 0x3fb8aa3b, v12
	v_cmp_ngt_f32_e32 vcc_lo, 0xc2ce8ed0, v12
	s_delay_alu instid0(VALU_DEP_2)
	v_fma_mix_f32 v14, -v11, s3, -v13 op_sel_hi:[1,0,0]
	v_rndne_f32_e32 v15, v13
	s_mov_b32 s3, 0x32a5705f
	s_delay_alu instid0(VALU_DEP_2) | instid1(SALU_CYCLE_1)
	v_fma_mix_f32 v11, -v11, s3, v14 op_sel_hi:[1,0,0]
	s_delay_alu instid0(VALU_DEP_2) | instskip(NEXT) | instid1(VALU_DEP_1)
	v_sub_f32_e32 v13, v13, v15
	v_add_f32_e32 v11, v13, v11
	v_cvt_i32_f32_e32 v13, v15
	s_delay_alu instid0(VALU_DEP_2) | instskip(SKIP_2) | instid1(VALU_DEP_1)
	v_exp_f32_e32 v11, v11
	s_waitcnt_depctr 0xfff
	v_ldexp_f32 v11, v11, v13
	v_cndmask_b32_e32 v11, 0, v11, vcc_lo
	v_cmp_nlt_f32_e32 vcc_lo, 0x42b17218, v12
	s_delay_alu instid0(VALU_DEP_2) | instskip(NEXT) | instid1(VALU_DEP_1)
	v_cndmask_b32_e32 v11, 0x7f800000, v11, vcc_lo
	v_add_f32_e32 v13, 1.0, v11
	s_delay_alu instid0(VALU_DEP_1) | instskip(SKIP_1) | instid1(VALU_DEP_2)
	v_div_scale_f32 v12, null, v13, v13, 1.0
	v_div_scale_f32 v15, vcc_lo, 1.0, v13, 1.0
	v_rcp_f32_e32 v14, v12
	s_waitcnt_depctr 0xfff
	v_fma_f32 v11, -v12, v14, 1.0
	s_delay_alu instid0(VALU_DEP_1) | instskip(SKIP_2) | instid1(VALU_DEP_2)
	v_fmac_f32_e32 v14, v11, v14
	s_waitcnt lgkmcnt(0)
	v_mul_lo_u32 v11, v8, s7
	v_mul_f32_e32 v16, v15, v14
	s_delay_alu instid0(VALU_DEP_2) | instskip(NEXT) | instid1(VALU_DEP_2)
	v_add3_u32 v11, v11, s4, v9
	v_fma_f32 v17, -v12, v16, v15
	s_delay_alu instid0(VALU_DEP_1) | instskip(NEXT) | instid1(VALU_DEP_1)
	v_fmac_f32_e32 v16, v17, v14
	v_fma_f32 v15, -v12, v16, v15
	s_delay_alu instid0(VALU_DEP_4) | instskip(NEXT) | instid1(VALU_DEP_2)
	v_ashrrev_i32_e32 v12, 31, v11
	v_div_fmas_f32 v14, v15, v14, v16
	s_delay_alu instid0(VALU_DEP_2) | instskip(NEXT) | instid1(VALU_DEP_2)
	v_lshlrev_b64 v[11:12], 2, v[11:12]
	v_div_fixup_f32 v13, v14, v13, 1.0
	s_delay_alu instid0(VALU_DEP_2) | instskip(NEXT) | instid1(VALU_DEP_3)
	v_add_co_u32 v11, vcc_lo, s12, v11
	v_add_co_ci_u32_e32 v12, vcc_lo, s13, v12, vcc_lo
	global_store_b32 v[11:12], v13, off
.LBB181_6:
	s_or_b32 exec_lo, exec_lo, s2
	s_waitcnt vmcnt(0)
	v_lshrrev_b32_e32 v11, 16, v4
	v_cvt_f32_f16_e32 v24, v4
	v_or_b32_e32 v28, 1, v22
	v_cvt_f32_f16_e32 v26, v5
	v_lshrrev_b32_e32 v5, 16, v5
	v_cvt_f32_f16_e32 v27, v11
	v_cmp_lt_f16_e32 vcc_lo, v4, v11
	v_or_b32_e32 v29, 2, v22
	v_or_b32_e32 v30, 3, v22
	v_cvt_f32_f16_e32 v25, v5
	v_cvt_f32_f16_e32 v23, v6
	v_dual_cndmask_b32 v4, v22, v28 :: v_dual_cndmask_b32 v11, v24, v27
	v_lshrrev_b32_e32 v6, 16, v6
	v_or_b32_e32 v31, 4, v22
	v_or_b32_e32 v32, 5, v22
	v_cvt_f32_f16_e32 v20, v7
	v_cmp_lt_f32_e32 vcc_lo, v11, v26
	v_cvt_f32_f16_e32 v21, v6
	v_lshrrev_b32_e32 v6, 16, v7
	v_or_b32_e32 v33, 6, v22
	v_or_b32_e32 v34, 7, v22
	v_dual_cndmask_b32 v4, v4, v29 :: v_dual_cndmask_b32 v5, v11, v26
	s_delay_alu instid0(VALU_DEP_4)
	v_cvt_f32_f16_e32 v19, v6
	v_cvt_f32_f16_e32 v18, v0
	v_lshrrev_b32_e32 v0, 16, v0
	v_or_b32_e32 v35, 8, v22
	v_cmp_lt_f32_e32 vcc_lo, v5, v25
	v_cvt_f32_f16_e32 v13, v2
	v_lshrrev_b32_e32 v2, 16, v2
	v_cvt_f32_f16_e32 v17, v0
	v_or_b32_e32 v36, 9, v22
	v_dual_cndmask_b32 v4, v4, v30 :: v_dual_cndmask_b32 v5, v5, v25
	v_cvt_f32_f16_e32 v16, v1
	v_lshrrev_b32_e32 v1, 16, v1
	v_cvt_f32_f16_e32 v12, v2
	v_or_b32_e32 v37, 10, v22
	v_cmp_lt_f32_e32 vcc_lo, v5, v23
	v_cvt_f32_f16_e32 v11, v3
	v_cvt_f32_f16_e32 v15, v1
	v_or_b32_e32 v38, 11, v22
	v_lshrrev_b32_e32 v2, 16, v3
	v_cndmask_b32_e32 v5, v5, v23, vcc_lo
	v_cndmask_b32_e32 v4, v4, v31, vcc_lo
	v_or_b32_e32 v39, 12, v22
	v_or_b32_e32 v40, 13, v22
	v_cvt_f32_f16_e32 v7, v2
	v_cmp_lt_f32_e32 vcc_lo, v5, v21
	v_or_b32_e32 v41, 14, v22
	v_or_b32_e32 v42, 15, v22
	v_dual_cndmask_b32 v5, v5, v21 :: v_dual_cndmask_b32 v4, v4, v32
	s_delay_alu instid0(VALU_DEP_1) | instskip(NEXT) | instid1(VALU_DEP_2)
	v_cmp_lt_f32_e32 vcc_lo, v5, v20
	v_dual_cndmask_b32 v4, v4, v33 :: v_dual_cndmask_b32 v5, v5, v20
	s_delay_alu instid0(VALU_DEP_1) | instskip(NEXT) | instid1(VALU_DEP_2)
	v_cmp_lt_f32_e32 vcc_lo, v5, v19
	;; [unrolled: 3-line block ×3, first 2 shown]
	v_cndmask_b32_e32 v0, v4, v35, vcc_lo
	v_cndmask_b32_e32 v4, v5, v18, vcc_lo
	s_delay_alu instid0(VALU_DEP_1) | instskip(SKIP_1) | instid1(VALU_DEP_4)
	v_cmp_lt_f32_e32 vcc_lo, v4, v17
	v_cndmask_b32_e32 v4, v4, v17, vcc_lo
	v_cndmask_b32_e32 v0, v0, v36, vcc_lo
	s_delay_alu instid0(VALU_DEP_2) | instskip(SKIP_1) | instid1(VALU_DEP_3)
	v_cmp_lt_f32_e32 vcc_lo, v4, v16
	v_cndmask_b32_e32 v1, v4, v16, vcc_lo
	v_cndmask_b32_e32 v0, v0, v37, vcc_lo
	s_delay_alu instid0(VALU_DEP_2) | instskip(NEXT) | instid1(VALU_DEP_2)
	v_cmp_lt_f32_e32 vcc_lo, v1, v15
	v_dual_cndmask_b32 v1, v1, v15 :: v_dual_cndmask_b32 v0, v0, v38
	s_delay_alu instid0(VALU_DEP_1) | instskip(NEXT) | instid1(VALU_DEP_2)
	v_cmp_lt_f32_e32 vcc_lo, v1, v13
	v_dual_cndmask_b32 v1, v1, v13 :: v_dual_cndmask_b32 v0, v0, v39
	s_delay_alu instid0(VALU_DEP_1) | instskip(SKIP_1) | instid1(VALU_DEP_3)
	v_cmp_lt_f32_e32 vcc_lo, v1, v12
	v_cndmask_b32_e32 v1, v1, v12, vcc_lo
	v_cndmask_b32_e32 v0, v0, v40, vcc_lo
	s_delay_alu instid0(VALU_DEP_2) | instskip(NEXT) | instid1(VALU_DEP_2)
	v_cmp_lt_f32_e32 vcc_lo, v1, v11
	v_dual_cndmask_b32 v1, v1, v11 :: v_dual_cndmask_b32 v0, v0, v41
	s_delay_alu instid0(VALU_DEP_1) | instskip(NEXT) | instid1(VALU_DEP_2)
	v_cmp_lt_f32_e32 vcc_lo, v1, v7
	v_dual_cndmask_b32 v0, v0, v42 :: v_dual_cndmask_b32 v1, v1, v7
	s_delay_alu instid0(VALU_DEP_1) | instskip(NEXT) | instid1(VALU_DEP_2)
	v_mov_b32_dpp v2, v0 quad_perm:[1,0,3,2] row_mask:0xf bank_mask:0xf
	v_mov_b32_dpp v3, v1 quad_perm:[1,0,3,2] row_mask:0xf bank_mask:0xf
	s_delay_alu instid0(VALU_DEP_2) | instskip(NEXT) | instid1(VALU_DEP_2)
	v_cmp_lt_i32_e32 vcc_lo, v2, v0
	v_cmp_eq_f32_e64 s2, v1, v3
	v_cmp_lt_f32_e64 s3, v1, v3
	s_delay_alu instid0(VALU_DEP_2)
	s_and_b32 s2, s2, vcc_lo
	s_delay_alu instid0(VALU_DEP_1) | instid1(SALU_CYCLE_1)
	s_or_b32 vcc_lo, s3, s2
	v_dual_cndmask_b32 v1, v1, v3 :: v_dual_cndmask_b32 v0, v0, v2
	s_delay_alu instid0(VALU_DEP_1) | instskip(NEXT) | instid1(VALU_DEP_2)
	v_mov_b32_dpp v2, v1 quad_perm:[2,3,0,1] row_mask:0xf bank_mask:0xf
	v_mov_b32_dpp v3, v0 quad_perm:[2,3,0,1] row_mask:0xf bank_mask:0xf
	s_delay_alu instid0(VALU_DEP_2) | instskip(NEXT) | instid1(VALU_DEP_2)
	v_cmp_eq_f32_e32 vcc_lo, v1, v2
	v_cmp_lt_i32_e64 s2, v3, v0
	v_cmp_lt_f32_e64 s3, v1, v2
	s_delay_alu instid0(VALU_DEP_2)
	s_and_b32 s2, vcc_lo, s2
	s_delay_alu instid0(VALU_DEP_1) | instid1(SALU_CYCLE_1)
	s_or_b32 vcc_lo, s3, s2
	v_dual_cndmask_b32 v1, v1, v2 :: v_dual_cndmask_b32 v0, v0, v3
	s_delay_alu instid0(VALU_DEP_1) | instskip(NEXT) | instid1(VALU_DEP_2)
	v_mov_b32_dpp v3, v1 row_half_mirror row_mask:0xf bank_mask:0xf
	v_mov_b32_dpp v2, v0 row_half_mirror row_mask:0xf bank_mask:0xf
	s_delay_alu instid0(VALU_DEP_2) | instskip(NEXT) | instid1(VALU_DEP_2)
	v_cmp_eq_f32_e32 vcc_lo, v1, v3
	v_cmp_lt_i32_e64 s2, v2, v0
	v_cmp_lt_f32_e64 s3, v1, v3
	s_delay_alu instid0(VALU_DEP_2) | instskip(SKIP_1) | instid1(VALU_DEP_2)
	s_and_b32 s2, vcc_lo, s2
	v_cmp_eq_u32_e32 vcc_lo, 0, v9
	s_or_b32 s2, s3, s2
	s_waitcnt lgkmcnt(0)
	s_cmp_gt_i32 s4, 0
	v_cndmask_b32_e64 v14, v1, v3, s2
	s_cselect_b32 s3, -1, 0
	s_cmp_lt_i32 s4, 1
	s_cbranch_scc1 .LBB181_18
; %bb.7:
	s_load_b128 s[8:11], s[0:1], 0x20
	v_mul_lo_u32 v1, v8, s7
	v_mul_lo_u32 v3, v8, s14
	;; [unrolled: 1-line block ×3, first 2 shown]
	v_cndmask_b32_e64 v0, v0, v2, s2
	v_mov_b32_e32 v10, 0
	s_and_saveexec_b32 s2, vcc_lo
	s_cbranch_execz .LBB181_9
; %bb.8:
	v_sub_f32_e32 v10, v14, v14
	v_cmp_le_i32_e64 s0, s5, v0
	v_cmp_gt_i32_e64 s1, s6, v0
	v_subrev_nc_u32_e32 v51, s5, v0
	v_ashrrev_i32_e32 v6, 31, v5
	v_mul_f32_e32 v2, 0x3fb8aa3b, v10
	s_delay_alu instid0(VALU_DEP_4) | instskip(NEXT) | instid1(SALU_CYCLE_1)
	s_and_b32 s0, s0, s1
	s_and_b32 s0, s17, s0
	s_delay_alu instid0(VALU_DEP_1) | instskip(SKIP_2) | instid1(VALU_DEP_3)
	v_rndne_f32_e32 v47, v2
	v_fma_f32 v4, 0x3fb8aa3b, v10, -v2
	v_lshlrev_b64 v[49:50], 2, v[5:6]
	v_sub_f32_e32 v2, v2, v47
	s_delay_alu instid0(VALU_DEP_3) | instskip(NEXT) | instid1(VALU_DEP_1)
	v_fmamk_f32 v4, v10, 0x32a5705f, v4
	v_add_f32_e32 v4, v2, v4
	v_ashrrev_i32_e32 v2, 31, v1
	s_delay_alu instid0(VALU_DEP_2) | instskip(NEXT) | instid1(VALU_DEP_1)
	v_exp_f32_e32 v52, v4
	v_lshlrev_b64 v[45:46], 2, v[1:2]
	v_ashrrev_i32_e32 v4, 31, v3
	v_cvt_i32_f32_e32 v2, v47
	s_delay_alu instid0(VALU_DEP_2) | instskip(SKIP_2) | instid1(VALU_DEP_1)
	v_lshlrev_b64 v[47:48], 2, v[3:4]
	v_cndmask_b32_e64 v4, 0x80, v51, s0
	v_add_co_u32 v45, s0, s12, v45
	v_add_co_ci_u32_e64 v46, s0, s13, v46, s0
	s_delay_alu instid0(TRANS32_DEP_1) | instskip(SKIP_1) | instid1(VALU_DEP_1)
	v_ldexp_f32 v2, v52, v2
	v_cmp_ngt_f32_e64 s0, 0xc2ce8ed0, v10
	v_cndmask_b32_e64 v2, 0, v2, s0
	s_waitcnt lgkmcnt(0)
	v_add_co_u32 v47, s0, s8, v47
	s_delay_alu instid0(VALU_DEP_1) | instskip(SKIP_1) | instid1(VALU_DEP_1)
	v_add_co_ci_u32_e64 v48, s0, s9, v48, s0
	v_cmp_nlt_f32_e64 s0, 0x42b17218, v10
	v_cndmask_b32_e64 v10, 0x7f800000, v2, s0
	v_add_co_u32 v49, s0, s10, v49
	s_delay_alu instid0(VALU_DEP_1)
	v_add_co_ci_u32_e64 v50, s0, s11, v50, s0
	global_store_b32 v[47:48], v4, off
	global_store_b32 v[45:46], v10, off
	;; [unrolled: 1-line block ×3, first 2 shown]
.LBB181_9:
	s_or_b32 exec_lo, exec_lo, s2
	v_ashrrev_i32_e32 v4, 31, v0
	s_mov_b32 s1, exec_lo
	s_delay_alu instid0(VALU_DEP_1) | instskip(NEXT) | instid1(VALU_DEP_1)
	v_lshrrev_b32_e32 v2, 28, v4
	v_add_nc_u32_e32 v2, v0, v2
	s_delay_alu instid0(VALU_DEP_1) | instskip(NEXT) | instid1(VALU_DEP_1)
	v_ashrrev_i32_e32 v2, 4, v2
	v_lshrrev_b32_e32 v6, 29, v2
	s_delay_alu instid0(VALU_DEP_1) | instskip(NEXT) | instid1(VALU_DEP_1)
	v_add_nc_u32_e32 v6, v2, v6
	v_and_b32_e32 v6, -8, v6
	s_delay_alu instid0(VALU_DEP_1) | instskip(NEXT) | instid1(VALU_DEP_1)
	v_sub_nc_u32_e32 v6, v2, v6
	v_cmpx_eq_u32_e64 v9, v6
	s_cbranch_execz .LBB181_11
; %bb.10:
	v_lshrrev_b32_e32 v4, 25, v4
	v_lshlrev_b32_e32 v2, 4, v2
	s_delay_alu instid0(VALU_DEP_2) | instskip(NEXT) | instid1(VALU_DEP_2)
	v_add_nc_u32_e32 v4, v0, v4
	v_sub_nc_u32_e32 v0, v0, v2
	s_delay_alu instid0(VALU_DEP_2) | instskip(NEXT) | instid1(VALU_DEP_1)
	v_ashrrev_i32_e32 v2, 7, v4
	v_lshl_add_u32 v0, v2, 4, v0
	s_delay_alu instid0(VALU_DEP_1) | instskip(NEXT) | instid1(VALU_DEP_1)
	v_cmp_ne_u32_e64 s0, 15, v0
	v_cndmask_b32_e64 v7, 0xff800000, v7, s0
	v_cmp_ne_u32_e64 s0, 14, v0
	s_delay_alu instid0(VALU_DEP_1) | instskip(SKIP_1) | instid1(VALU_DEP_1)
	v_cndmask_b32_e64 v11, 0xff800000, v11, s0
	v_cmp_ne_u32_e64 s0, 13, v0
	v_cndmask_b32_e64 v12, 0xff800000, v12, s0
	v_cmp_ne_u32_e64 s0, 12, v0
	s_delay_alu instid0(VALU_DEP_1) | instskip(SKIP_1) | instid1(VALU_DEP_1)
	v_cndmask_b32_e64 v13, 0xff800000, v13, s0
	;; [unrolled: 5-line block ×7, first 2 shown]
	v_cmp_ne_u32_e64 s0, 1, v0
	v_cndmask_b32_e64 v27, 0xff800000, v27, s0
	v_cmp_ne_u32_e64 s0, 0, v0
	s_delay_alu instid0(VALU_DEP_1)
	v_cndmask_b32_e64 v24, 0xff800000, v24, s0
.LBB181_11:
	s_or_b32 exec_lo, exec_lo, s1
	s_cmp_eq_u32 s4, 1
	s_cbranch_scc1 .LBB181_18
; %bb.12:
	s_add_i32 s18, s18, s16
	v_add_nc_u32_e32 v0, 1, v5
	v_add3_u32 v6, s18, v44, v43
	v_add_nc_u32_e32 v2, 1, v3
	v_add_nc_u32_e32 v4, 1, v1
	s_add_i32 s14, s4, -1
	s_branch .LBB181_14
.LBB181_13:                             ;   in Loop: Header=BB181_14 Depth=1
	s_or_b32 exec_lo, exec_lo, s1
	v_add_nc_u32_e32 v6, s16, v6
	v_add_nc_u32_e32 v0, 1, v0
	;; [unrolled: 1-line block ×4, first 2 shown]
	s_add_i32 s14, s14, -1
	s_delay_alu instid0(SALU_CYCLE_1)
	s_cmp_eq_u32 s14, 0
	s_cbranch_scc1 .LBB181_18
.LBB181_14:                             ; =>This Inner Loop Header: Depth=1
	v_cmp_gt_f32_e64 s0, v27, v24
	s_delay_alu instid0(VALU_DEP_1) | instskip(SKIP_1) | instid1(VALU_DEP_2)
	v_cndmask_b32_e64 v3, v24, v27, s0
	v_cndmask_b32_e64 v1, v22, v28, s0
	v_cmp_gt_f32_e64 s0, v26, v3
	s_delay_alu instid0(VALU_DEP_1) | instskip(NEXT) | instid1(VALU_DEP_3)
	v_cndmask_b32_e64 v3, v3, v26, s0
	v_cndmask_b32_e64 v1, v1, v29, s0
	s_delay_alu instid0(VALU_DEP_2) | instskip(NEXT) | instid1(VALU_DEP_1)
	v_cmp_gt_f32_e64 s0, v25, v3
	v_cndmask_b32_e64 v3, v3, v25, s0
	s_delay_alu instid0(VALU_DEP_3) | instskip(NEXT) | instid1(VALU_DEP_2)
	v_cndmask_b32_e64 v1, v1, v30, s0
	v_cmp_gt_f32_e64 s0, v23, v3
	s_delay_alu instid0(VALU_DEP_1) | instskip(NEXT) | instid1(VALU_DEP_3)
	v_cndmask_b32_e64 v3, v3, v23, s0
	v_cndmask_b32_e64 v1, v1, v31, s0
	s_delay_alu instid0(VALU_DEP_2) | instskip(NEXT) | instid1(VALU_DEP_1)
	v_cmp_gt_f32_e64 s0, v21, v3
	v_cndmask_b32_e64 v3, v3, v21, s0
	s_delay_alu instid0(VALU_DEP_3) | instskip(NEXT) | instid1(VALU_DEP_2)
	;; [unrolled: 9-line block ×6, first 2 shown]
	v_cndmask_b32_e64 v1, v1, v40, s0
	v_cmp_gt_f32_e64 s0, v11, v3
	s_delay_alu instid0(VALU_DEP_1) | instskip(NEXT) | instid1(VALU_DEP_3)
	v_cndmask_b32_e64 v3, v3, v11, s0
	v_cndmask_b32_e64 v1, v1, v41, s0
	s_delay_alu instid0(VALU_DEP_2) | instskip(NEXT) | instid1(VALU_DEP_1)
	v_cmp_gt_f32_e64 s0, v7, v3
	v_cndmask_b32_e64 v1, v1, v42, s0
	v_cndmask_b32_e64 v3, v3, v7, s0
	s_delay_alu instid0(VALU_DEP_2) | instskip(NEXT) | instid1(VALU_DEP_2)
	v_mov_b32_dpp v5, v1 quad_perm:[1,0,3,2] row_mask:0xf bank_mask:0xf
	v_mov_b32_dpp v43, v3 quad_perm:[1,0,3,2] row_mask:0xf bank_mask:0xf
	s_delay_alu instid0(VALU_DEP_2) | instskip(NEXT) | instid1(VALU_DEP_2)
	v_cmp_lt_i32_e64 s0, v5, v1
	v_cmp_eq_f32_e64 s1, v3, v43
	v_cmp_lt_f32_e64 s2, v3, v43
	s_delay_alu instid0(VALU_DEP_2)
	s_and_b32 s0, s1, s0
	s_delay_alu instid0(VALU_DEP_1) | instid1(SALU_CYCLE_1)
	s_or_b32 s0, s2, s0
	s_delay_alu instid0(SALU_CYCLE_1) | instskip(SKIP_1) | instid1(VALU_DEP_2)
	v_cndmask_b32_e64 v3, v3, v43, s0
	v_cndmask_b32_e64 v5, v1, v5, s0
	v_mov_b32_dpp v1, v3 quad_perm:[2,3,0,1] row_mask:0xf bank_mask:0xf
	s_delay_alu instid0(VALU_DEP_2) | instskip(NEXT) | instid1(VALU_DEP_2)
	v_mov_b32_dpp v43, v5 quad_perm:[2,3,0,1] row_mask:0xf bank_mask:0xf
	v_cmp_eq_f32_e64 s0, v3, v1
	s_delay_alu instid0(VALU_DEP_2) | instskip(SKIP_1) | instid1(VALU_DEP_2)
	v_cmp_lt_i32_e64 s1, v43, v5
	v_cmp_lt_f32_e64 s2, v3, v1
	s_and_b32 s0, s0, s1
	s_delay_alu instid0(VALU_DEP_1) | instid1(SALU_CYCLE_1)
	s_or_b32 s0, s2, s0
	s_delay_alu instid0(SALU_CYCLE_1) | instskip(SKIP_1) | instid1(VALU_DEP_2)
	v_cndmask_b32_e64 v1, v3, v1, s0
	v_cndmask_b32_e64 v5, v5, v43, s0
	v_mov_b32_dpp v3, v1 row_half_mirror row_mask:0xf bank_mask:0xf
	s_delay_alu instid0(VALU_DEP_2) | instskip(NEXT) | instid1(VALU_DEP_2)
	v_mov_b32_dpp v43, v5 row_half_mirror row_mask:0xf bank_mask:0xf
	v_cmp_eq_f32_e64 s0, v1, v3
	s_delay_alu instid0(VALU_DEP_2) | instskip(SKIP_1) | instid1(VALU_DEP_2)
	v_cmp_lt_i32_e64 s1, v43, v5
	v_cmp_lt_f32_e64 s2, v1, v3
	s_and_b32 s0, s0, s1
	s_delay_alu instid0(VALU_DEP_1) | instid1(SALU_CYCLE_1)
	s_or_b32 s0, s2, s0
	s_delay_alu instid0(SALU_CYCLE_1)
	v_cndmask_b32_e64 v43, v5, v43, s0
	s_and_saveexec_b32 s2, vcc_lo
	s_cbranch_execz .LBB181_16
; %bb.15:                               ;   in Loop: Header=BB181_14 Depth=1
	v_cndmask_b32_e64 v1, v1, v3, s0
	s_delay_alu instid0(VALU_DEP_2) | instskip(SKIP_4) | instid1(VALU_DEP_4)
	v_cmp_le_i32_e64 s0, s5, v43
	v_cmp_gt_i32_e64 s1, s6, v43
	v_ashrrev_i32_e32 v5, 31, v4
	v_subrev_nc_u32_e32 v51, s5, v43
	v_sub_f32_e32 v50, v1, v14
	s_and_b32 s0, s0, s1
	s_delay_alu instid0(SALU_CYCLE_1) | instskip(NEXT) | instid1(VALU_DEP_1)
	s_and_b32 s0, s17, s0
	v_mul_f32_e32 v1, 0x3fb8aa3b, v50
	s_delay_alu instid0(VALU_DEP_1) | instskip(SKIP_1) | instid1(VALU_DEP_2)
	v_fma_f32 v3, 0x3fb8aa3b, v50, -v1
	v_rndne_f32_e32 v44, v1
	v_fmac_f32_e32 v3, 0x32a5705f, v50
	s_delay_alu instid0(VALU_DEP_2) | instskip(SKIP_2) | instid1(VALU_DEP_3)
	v_sub_f32_e32 v1, v1, v44
	v_cvt_i32_f32_e32 v49, v44
	v_lshlrev_b64 v[44:45], 2, v[4:5]
	v_add_f32_e32 v1, v1, v3
	v_ashrrev_i32_e32 v3, 31, v2
	s_delay_alu instid0(VALU_DEP_2) | instskip(SKIP_1) | instid1(VALU_DEP_2)
	v_exp_f32_e32 v48, v1
	v_ashrrev_i32_e32 v1, 31, v0
	v_lshlrev_b64 v[46:47], 2, v[2:3]
	s_waitcnt_depctr 0xfff
	v_ldexp_f32 v3, v48, v49
	v_lshlrev_b64 v[48:49], 2, v[0:1]
	v_cndmask_b32_e64 v1, 0x80, v51, s0
	v_cmp_ngt_f32_e64 s0, 0xc2ce8ed0, v50
	s_delay_alu instid0(VALU_DEP_1) | instskip(SKIP_1) | instid1(VALU_DEP_1)
	v_cndmask_b32_e64 v3, 0, v3, s0
	v_add_co_u32 v44, s0, s12, v44
	v_add_co_ci_u32_e64 v45, s0, s13, v45, s0
	v_cmp_nlt_f32_e64 s0, 0x42b17218, v50
	s_delay_alu instid0(VALU_DEP_1) | instskip(SKIP_2) | instid1(VALU_DEP_1)
	v_cndmask_b32_e64 v3, 0x7f800000, v3, s0
	s_waitcnt lgkmcnt(0)
	v_add_co_u32 v46, s0, s8, v46
	v_add_co_ci_u32_e64 v47, s0, s9, v47, s0
	s_delay_alu instid0(VALU_DEP_3) | instskip(SKIP_1) | instid1(VALU_DEP_1)
	v_add_f32_e32 v10, v10, v3
	v_add_co_u32 v48, s0, s10, v48
	v_add_co_ci_u32_e64 v49, s0, s11, v49, s0
	global_store_b32 v[44:45], v3, off
	global_store_b32 v[46:47], v1, off
	;; [unrolled: 1-line block ×3, first 2 shown]
.LBB181_16:                             ;   in Loop: Header=BB181_14 Depth=1
	s_or_b32 exec_lo, exec_lo, s2
	s_delay_alu instid0(VALU_DEP_1) | instskip(SKIP_1) | instid1(VALU_DEP_1)
	v_ashrrev_i32_e32 v3, 31, v43
	s_mov_b32 s1, exec_lo
	v_lshrrev_b32_e32 v1, 28, v3
	s_delay_alu instid0(VALU_DEP_1) | instskip(NEXT) | instid1(VALU_DEP_1)
	v_add_nc_u32_e32 v1, v43, v1
	v_ashrrev_i32_e32 v1, 4, v1
	s_delay_alu instid0(VALU_DEP_1) | instskip(NEXT) | instid1(VALU_DEP_1)
	v_lshrrev_b32_e32 v5, 29, v1
	v_add_nc_u32_e32 v5, v1, v5
	s_delay_alu instid0(VALU_DEP_1) | instskip(NEXT) | instid1(VALU_DEP_1)
	v_and_b32_e32 v5, -8, v5
	v_sub_nc_u32_e32 v5, v1, v5
	s_delay_alu instid0(VALU_DEP_1)
	v_cmpx_eq_u32_e64 v9, v5
	s_cbranch_execz .LBB181_13
; %bb.17:                               ;   in Loop: Header=BB181_14 Depth=1
	v_lshrrev_b32_e32 v3, 25, v3
	v_lshlrev_b32_e32 v1, 4, v1
	s_delay_alu instid0(VALU_DEP_2) | instskip(NEXT) | instid1(VALU_DEP_2)
	v_add_nc_u32_e32 v3, v43, v3
	v_sub_nc_u32_e32 v1, v43, v1
	s_delay_alu instid0(VALU_DEP_2) | instskip(NEXT) | instid1(VALU_DEP_1)
	v_ashrrev_i32_e32 v3, 7, v3
	v_lshl_add_u32 v1, v3, 4, v1
	s_delay_alu instid0(VALU_DEP_1) | instskip(NEXT) | instid1(VALU_DEP_1)
	v_cmp_ne_u32_e64 s0, 15, v1
	v_cndmask_b32_e64 v7, 0xff800000, v7, s0
	v_cmp_ne_u32_e64 s0, 14, v1
	s_delay_alu instid0(VALU_DEP_1) | instskip(SKIP_1) | instid1(VALU_DEP_1)
	v_cndmask_b32_e64 v11, 0xff800000, v11, s0
	v_cmp_ne_u32_e64 s0, 13, v1
	v_cndmask_b32_e64 v12, 0xff800000, v12, s0
	v_cmp_ne_u32_e64 s0, 12, v1
	s_delay_alu instid0(VALU_DEP_1) | instskip(SKIP_1) | instid1(VALU_DEP_1)
	v_cndmask_b32_e64 v13, 0xff800000, v13, s0
	;; [unrolled: 5-line block ×7, first 2 shown]
	v_cmp_ne_u32_e64 s0, 1, v1
	v_cndmask_b32_e64 v27, 0xff800000, v27, s0
	v_cmp_ne_u32_e64 s0, 0, v1
	s_delay_alu instid0(VALU_DEP_1)
	v_cndmask_b32_e64 v24, 0xff800000, v24, s0
	s_branch .LBB181_13
.LBB181_18:
	s_delay_alu instid0(VALU_DEP_1) | instskip(SKIP_4) | instid1(VALU_DEP_4)
	v_sub_f32_e32 v5, v25, v14
	v_sub_f32_e32 v0, v24, v14
	;; [unrolled: 1-line block ×5, first 2 shown]
	v_dual_mul_f32 v27, 0x3fb8aa3b, v5 :: v_dual_mul_f32 v2, 0x3fb8aa3b, v0
	s_delay_alu instid0(VALU_DEP_4) | instskip(SKIP_1) | instid1(VALU_DEP_3)
	v_dual_sub_f32 v3, v26, v14 :: v_dual_mul_f32 v4, 0x3fb8aa3b, v1
	v_cmp_ngt_f32_e32 vcc_lo, 0xc2ce8ed0, v0
	v_rndne_f32_e32 v30, v27
	s_delay_alu instid0(VALU_DEP_4) | instskip(NEXT) | instid1(VALU_DEP_4)
	v_fma_f32 v22, 0x3fb8aa3b, v0, -v2
	v_mul_f32_e32 v26, 0x3fb8aa3b, v3
	v_fma_f32 v29, 0x3fb8aa3b, v5, -v27
	v_sub_f32_e32 v6, v23, v14
	v_rndne_f32_e32 v23, v2
	v_fma_f32 v24, 0x3fb8aa3b, v1, -v4
	v_rndne_f32_e32 v25, v4
	v_dual_fmac_f32 v29, 0x32a5705f, v5 :: v_dual_fmac_f32 v22, 0x32a5705f, v0
	s_delay_alu instid0(VALU_DEP_4) | instskip(NEXT) | instid1(VALU_DEP_4)
	v_sub_f32_e32 v2, v2, v23
	v_fmac_f32_e32 v24, 0x32a5705f, v1
	s_delay_alu instid0(VALU_DEP_4) | instskip(SKIP_1) | instid1(VALU_DEP_4)
	v_dual_sub_f32 v4, v4, v25 :: v_dual_sub_f32 v21, v21, v14
	v_cvt_i32_f32_e32 v23, v23
	v_add_f32_e32 v2, v2, v22
	v_fma_f32 v22, 0x3fb8aa3b, v3, -v26
	s_delay_alu instid0(VALU_DEP_4)
	v_add_f32_e32 v4, v4, v24
	v_rndne_f32_e32 v24, v26
	v_cvt_i32_f32_e32 v25, v25
	v_exp_f32_e32 v2, v2
	v_fmac_f32_e32 v22, 0x32a5705f, v3
	v_exp_f32_e32 v4, v4
	v_sub_f32_e32 v26, v26, v24
	v_cvt_i32_f32_e32 v24, v24
	v_sub_f32_e32 v19, v19, v14
	v_sub_f32_e32 v15, v15, v14
	;; [unrolled: 1-line block ×3, first 2 shown]
	v_add_f32_e32 v22, v26, v22
	s_delay_alu instid0(TRANS32_DEP_2) | instskip(SKIP_1) | instid1(TRANS32_DEP_1)
	v_ldexp_f32 v2, v2, v23
	v_sub_f32_e32 v23, v27, v30
	v_ldexp_f32 v4, v4, v25
	s_delay_alu instid0(VALU_DEP_4) | instskip(NEXT) | instid1(VALU_DEP_3)
	v_exp_f32_e32 v22, v22
	v_cndmask_b32_e32 v2, 0, v2, vcc_lo
	v_cmp_ngt_f32_e32 vcc_lo, 0xc2ce8ed0, v1
	s_delay_alu instid0(VALU_DEP_3) | instskip(SKIP_1) | instid1(VALU_DEP_2)
	v_dual_add_f32 v23, v23, v29 :: v_dual_cndmask_b32 v4, 0, v4
	v_cmp_nlt_f32_e32 vcc_lo, 0x42b17218, v0
	v_exp_f32_e32 v23, v23
	v_cndmask_b32_e32 v0, 0x7f800000, v2, vcc_lo
	v_cmp_nlt_f32_e32 vcc_lo, 0x42b17218, v1
	v_cndmask_b32_e32 v1, 0x7f800000, v4, vcc_lo
	s_delay_alu instid0(TRANS32_DEP_2) | instskip(SKIP_1) | instid1(VALU_DEP_2)
	v_ldexp_f32 v4, v22, v24
	v_cmp_ngt_f32_e32 vcc_lo, 0xc2ce8ed0, v3
	v_dual_add_f32 v0, v0, v1 :: v_dual_cndmask_b32 v1, 0, v4
	v_cvt_i32_f32_e32 v4, v30
	v_cmp_nlt_f32_e32 vcc_lo, 0x42b17218, v3
	s_delay_alu instid0(TRANS32_DEP_1) | instid1(VALU_DEP_2)
	v_ldexp_f32 v3, v23, v4
	s_delay_alu instid0(VALU_DEP_4) | instskip(SKIP_3) | instid1(VALU_DEP_4)
	v_cndmask_b32_e32 v1, 0x7f800000, v1, vcc_lo
	v_cmp_ngt_f32_e32 vcc_lo, 0xc2ce8ed0, v5
	v_mul_f32_e32 v28, 0x3fb8aa3b, v6
	v_mul_f32_e32 v4, 0x3fb8aa3b, v21
	v_dual_add_f32 v0, v0, v1 :: v_dual_cndmask_b32 v1, 0, v3
	s_delay_alu instid0(VALU_DEP_3) | instskip(SKIP_1) | instid1(VALU_DEP_4)
	v_fma_f32 v2, 0x3fb8aa3b, v6, -v28
	v_rndne_f32_e32 v22, v28
	v_fma_f32 v3, 0x3fb8aa3b, v21, -v4
	v_rndne_f32_e32 v23, v4
	v_cmp_nlt_f32_e32 vcc_lo, 0x42b17218, v5
	v_fmac_f32_e32 v2, 0x32a5705f, v6
	v_sub_f32_e32 v24, v28, v22
	v_cvt_i32_f32_e32 v5, v22
	v_fmac_f32_e32 v3, 0x32a5705f, v21
	v_dual_cndmask_b32 v1, 0x7f800000, v1 :: v_dual_sub_f32 v4, v4, v23
	s_delay_alu instid0(VALU_DEP_4) | instskip(SKIP_1) | instid1(VALU_DEP_3)
	v_add_f32_e32 v2, v24, v2
	v_cmp_ngt_f32_e32 vcc_lo, 0xc2ce8ed0, v6
	v_add_f32_e32 v0, v0, v1
	s_delay_alu instid0(VALU_DEP_3) | instskip(SKIP_2) | instid1(VALU_DEP_1)
	v_exp_f32_e32 v2, v2
	s_waitcnt_depctr 0xfff
	v_ldexp_f32 v1, v2, v5
	v_dual_add_f32 v2, v4, v3 :: v_dual_cndmask_b32 v1, 0, v1
	s_delay_alu instid0(VALU_DEP_1) | instskip(SKIP_2) | instid1(VALU_DEP_3)
	v_exp_f32_e32 v2, v2
	v_cmp_nlt_f32_e32 vcc_lo, 0x42b17218, v6
	v_cvt_i32_f32_e32 v6, v23
	v_cndmask_b32_e32 v1, 0x7f800000, v1, vcc_lo
	v_cmp_ngt_f32_e32 vcc_lo, 0xc2ce8ed0, v21
	s_delay_alu instid0(VALU_DEP_2) | instskip(SKIP_2) | instid1(VALU_DEP_1)
	v_add_f32_e32 v0, v0, v1
	s_waitcnt_depctr 0xfff
	v_ldexp_f32 v1, v2, v6
	v_cndmask_b32_e32 v1, 0, v1, vcc_lo
	v_cmp_nlt_f32_e32 vcc_lo, 0x42b17218, v21
	v_mul_f32_e32 v21, 0x3fb8aa3b, v15
	s_delay_alu instid0(VALU_DEP_3) | instskip(SKIP_2) | instid1(VALU_DEP_3)
	v_cndmask_b32_e32 v1, 0x7f800000, v1, vcc_lo
	v_mul_f32_e32 v22, 0x3fb8aa3b, v20
	v_cmp_ngt_f32_e32 vcc_lo, 0xc2ce8ed0, v20
	v_add_f32_e32 v0, v0, v1
	s_delay_alu instid0(VALU_DEP_3) | instskip(SKIP_1) | instid1(VALU_DEP_2)
	v_fma_f32 v3, 0x3fb8aa3b, v20, -v22
	v_rndne_f32_e32 v4, v22
	v_fmac_f32_e32 v3, 0x32a5705f, v20
	s_delay_alu instid0(VALU_DEP_2) | instskip(SKIP_1) | instid1(VALU_DEP_2)
	v_sub_f32_e32 v5, v22, v4
	v_cvt_i32_f32_e32 v4, v4
	v_add_f32_e32 v3, v5, v3
	v_mul_f32_e32 v5, 0x3fb8aa3b, v19
	s_delay_alu instid0(VALU_DEP_2) | instskip(NEXT) | instid1(VALU_DEP_1)
	v_exp_f32_e32 v2, v3
	v_fma_f32 v3, 0x3fb8aa3b, v19, -v5
	v_rndne_f32_e32 v6, v5
	s_delay_alu instid0(VALU_DEP_2) | instskip(NEXT) | instid1(VALU_DEP_2)
	v_fmac_f32_e32 v3, 0x32a5705f, v19
	v_sub_f32_e32 v5, v5, v6
	v_cvt_i32_f32_e32 v6, v6
	s_waitcnt_depctr 0xfff
	v_ldexp_f32 v2, v2, v4
	v_add_f32_e32 v3, v5, v3
	v_sub_f32_e32 v5, v17, v14
	v_sub_f32_e32 v16, v16, v14
	s_delay_alu instid0(VALU_DEP_4)
	v_cndmask_b32_e32 v1, 0, v2, vcc_lo
	v_cmp_nlt_f32_e32 vcc_lo, 0x42b17218, v20
	v_sub_f32_e32 v4, v18, v14
	v_exp_f32_e32 v2, v3
	v_mul_f32_e32 v20, 0x3fb8aa3b, v5
	v_cndmask_b32_e32 v1, 0x7f800000, v1, vcc_lo
	s_delay_alu instid0(VALU_DEP_3) | instskip(SKIP_1) | instid1(VALU_DEP_3)
	v_mul_f32_e32 v3, 0x3fb8aa3b, v4
	v_cmp_ngt_f32_e32 vcc_lo, 0xc2ce8ed0, v19
	v_add_f32_e32 v0, v0, v1
	s_delay_alu instid0(VALU_DEP_3) | instskip(SKIP_1) | instid1(TRANS32_DEP_1)
	v_fma_f32 v17, 0x3fb8aa3b, v4, -v3
	v_rndne_f32_e32 v18, v3
	v_ldexp_f32 v1, v2, v6
	v_rndne_f32_e32 v6, v20
	s_delay_alu instid0(VALU_DEP_3) | instskip(NEXT) | instid1(VALU_DEP_3)
	v_dual_fmac_f32 v17, 0x32a5705f, v4 :: v_dual_sub_f32 v2, v3, v18
	v_cndmask_b32_e32 v1, 0, v1, vcc_lo
	v_fma_f32 v3, 0x3fb8aa3b, v5, -v20
	v_cmp_nlt_f32_e32 vcc_lo, 0x42b17218, v19
	v_cvt_i32_f32_e32 v18, v18
	v_dual_add_f32 v2, v2, v17 :: v_dual_sub_f32 v17, v20, v6
	s_delay_alu instid0(VALU_DEP_4) | instskip(SKIP_1) | instid1(VALU_DEP_3)
	v_fmac_f32_e32 v3, 0x32a5705f, v5
	v_mul_f32_e32 v20, 0x3fb8aa3b, v16
	v_exp_f32_e32 v2, v2
	s_delay_alu instid0(VALU_DEP_2) | instskip(NEXT) | instid1(VALU_DEP_2)
	v_add_f32_e32 v3, v17, v3
	v_fma_f32 v17, 0x3fb8aa3b, v16, -v20
	v_rndne_f32_e32 v19, v20
	v_cndmask_b32_e32 v1, 0x7f800000, v1, vcc_lo
	v_cmp_ngt_f32_e32 vcc_lo, 0xc2ce8ed0, v4
	v_exp_f32_e32 v3, v3
	s_delay_alu instid0(VALU_DEP_3) | instskip(NEXT) | instid1(VALU_DEP_3)
	v_dual_fmac_f32 v17, 0x32a5705f, v16 :: v_dual_sub_f32 v20, v20, v19
	v_add_f32_e32 v0, v0, v1
	s_delay_alu instid0(TRANS32_DEP_2)
	v_ldexp_f32 v1, v2, v18
	v_cvt_i32_f32_e32 v2, v6
	v_rndne_f32_e32 v18, v21
	v_add_f32_e32 v6, v20, v17
	v_fma_f32 v17, 0x3fb8aa3b, v15, -v21
	v_cndmask_b32_e32 v1, 0, v1, vcc_lo
	s_delay_alu instid0(TRANS32_DEP_1)
	v_ldexp_f32 v2, v3, v2
	v_cmp_nlt_f32_e32 vcc_lo, 0x42b17218, v4
	v_exp_f32_e32 v3, v6
	v_sub_f32_e32 v6, v21, v18
	v_cvt_i32_f32_e32 v4, v19
	v_fmac_f32_e32 v17, 0x32a5705f, v15
	v_cndmask_b32_e32 v1, 0x7f800000, v1, vcc_lo
	v_cmp_ngt_f32_e32 vcc_lo, 0xc2ce8ed0, v5
	s_delay_alu instid0(VALU_DEP_2) | instskip(NEXT) | instid1(TRANS32_DEP_1)
	v_add_f32_e32 v0, v0, v1
	v_ldexp_f32 v1, v3, v4
	v_cndmask_b32_e32 v2, 0, v2, vcc_lo
	v_cmp_nlt_f32_e32 vcc_lo, 0x42b17218, v5
	v_dual_sub_f32 v4, v13, v14 :: v_dual_mul_f32 v13, 0x3fb8aa3b, v11
	s_delay_alu instid0(VALU_DEP_3) | instskip(SKIP_1) | instid1(VALU_DEP_3)
	v_cndmask_b32_e32 v2, 0x7f800000, v2, vcc_lo
	v_cmp_ngt_f32_e32 vcc_lo, 0xc2ce8ed0, v16
	v_mul_f32_e32 v5, 0x3fb8aa3b, v4
	v_cndmask_b32_e32 v1, 0, v1, vcc_lo
	v_cmp_nlt_f32_e32 vcc_lo, 0x42b17218, v16
	v_add_f32_e32 v0, v0, v2
	v_cvt_i32_f32_e32 v2, v18
	s_delay_alu instid0(VALU_DEP_4) | instskip(SKIP_1) | instid1(VALU_DEP_2)
	v_cndmask_b32_e32 v1, 0x7f800000, v1, vcc_lo
	v_cmp_ngt_f32_e32 vcc_lo, 0xc2ce8ed0, v15
	v_add_f32_e32 v0, v0, v1
	v_fma_f32 v1, 0x3fb8aa3b, v4, -v5
	s_delay_alu instid0(VALU_DEP_1) | instskip(NEXT) | instid1(VALU_DEP_1)
	v_dual_add_f32 v6, v6, v17 :: v_dual_fmac_f32 v1, 0x32a5705f, v4
	v_exp_f32_e32 v3, v6
	v_sub_f32_e32 v6, v12, v14
	v_fma_f32 v14, 0x3fb8aa3b, v11, -v13
	s_delay_alu instid0(VALU_DEP_1) | instskip(SKIP_3) | instid1(VALU_DEP_1)
	v_fmac_f32_e32 v14, 0x32a5705f, v11
	s_waitcnt_depctr 0xfff
	v_ldexp_f32 v2, v3, v2
	v_rndne_f32_e32 v3, v5
	v_dual_cndmask_b32 v2, 0, v2 :: v_dual_sub_f32 v5, v5, v3
	v_cmp_nlt_f32_e32 vcc_lo, 0x42b17218, v15
	v_cvt_i32_f32_e32 v3, v3
	v_rndne_f32_e32 v15, v13
	s_delay_alu instid0(VALU_DEP_4) | instskip(SKIP_1) | instid1(VALU_DEP_2)
	v_dual_add_f32 v1, v5, v1 :: v_dual_cndmask_b32 v2, 0x7f800000, v2
	v_cmp_ngt_f32_e32 vcc_lo, 0xc2ce8ed0, v4
	v_exp_f32_e32 v1, v1
	s_waitcnt_depctr 0xfff
	v_ldexp_f32 v1, v1, v3
	s_delay_alu instid0(VALU_DEP_1) | instskip(NEXT) | instid1(VALU_DEP_1)
	v_dual_mul_f32 v12, 0x3fb8aa3b, v6 :: v_dual_cndmask_b32 v1, 0, v1
	v_rndne_f32_e32 v5, v12
	v_cmp_nlt_f32_e32 vcc_lo, 0x42b17218, v4
	v_add_f32_e32 v0, v0, v2
	v_fma_f32 v2, 0x3fb8aa3b, v6, -v12
	v_cvt_i32_f32_e32 v4, v15
	v_sub_f32_e32 v12, v12, v5
	v_cndmask_b32_e32 v1, 0x7f800000, v1, vcc_lo
	v_cvt_i32_f32_e32 v5, v5
	v_fmac_f32_e32 v2, 0x32a5705f, v6
	s_delay_alu instid0(VALU_DEP_3) | instskip(NEXT) | instid1(VALU_DEP_2)
	v_add_f32_e32 v0, v0, v1
	v_add_f32_e32 v2, v12, v2
	v_sub_f32_e32 v12, v13, v15
	v_mul_f32_e32 v16, 0x3fb8aa3b, v7
	s_delay_alu instid0(VALU_DEP_3) | instskip(NEXT) | instid1(VALU_DEP_2)
	v_exp_f32_e32 v2, v2
	v_add_f32_e32 v3, v12, v14
	s_delay_alu instid0(VALU_DEP_2) | instskip(SKIP_1) | instid1(VALU_DEP_3)
	v_fma_f32 v13, 0x3fb8aa3b, v7, -v16
	v_rndne_f32_e32 v17, v16
	v_exp_f32_e32 v3, v3
	s_delay_alu instid0(VALU_DEP_1) | instskip(SKIP_1) | instid1(TRANS32_DEP_2)
	v_dual_fmac_f32 v13, 0x32a5705f, v7 :: v_dual_sub_f32 v12, v16, v17
	v_cmp_ngt_f32_e32 vcc_lo, 0xc2ce8ed0, v6
	v_ldexp_f32 v2, v2, v5
	s_delay_alu instid0(VALU_DEP_3) | instskip(NEXT) | instid1(VALU_DEP_2)
	v_add_f32_e32 v12, v12, v13
	v_cndmask_b32_e32 v2, 0, v2, vcc_lo
	v_cmp_nlt_f32_e32 vcc_lo, 0x42b17218, v6
	s_delay_alu instid0(TRANS32_DEP_1) | instskip(NEXT) | instid1(VALU_DEP_4)
	v_ldexp_f32 v1, v3, v4
	v_exp_f32_e32 v5, v12
	v_cvt_i32_f32_e32 v3, v17
	v_cndmask_b32_e32 v2, 0x7f800000, v2, vcc_lo
	v_cmp_ngt_f32_e32 vcc_lo, 0xc2ce8ed0, v11
	s_delay_alu instid0(VALU_DEP_2)
	v_dual_add_f32 v0, v0, v2 :: v_dual_cndmask_b32 v1, 0, v1
	v_cmp_nlt_f32_e32 vcc_lo, 0x42b17218, v11
	s_waitcnt_depctr 0xfff
	v_ldexp_f32 v3, v5, v3
	v_cndmask_b32_e32 v1, 0x7f800000, v1, vcc_lo
	v_cmp_ngt_f32_e32 vcc_lo, 0xc2ce8ed0, v7
	s_delay_alu instid0(VALU_DEP_2) | instskip(NEXT) | instid1(VALU_DEP_4)
	v_add_f32_e32 v0, v0, v1
	v_cndmask_b32_e32 v2, 0, v3, vcc_lo
	v_cmp_nlt_f32_e32 vcc_lo, 0x42b17218, v7
	s_delay_alu instid0(VALU_DEP_2) | instskip(SKIP_1) | instid1(VALU_DEP_2)
	v_cndmask_b32_e32 v1, 0x7f800000, v2, vcc_lo
	v_cmp_eq_u32_e32 vcc_lo, 0, v9
	v_add_f32_e32 v0, v0, v1
	s_delay_alu instid0(VALU_DEP_1) | instskip(NEXT) | instid1(VALU_DEP_1)
	v_mov_b32_dpp v1, v0 quad_perm:[1,0,3,2] row_mask:0xf bank_mask:0xf
	v_add_f32_e32 v0, v0, v1
	s_delay_alu instid0(VALU_DEP_1) | instskip(NEXT) | instid1(VALU_DEP_1)
	v_mov_b32_dpp v1, v0 quad_perm:[2,3,0,1] row_mask:0xf bank_mask:0xf
	v_add_f32_e32 v0, v0, v1
	s_delay_alu instid0(VALU_DEP_1)
	v_mov_b32_dpp v1, v0 row_half_mirror row_mask:0xf bank_mask:0xf
	s_and_b32 exec_lo, exec_lo, vcc_lo
	s_cbranch_execz .LBB181_23
; %bb.19:
	s_delay_alu instid0(VALU_DEP_1) | instskip(NEXT) | instid1(VALU_DEP_1)
	v_add_f32_e32 v0, v0, v1
	v_add_f32_e32 v0, v10, v0
	s_delay_alu instid0(VALU_DEP_1)
	v_cmp_neq_f32_e32 vcc_lo, 0, v0
	s_and_b32 exec_lo, exec_lo, vcc_lo
	s_cbranch_execz .LBB181_23
; %bb.20:
	s_and_not1_b32 vcc_lo, exec_lo, s3
	s_cbranch_vccnz .LBB181_23
; %bb.21:
	v_div_scale_f32 v2, null, v0, v0, 1.0
	v_div_scale_f32 v4, vcc_lo, 1.0, v0, 1.0
	s_delay_alu instid0(VALU_DEP_2) | instskip(SKIP_2) | instid1(VALU_DEP_1)
	v_rcp_f32_e32 v3, v2
	s_waitcnt_depctr 0xfff
	v_fma_f32 v1, -v2, v3, 1.0
	v_fmac_f32_e32 v3, v1, v3
	v_mul_lo_u32 v1, v8, s7
	s_delay_alu instid0(VALU_DEP_2) | instskip(NEXT) | instid1(VALU_DEP_1)
	v_mul_f32_e32 v5, v4, v3
	v_fma_f32 v6, -v2, v5, v4
	s_delay_alu instid0(VALU_DEP_1) | instskip(NEXT) | instid1(VALU_DEP_1)
	v_fmac_f32_e32 v5, v6, v3
	v_fma_f32 v4, -v2, v5, v4
	v_ashrrev_i32_e32 v2, 31, v1
	s_delay_alu instid0(VALU_DEP_2) | instskip(NEXT) | instid1(VALU_DEP_2)
	v_div_fmas_f32 v5, v4, v3, v5
	v_lshlrev_b64 v[3:4], 2, v[1:2]
	s_delay_alu instid0(VALU_DEP_2) | instskip(NEXT) | instid1(VALU_DEP_2)
	v_div_fixup_f32 v2, v5, v0, 1.0
	v_add_co_u32 v0, vcc_lo, s12, v3
	s_delay_alu instid0(VALU_DEP_3)
	v_add_co_ci_u32_e32 v1, vcc_lo, s13, v4, vcc_lo
.LBB181_22:                             ; =>This Inner Loop Header: Depth=1
	global_load_b32 v3, v[0:1], off
	s_add_i32 s4, s4, -1
	s_delay_alu instid0(SALU_CYCLE_1)
	s_cmp_lg_u32 s4, 0
	s_waitcnt vmcnt(0)
	v_mul_f32_e32 v3, v2, v3
	global_store_b32 v[0:1], v3, off
	v_add_co_u32 v0, vcc_lo, v0, 4
	v_add_co_ci_u32_e32 v1, vcc_lo, 0, v1, vcc_lo
	s_cbranch_scc1 .LBB181_22
.LBB181_23:
	s_nop 0
	s_sendmsg sendmsg(MSG_DEALLOC_VGPRS)
	s_endpgm
	.section	.rodata,"a",@progbits
	.p2align	6, 0x0
	.amdhsa_kernel _ZN4vllm3moe17topkGatingSoftmaxIDF16_Li16ELi128ELi8ELi32ELb0ELi2ELNS0_23SharedExpertScoringFuncE1EEEvPKT_PKbPfiPiS9_iiiiii
		.amdhsa_group_segment_fixed_size 0
		.amdhsa_private_segment_fixed_size 0
		.amdhsa_kernarg_size 72
		.amdhsa_user_sgpr_count 15
		.amdhsa_user_sgpr_dispatch_ptr 0
		.amdhsa_user_sgpr_queue_ptr 0
		.amdhsa_user_sgpr_kernarg_segment_ptr 1
		.amdhsa_user_sgpr_dispatch_id 0
		.amdhsa_user_sgpr_private_segment_size 0
		.amdhsa_wavefront_size32 1
		.amdhsa_uses_dynamic_stack 0
		.amdhsa_enable_private_segment 0
		.amdhsa_system_sgpr_workgroup_id_x 1
		.amdhsa_system_sgpr_workgroup_id_y 0
		.amdhsa_system_sgpr_workgroup_id_z 0
		.amdhsa_system_sgpr_workgroup_info 0
		.amdhsa_system_vgpr_workitem_id 1
		.amdhsa_next_free_vgpr 53
		.amdhsa_next_free_sgpr 19
		.amdhsa_reserve_vcc 1
		.amdhsa_float_round_mode_32 0
		.amdhsa_float_round_mode_16_64 0
		.amdhsa_float_denorm_mode_32 3
		.amdhsa_float_denorm_mode_16_64 3
		.amdhsa_dx10_clamp 1
		.amdhsa_ieee_mode 1
		.amdhsa_fp16_overflow 0
		.amdhsa_workgroup_processor_mode 1
		.amdhsa_memory_ordered 1
		.amdhsa_forward_progress 0
		.amdhsa_shared_vgpr_count 0
		.amdhsa_exception_fp_ieee_invalid_op 0
		.amdhsa_exception_fp_denorm_src 0
		.amdhsa_exception_fp_ieee_div_zero 0
		.amdhsa_exception_fp_ieee_overflow 0
		.amdhsa_exception_fp_ieee_underflow 0
		.amdhsa_exception_fp_ieee_inexact 0
		.amdhsa_exception_int_div_zero 0
	.end_amdhsa_kernel
	.section	.text._ZN4vllm3moe17topkGatingSoftmaxIDF16_Li16ELi128ELi8ELi32ELb0ELi2ELNS0_23SharedExpertScoringFuncE1EEEvPKT_PKbPfiPiS9_iiiiii,"axG",@progbits,_ZN4vllm3moe17topkGatingSoftmaxIDF16_Li16ELi128ELi8ELi32ELb0ELi2ELNS0_23SharedExpertScoringFuncE1EEEvPKT_PKbPfiPiS9_iiiiii,comdat
.Lfunc_end181:
	.size	_ZN4vllm3moe17topkGatingSoftmaxIDF16_Li16ELi128ELi8ELi32ELb0ELi2ELNS0_23SharedExpertScoringFuncE1EEEvPKT_PKbPfiPiS9_iiiiii, .Lfunc_end181-_ZN4vllm3moe17topkGatingSoftmaxIDF16_Li16ELi128ELi8ELi32ELb0ELi2ELNS0_23SharedExpertScoringFuncE1EEEvPKT_PKbPfiPiS9_iiiiii
                                        ; -- End function
	.section	.AMDGPU.csdata,"",@progbits
; Kernel info:
; codeLenInByte = 5524
; NumSgprs: 21
; NumVgprs: 53
; ScratchSize: 0
; MemoryBound: 0
; FloatMode: 240
; IeeeMode: 1
; LDSByteSize: 0 bytes/workgroup (compile time only)
; SGPRBlocks: 2
; VGPRBlocks: 6
; NumSGPRsForWavesPerEU: 21
; NumVGPRsForWavesPerEU: 53
; Occupancy: 16
; WaveLimiterHint : 0
; COMPUTE_PGM_RSRC2:SCRATCH_EN: 0
; COMPUTE_PGM_RSRC2:USER_SGPR: 15
; COMPUTE_PGM_RSRC2:TRAP_HANDLER: 0
; COMPUTE_PGM_RSRC2:TGID_X_EN: 1
; COMPUTE_PGM_RSRC2:TGID_Y_EN: 0
; COMPUTE_PGM_RSRC2:TGID_Z_EN: 0
; COMPUTE_PGM_RSRC2:TIDIG_COMP_CNT: 1
	.section	.text._ZN4vllm3moe17topkGatingSoftmaxIDF16_Li16ELi128ELi8ELi32ELb1ELi4ELNS0_23SharedExpertScoringFuncE1EEEvPKT_PKbPfiPiS9_iiiiii,"axG",@progbits,_ZN4vllm3moe17topkGatingSoftmaxIDF16_Li16ELi128ELi8ELi32ELb1ELi4ELNS0_23SharedExpertScoringFuncE1EEEvPKT_PKbPfiPiS9_iiiiii,comdat
	.protected	_ZN4vllm3moe17topkGatingSoftmaxIDF16_Li16ELi128ELi8ELi32ELb1ELi4ELNS0_23SharedExpertScoringFuncE1EEEvPKT_PKbPfiPiS9_iiiiii ; -- Begin function _ZN4vllm3moe17topkGatingSoftmaxIDF16_Li16ELi128ELi8ELi32ELb1ELi4ELNS0_23SharedExpertScoringFuncE1EEEvPKT_PKbPfiPiS9_iiiiii
	.globl	_ZN4vllm3moe17topkGatingSoftmaxIDF16_Li16ELi128ELi8ELi32ELb1ELi4ELNS0_23SharedExpertScoringFuncE1EEEvPKT_PKbPfiPiS9_iiiiii
	.p2align	8
	.type	_ZN4vllm3moe17topkGatingSoftmaxIDF16_Li16ELi128ELi8ELi32ELb1ELi4ELNS0_23SharedExpertScoringFuncE1EEEvPKT_PKbPfiPiS9_iiiiii,@function
_ZN4vllm3moe17topkGatingSoftmaxIDF16_Li16ELi128ELi8ELi32ELb1ELi4ELNS0_23SharedExpertScoringFuncE1EEEvPKT_PKbPfiPiS9_iiiiii: ; @_ZN4vllm3moe17topkGatingSoftmaxIDF16_Li16ELi128ELi8ELi32ELb1ELi4ELNS0_23SharedExpertScoringFuncE1EEEvPKT_PKbPfiPiS9_iiiiii
; %bb.0:
	s_load_b32 s16, s[0:1], 0x18
	v_bfe_u32 v1, v0, 10, 10
	v_and_b32_e32 v0, 0x3ff, v0
	s_lshl_b32 s18, s15, 5
	s_mov_b32 s2, exec_lo
	s_delay_alu instid0(VALU_DEP_2) | instskip(NEXT) | instid1(VALU_DEP_2)
	v_lshlrev_b32_e32 v42, 2, v1
	v_lshrrev_b32_e32 v43, 3, v0
	s_delay_alu instid0(VALU_DEP_1) | instskip(SKIP_1) | instid1(VALU_DEP_1)
	v_add3_u32 v8, s18, v42, v43
	s_waitcnt lgkmcnt(0)
	v_cmpx_gt_i32_e64 s16, v8
	s_cbranch_execz .LBB182_22
; %bb.1:
	s_clause 0x1
	s_load_b128 s[4:7], s[0:1], 0x0
	s_load_b64 s[12:13], s[0:1], 0x10
	s_waitcnt lgkmcnt(0)
	s_cmp_eq_u64 s[6:7], 0
	s_cbranch_scc1 .LBB182_3
; %bb.2:
	v_ashrrev_i32_e32 v2, 31, v8
	v_add_co_u32 v1, vcc_lo, s6, v8
	s_delay_alu instid0(VALU_DEP_2) | instskip(SKIP_3) | instid1(VALU_DEP_1)
	v_add_co_ci_u32_e32 v2, vcc_lo, s7, v2, vcc_lo
	global_load_u8 v1, v[1:2], off
	s_waitcnt vmcnt(0)
	v_and_b32_e32 v1, 1, v1
	v_cmp_eq_u32_e32 vcc_lo, 1, v1
	s_xor_b32 s2, vcc_lo, -1
	s_delay_alu instid0(SALU_CYCLE_1)
	s_or_not1_b32 s17, s2, exec_lo
	s_branch .LBB182_4
.LBB182_3:
	s_mov_b32 s17, -1
.LBB182_4:
	s_load_b64 s[14:15], s[0:1], 0x40
	v_and_b32_e32 v9, 7, v0
	s_mov_b32 s2, exec_lo
	s_delay_alu instid0(VALU_DEP_1) | instskip(SKIP_2) | instid1(VALU_DEP_1)
	v_dual_mov_b32 v11, 0 :: v_dual_lshlrev_b32 v10, 4, v9
	s_waitcnt lgkmcnt(0)
	v_mul_lo_u32 v1, v8, s15
	v_ashrrev_i32_e32 v2, 31, v1
	s_delay_alu instid0(VALU_DEP_1) | instskip(SKIP_1) | instid1(VALU_DEP_2)
	v_lshlrev_b64 v[0:1], 1, v[1:2]
	v_lshlrev_b32_e32 v2, 5, v9
	v_add_co_u32 v12, vcc_lo, s4, v0
	s_delay_alu instid0(VALU_DEP_3) | instskip(SKIP_1) | instid1(VALU_DEP_2)
	v_add_co_ci_u32_e32 v13, vcc_lo, s5, v1, vcc_lo
	s_load_b128 s[4:7], s[0:1], 0x30
	v_add_co_u32 v4, vcc_lo, v12, v2
	s_delay_alu instid0(VALU_DEP_2)
	v_add_co_ci_u32_e32 v5, vcc_lo, 0, v13, vcc_lo
	s_clause 0x1
	global_load_b128 v[0:3], v[4:5], off offset:16
	global_load_b128 v[4:7], v[4:5], off
	v_cmpx_gt_u32_e32 4, v9
	s_cbranch_execz .LBB182_6
; %bb.5:
	v_lshlrev_b32_e32 v14, 1, v9
	s_mov_b32 s3, 0x3fb8aa3b
	s_delay_alu instid0(VALU_DEP_1) | instskip(SKIP_4) | instid1(VALU_DEP_1)
	v_add_co_u32 v12, vcc_lo, v12, v14
	v_add_co_ci_u32_e32 v13, vcc_lo, 0, v13, vcc_lo
	global_load_u16 v12, v[12:13], off offset:256
	s_waitcnt vmcnt(0)
	v_cvt_f32_f16_e64 v13, -v12
	v_mul_f32_e32 v14, 0x3fb8aa3b, v13
	v_cmp_ngt_f32_e32 vcc_lo, 0xc2ce8ed0, v13
	s_delay_alu instid0(VALU_DEP_2)
	v_fma_mix_f32 v15, -v12, s3, -v14 op_sel_hi:[1,0,0]
	v_rndne_f32_e32 v16, v14
	s_mov_b32 s3, 0x32a5705f
	s_delay_alu instid0(VALU_DEP_2) | instid1(SALU_CYCLE_1)
	v_fma_mix_f32 v12, -v12, s3, v15 op_sel_hi:[1,0,0]
	s_delay_alu instid0(VALU_DEP_2) | instskip(NEXT) | instid1(VALU_DEP_1)
	v_sub_f32_e32 v14, v14, v16
	v_add_f32_e32 v12, v14, v12
	v_cvt_i32_f32_e32 v14, v16
	s_delay_alu instid0(VALU_DEP_2) | instskip(SKIP_2) | instid1(VALU_DEP_1)
	v_exp_f32_e32 v12, v12
	s_waitcnt_depctr 0xfff
	v_ldexp_f32 v12, v12, v14
	v_cndmask_b32_e32 v12, 0, v12, vcc_lo
	v_cmp_nlt_f32_e32 vcc_lo, 0x42b17218, v13
	s_delay_alu instid0(VALU_DEP_2) | instskip(NEXT) | instid1(VALU_DEP_1)
	v_cndmask_b32_e32 v12, 0x7f800000, v12, vcc_lo
	v_add_f32_e32 v14, 1.0, v12
	s_delay_alu instid0(VALU_DEP_1) | instskip(SKIP_1) | instid1(VALU_DEP_2)
	v_div_scale_f32 v13, null, v14, v14, 1.0
	v_div_scale_f32 v16, vcc_lo, 1.0, v14, 1.0
	v_rcp_f32_e32 v15, v13
	s_waitcnt_depctr 0xfff
	v_fma_f32 v12, -v13, v15, 1.0
	s_delay_alu instid0(VALU_DEP_1) | instskip(SKIP_2) | instid1(VALU_DEP_2)
	v_fmac_f32_e32 v15, v12, v15
	s_waitcnt lgkmcnt(0)
	v_mul_lo_u32 v12, v8, s7
	v_mul_f32_e32 v17, v16, v15
	s_delay_alu instid0(VALU_DEP_2) | instskip(NEXT) | instid1(VALU_DEP_2)
	v_add3_u32 v12, v12, s4, v9
	v_fma_f32 v18, -v13, v17, v16
	s_delay_alu instid0(VALU_DEP_1) | instskip(NEXT) | instid1(VALU_DEP_1)
	v_fmac_f32_e32 v17, v18, v15
	v_fma_f32 v16, -v13, v17, v16
	s_delay_alu instid0(VALU_DEP_4) | instskip(NEXT) | instid1(VALU_DEP_2)
	v_ashrrev_i32_e32 v13, 31, v12
	v_div_fmas_f32 v15, v16, v15, v17
	s_delay_alu instid0(VALU_DEP_2) | instskip(NEXT) | instid1(VALU_DEP_2)
	v_lshlrev_b64 v[12:13], 2, v[12:13]
	v_div_fixup_f32 v14, v15, v14, 1.0
	s_delay_alu instid0(VALU_DEP_2) | instskip(NEXT) | instid1(VALU_DEP_3)
	v_add_co_u32 v12, vcc_lo, s12, v12
	v_add_co_ci_u32_e32 v13, vcc_lo, s13, v13, vcc_lo
	global_store_b32 v[12:13], v14, off
.LBB182_6:
	s_or_b32 exec_lo, exec_lo, s2
	s_waitcnt vmcnt(0)
	v_lshrrev_b32_e32 v15, 16, v4
	v_cvt_f32_f16_e32 v12, v4
	v_or_b32_e32 v13, 1, v10
	v_or_b32_e32 v16, 2, v10
	v_cvt_f32_f16_e32 v19, v6
	v_cvt_f32_f16_e32 v14, v15
	v_cmp_lt_f16_e32 vcc_lo, v4, v15
	v_cvt_f32_f16_e32 v15, v5
	v_lshrrev_b32_e32 v5, 16, v5
	v_lshrrev_b32_e32 v6, 16, v6
	v_or_b32_e32 v20, 4, v10
	v_cndmask_b32_e32 v4, v10, v13, vcc_lo
	v_cvt_f32_f16_e32 v23, v7
	v_cvt_f32_f16_e32 v17, v5
	v_cndmask_b32_e32 v18, v12, v14, vcc_lo
	v_cvt_f32_f16_e32 v21, v6
	v_or_b32_e32 v22, 5, v10
	v_lshrrev_b32_e32 v6, 16, v7
	v_or_b32_e32 v7, 6, v10
	v_cmp_lt_f32_e32 vcc_lo, v18, v15
	v_cvt_f32_f16_e32 v30, v1
	v_lshrrev_b32_e32 v1, 16, v1
	v_cvt_f32_f16_e32 v24, v6
	v_or_b32_e32 v25, 7, v10
	v_dual_cndmask_b32 v4, v4, v16 :: v_dual_cndmask_b32 v5, v18, v15
	v_or_b32_e32 v18, 3, v10
	v_cvt_f32_f16_e32 v32, v1
	v_cvt_f32_f16_e32 v26, v0
	v_lshrrev_b32_e32 v0, 16, v0
	v_cmp_lt_f32_e32 vcc_lo, v5, v17
	v_or_b32_e32 v27, 8, v10
	v_cvt_f32_f16_e32 v34, v2
	v_lshrrev_b32_e32 v2, 16, v2
	v_cvt_f32_f16_e32 v28, v0
	v_dual_cndmask_b32 v5, v5, v17 :: v_dual_cndmask_b32 v4, v4, v18
	v_or_b32_e32 v29, 9, v10
	s_delay_alu instid0(VALU_DEP_4) | instskip(SKIP_1) | instid1(VALU_DEP_4)
	v_cvt_f32_f16_e32 v36, v2
	v_cvt_f32_f16_e32 v38, v3
	v_cmp_lt_f32_e32 vcc_lo, v5, v19
	v_or_b32_e32 v31, 10, v10
	v_lshrrev_b32_e32 v2, 16, v3
	v_or_b32_e32 v33, 11, v10
	v_or_b32_e32 v35, 12, v10
	v_dual_cndmask_b32 v5, v5, v19 :: v_dual_cndmask_b32 v4, v4, v20
	s_delay_alu instid0(VALU_DEP_4) | instskip(SKIP_2) | instid1(VALU_DEP_4)
	v_cvt_f32_f16_e32 v40, v2
	v_or_b32_e32 v37, 13, v10
	v_or_b32_e32 v39, 14, v10
	v_cmp_lt_f32_e32 vcc_lo, v5, v21
	v_or_b32_e32 v41, 15, v10
	v_dual_cndmask_b32 v5, v5, v21 :: v_dual_cndmask_b32 v4, v4, v22
	s_delay_alu instid0(VALU_DEP_1) | instskip(SKIP_1) | instid1(VALU_DEP_3)
	v_cmp_lt_f32_e32 vcc_lo, v5, v23
	v_cndmask_b32_e32 v5, v5, v23, vcc_lo
	v_cndmask_b32_e32 v4, v4, v7, vcc_lo
	s_delay_alu instid0(VALU_DEP_2) | instskip(NEXT) | instid1(VALU_DEP_2)
	v_cmp_lt_f32_e32 vcc_lo, v5, v24
	v_dual_cndmask_b32 v5, v5, v24 :: v_dual_cndmask_b32 v4, v4, v25
	s_delay_alu instid0(VALU_DEP_1) | instskip(NEXT) | instid1(VALU_DEP_2)
	v_cmp_lt_f32_e32 vcc_lo, v5, v26
	v_cndmask_b32_e32 v0, v4, v27, vcc_lo
	v_cndmask_b32_e32 v4, v5, v26, vcc_lo
	s_delay_alu instid0(VALU_DEP_1) | instskip(SKIP_1) | instid1(VALU_DEP_4)
	v_cmp_lt_f32_e32 vcc_lo, v4, v28
	v_cndmask_b32_e32 v4, v4, v28, vcc_lo
	v_cndmask_b32_e32 v0, v0, v29, vcc_lo
	s_delay_alu instid0(VALU_DEP_2) | instskip(SKIP_1) | instid1(VALU_DEP_3)
	v_cmp_lt_f32_e32 vcc_lo, v4, v30
	v_cndmask_b32_e32 v1, v4, v30, vcc_lo
	v_cndmask_b32_e32 v0, v0, v31, vcc_lo
	s_delay_alu instid0(VALU_DEP_2) | instskip(NEXT) | instid1(VALU_DEP_2)
	v_cmp_lt_f32_e32 vcc_lo, v1, v32
	v_dual_cndmask_b32 v1, v1, v32 :: v_dual_cndmask_b32 v0, v0, v33
	s_delay_alu instid0(VALU_DEP_1) | instskip(NEXT) | instid1(VALU_DEP_2)
	v_cmp_lt_f32_e32 vcc_lo, v1, v34
	v_dual_cndmask_b32 v1, v1, v34 :: v_dual_cndmask_b32 v0, v0, v35
	s_delay_alu instid0(VALU_DEP_1) | instskip(NEXT) | instid1(VALU_DEP_2)
	;; [unrolled: 3-line block ×5, first 2 shown]
	v_mov_b32_dpp v3, v1 quad_perm:[1,0,3,2] row_mask:0xf bank_mask:0xf
	v_mov_b32_dpp v2, v0 quad_perm:[1,0,3,2] row_mask:0xf bank_mask:0xf
	s_delay_alu instid0(VALU_DEP_2) | instskip(NEXT) | instid1(VALU_DEP_2)
	v_cmp_eq_f32_e64 s2, v1, v3
	v_cmp_lt_i32_e32 vcc_lo, v2, v0
	v_cmp_lt_f32_e64 s3, v1, v3
	s_delay_alu instid0(VALU_DEP_3)
	s_and_b32 s2, s2, vcc_lo
	s_delay_alu instid0(VALU_DEP_1) | instid1(SALU_CYCLE_1)
	s_or_b32 vcc_lo, s3, s2
	v_dual_cndmask_b32 v1, v1, v3 :: v_dual_cndmask_b32 v0, v0, v2
	s_delay_alu instid0(VALU_DEP_1) | instskip(NEXT) | instid1(VALU_DEP_2)
	v_mov_b32_dpp v2, v1 quad_perm:[2,3,0,1] row_mask:0xf bank_mask:0xf
	v_mov_b32_dpp v3, v0 quad_perm:[2,3,0,1] row_mask:0xf bank_mask:0xf
	s_delay_alu instid0(VALU_DEP_2) | instskip(NEXT) | instid1(VALU_DEP_2)
	v_cmp_eq_f32_e32 vcc_lo, v1, v2
	v_cmp_lt_i32_e64 s2, v3, v0
	v_cmp_lt_f32_e64 s3, v1, v2
	s_delay_alu instid0(VALU_DEP_2)
	s_and_b32 s2, vcc_lo, s2
	s_delay_alu instid0(VALU_DEP_1) | instid1(SALU_CYCLE_1)
	s_or_b32 vcc_lo, s3, s2
	s_waitcnt lgkmcnt(0)
	s_cmp_gt_i32 s4, 0
	v_cndmask_b32_e32 v2, v1, v2, vcc_lo
	v_cndmask_b32_e32 v0, v0, v3, vcc_lo
	v_cmp_eq_u32_e32 vcc_lo, 0, v9
	s_cselect_b32 s3, -1, 0
	s_cmp_lt_i32 s4, 1
	v_mov_b32_dpp v4, v2 row_half_mirror row_mask:0xf bank_mask:0xf
	v_mov_b32_dpp v6, v0 row_half_mirror row_mask:0xf bank_mask:0xf
	s_cbranch_scc1 .LBB182_18
; %bb.7:
	s_load_b128 s[8:11], s[0:1], 0x20
	s_delay_alu instid0(VALU_DEP_2) | instskip(NEXT) | instid1(VALU_DEP_2)
	v_cmp_eq_f32_e64 s0, v2, v4
	v_cmp_lt_i32_e64 s1, v6, v0
	v_cmp_lt_f32_e64 s2, v2, v4
	v_mul_lo_u32 v1, v8, s7
	v_mul_lo_u32 v3, v8, s14
	;; [unrolled: 1-line block ×3, first 2 shown]
	s_and_b32 s0, s0, s1
	v_mov_b32_e32 v11, 0
	s_or_b32 s0, s2, s0
	s_delay_alu instid0(SALU_CYCLE_1)
	v_cndmask_b32_e64 v0, v0, v6, s0
	v_cndmask_b32_e64 v44, v2, v4, s0
	s_and_saveexec_b32 s2, vcc_lo
	s_cbranch_execz .LBB182_9
; %bb.8:
	s_delay_alu instid0(VALU_DEP_1)
	v_sub_f32_e32 v11, v44, v44
	v_cmp_le_i32_e64 s0, s5, v0
	v_cmp_gt_i32_e64 s1, s6, v0
	v_subrev_nc_u32_e32 v51, s5, v0
	v_ashrrev_i32_e32 v6, 31, v5
	v_mul_f32_e32 v2, 0x3fb8aa3b, v11
	s_delay_alu instid0(VALU_DEP_4) | instskip(NEXT) | instid1(SALU_CYCLE_1)
	s_and_b32 s0, s0, s1
	s_and_b32 s0, s17, s0
	s_delay_alu instid0(VALU_DEP_1) | instskip(SKIP_2) | instid1(VALU_DEP_3)
	v_rndne_f32_e32 v47, v2
	v_fma_f32 v4, 0x3fb8aa3b, v11, -v2
	v_lshlrev_b64 v[49:50], 2, v[5:6]
	v_sub_f32_e32 v2, v2, v47
	s_delay_alu instid0(VALU_DEP_3) | instskip(NEXT) | instid1(VALU_DEP_1)
	v_fmamk_f32 v4, v11, 0x32a5705f, v4
	v_add_f32_e32 v4, v2, v4
	v_ashrrev_i32_e32 v2, 31, v1
	s_delay_alu instid0(VALU_DEP_2) | instskip(NEXT) | instid1(VALU_DEP_1)
	v_exp_f32_e32 v52, v4
	v_lshlrev_b64 v[45:46], 2, v[1:2]
	v_ashrrev_i32_e32 v4, 31, v3
	v_cvt_i32_f32_e32 v2, v47
	s_delay_alu instid0(VALU_DEP_2) | instskip(SKIP_2) | instid1(VALU_DEP_1)
	v_lshlrev_b64 v[47:48], 2, v[3:4]
	v_cndmask_b32_e64 v4, 0x80, v51, s0
	v_add_co_u32 v45, s0, s12, v45
	v_add_co_ci_u32_e64 v46, s0, s13, v46, s0
	s_delay_alu instid0(TRANS32_DEP_1) | instskip(SKIP_1) | instid1(VALU_DEP_1)
	v_ldexp_f32 v2, v52, v2
	v_cmp_ngt_f32_e64 s0, 0xc2ce8ed0, v11
	v_cndmask_b32_e64 v2, 0, v2, s0
	s_waitcnt lgkmcnt(0)
	v_add_co_u32 v47, s0, s8, v47
	s_delay_alu instid0(VALU_DEP_1) | instskip(SKIP_1) | instid1(VALU_DEP_1)
	v_add_co_ci_u32_e64 v48, s0, s9, v48, s0
	v_cmp_nlt_f32_e64 s0, 0x42b17218, v11
	v_cndmask_b32_e64 v11, 0x7f800000, v2, s0
	v_add_co_u32 v49, s0, s10, v49
	s_delay_alu instid0(VALU_DEP_1)
	v_add_co_ci_u32_e64 v50, s0, s11, v50, s0
	global_store_b32 v[47:48], v4, off
	global_store_b32 v[45:46], v11, off
	;; [unrolled: 1-line block ×3, first 2 shown]
.LBB182_9:
	s_or_b32 exec_lo, exec_lo, s2
	v_ashrrev_i32_e32 v4, 31, v0
	s_mov_b32 s1, exec_lo
	s_delay_alu instid0(VALU_DEP_1) | instskip(NEXT) | instid1(VALU_DEP_1)
	v_lshrrev_b32_e32 v2, 28, v4
	v_add_nc_u32_e32 v2, v0, v2
	s_delay_alu instid0(VALU_DEP_1) | instskip(NEXT) | instid1(VALU_DEP_1)
	v_ashrrev_i32_e32 v2, 4, v2
	v_lshrrev_b32_e32 v6, 29, v2
	s_delay_alu instid0(VALU_DEP_1) | instskip(NEXT) | instid1(VALU_DEP_1)
	v_add_nc_u32_e32 v6, v2, v6
	v_and_b32_e32 v6, -8, v6
	s_delay_alu instid0(VALU_DEP_1) | instskip(NEXT) | instid1(VALU_DEP_1)
	v_sub_nc_u32_e32 v6, v2, v6
	v_cmpx_eq_u32_e64 v9, v6
	s_cbranch_execz .LBB182_11
; %bb.10:
	v_lshrrev_b32_e32 v4, 25, v4
	v_lshlrev_b32_e32 v2, 4, v2
	s_delay_alu instid0(VALU_DEP_2) | instskip(NEXT) | instid1(VALU_DEP_2)
	v_add_nc_u32_e32 v4, v0, v4
	v_sub_nc_u32_e32 v0, v0, v2
	s_delay_alu instid0(VALU_DEP_2) | instskip(NEXT) | instid1(VALU_DEP_1)
	v_ashrrev_i32_e32 v2, 7, v4
	v_lshl_add_u32 v0, v2, 4, v0
	s_delay_alu instid0(VALU_DEP_1) | instskip(NEXT) | instid1(VALU_DEP_1)
	v_cmp_ne_u32_e64 s0, 15, v0
	v_cndmask_b32_e64 v40, 0xff800000, v40, s0
	v_cmp_ne_u32_e64 s0, 14, v0
	s_delay_alu instid0(VALU_DEP_1) | instskip(SKIP_1) | instid1(VALU_DEP_1)
	v_cndmask_b32_e64 v38, 0xff800000, v38, s0
	v_cmp_ne_u32_e64 s0, 13, v0
	v_cndmask_b32_e64 v36, 0xff800000, v36, s0
	v_cmp_ne_u32_e64 s0, 12, v0
	s_delay_alu instid0(VALU_DEP_1) | instskip(SKIP_1) | instid1(VALU_DEP_1)
	v_cndmask_b32_e64 v34, 0xff800000, v34, s0
	v_cmp_ne_u32_e64 s0, 11, v0
	v_cndmask_b32_e64 v32, 0xff800000, v32, s0
	v_cmp_ne_u32_e64 s0, 10, v0
	s_delay_alu instid0(VALU_DEP_1) | instskip(SKIP_1) | instid1(VALU_DEP_1)
	v_cndmask_b32_e64 v30, 0xff800000, v30, s0
	v_cmp_ne_u32_e64 s0, 9, v0
	v_cndmask_b32_e64 v28, 0xff800000, v28, s0
	v_cmp_ne_u32_e64 s0, 8, v0
	s_delay_alu instid0(VALU_DEP_1) | instskip(SKIP_1) | instid1(VALU_DEP_1)
	v_cndmask_b32_e64 v26, 0xff800000, v26, s0
	v_cmp_ne_u32_e64 s0, 7, v0
	v_cndmask_b32_e64 v24, 0xff800000, v24, s0
	v_cmp_ne_u32_e64 s0, 6, v0
	s_delay_alu instid0(VALU_DEP_1) | instskip(SKIP_1) | instid1(VALU_DEP_1)
	v_cndmask_b32_e64 v23, 0xff800000, v23, s0
	v_cmp_ne_u32_e64 s0, 5, v0
	v_cndmask_b32_e64 v21, 0xff800000, v21, s0
	v_cmp_ne_u32_e64 s0, 4, v0
	s_delay_alu instid0(VALU_DEP_1) | instskip(SKIP_1) | instid1(VALU_DEP_1)
	v_cndmask_b32_e64 v19, 0xff800000, v19, s0
	v_cmp_ne_u32_e64 s0, 3, v0
	v_cndmask_b32_e64 v17, 0xff800000, v17, s0
	v_cmp_ne_u32_e64 s0, 2, v0
	s_delay_alu instid0(VALU_DEP_1) | instskip(SKIP_1) | instid1(VALU_DEP_1)
	v_cndmask_b32_e64 v15, 0xff800000, v15, s0
	v_cmp_ne_u32_e64 s0, 1, v0
	v_cndmask_b32_e64 v14, 0xff800000, v14, s0
	v_cmp_ne_u32_e64 s0, 0, v0
	s_delay_alu instid0(VALU_DEP_1)
	v_cndmask_b32_e64 v12, 0xff800000, v12, s0
.LBB182_11:
	s_or_b32 exec_lo, exec_lo, s1
	s_cmp_eq_u32 s4, 1
	s_cbranch_scc1 .LBB182_18
; %bb.12:
	s_add_i32 s18, s18, s16
	v_add_nc_u32_e32 v0, 1, v5
	v_add3_u32 v6, s18, v43, v42
	v_add_nc_u32_e32 v2, 1, v3
	v_add_nc_u32_e32 v4, 1, v1
	s_add_i32 s14, s4, -1
	s_branch .LBB182_14
.LBB182_13:                             ;   in Loop: Header=BB182_14 Depth=1
	s_or_b32 exec_lo, exec_lo, s1
	v_add_nc_u32_e32 v6, s16, v6
	v_add_nc_u32_e32 v0, 1, v0
	;; [unrolled: 1-line block ×4, first 2 shown]
	s_add_i32 s14, s14, -1
	s_delay_alu instid0(SALU_CYCLE_1)
	s_cmp_eq_u32 s14, 0
	s_cbranch_scc1 .LBB182_18
.LBB182_14:                             ; =>This Inner Loop Header: Depth=1
	v_cmp_gt_f32_e64 s0, v14, v12
	s_delay_alu instid0(VALU_DEP_1) | instskip(SKIP_1) | instid1(VALU_DEP_2)
	v_cndmask_b32_e64 v3, v12, v14, s0
	v_cndmask_b32_e64 v1, v10, v13, s0
	v_cmp_gt_f32_e64 s0, v15, v3
	s_delay_alu instid0(VALU_DEP_1) | instskip(NEXT) | instid1(VALU_DEP_3)
	v_cndmask_b32_e64 v3, v3, v15, s0
	v_cndmask_b32_e64 v1, v1, v16, s0
	s_delay_alu instid0(VALU_DEP_2) | instskip(NEXT) | instid1(VALU_DEP_1)
	v_cmp_gt_f32_e64 s0, v17, v3
	v_cndmask_b32_e64 v3, v3, v17, s0
	s_delay_alu instid0(VALU_DEP_3) | instskip(NEXT) | instid1(VALU_DEP_2)
	v_cndmask_b32_e64 v1, v1, v18, s0
	v_cmp_gt_f32_e64 s0, v19, v3
	s_delay_alu instid0(VALU_DEP_1) | instskip(NEXT) | instid1(VALU_DEP_3)
	v_cndmask_b32_e64 v3, v3, v19, s0
	v_cndmask_b32_e64 v1, v1, v20, s0
	s_delay_alu instid0(VALU_DEP_2) | instskip(NEXT) | instid1(VALU_DEP_1)
	v_cmp_gt_f32_e64 s0, v21, v3
	v_cndmask_b32_e64 v3, v3, v21, s0
	s_delay_alu instid0(VALU_DEP_3) | instskip(NEXT) | instid1(VALU_DEP_2)
	;; [unrolled: 9-line block ×6, first 2 shown]
	v_cndmask_b32_e64 v1, v1, v37, s0
	v_cmp_gt_f32_e64 s0, v38, v3
	s_delay_alu instid0(VALU_DEP_1) | instskip(NEXT) | instid1(VALU_DEP_3)
	v_cndmask_b32_e64 v3, v3, v38, s0
	v_cndmask_b32_e64 v1, v1, v39, s0
	s_delay_alu instid0(VALU_DEP_2) | instskip(NEXT) | instid1(VALU_DEP_1)
	v_cmp_gt_f32_e64 s0, v40, v3
	v_cndmask_b32_e64 v1, v1, v41, s0
	v_cndmask_b32_e64 v3, v3, v40, s0
	s_delay_alu instid0(VALU_DEP_2) | instskip(NEXT) | instid1(VALU_DEP_2)
	v_mov_b32_dpp v5, v1 quad_perm:[1,0,3,2] row_mask:0xf bank_mask:0xf
	v_mov_b32_dpp v42, v3 quad_perm:[1,0,3,2] row_mask:0xf bank_mask:0xf
	s_delay_alu instid0(VALU_DEP_2) | instskip(NEXT) | instid1(VALU_DEP_2)
	v_cmp_lt_i32_e64 s0, v5, v1
	v_cmp_eq_f32_e64 s1, v3, v42
	v_cmp_lt_f32_e64 s2, v3, v42
	s_delay_alu instid0(VALU_DEP_2)
	s_and_b32 s0, s1, s0
	s_delay_alu instid0(VALU_DEP_1) | instid1(SALU_CYCLE_1)
	s_or_b32 s0, s2, s0
	s_delay_alu instid0(SALU_CYCLE_1) | instskip(SKIP_1) | instid1(VALU_DEP_2)
	v_cndmask_b32_e64 v3, v3, v42, s0
	v_cndmask_b32_e64 v5, v1, v5, s0
	v_mov_b32_dpp v1, v3 quad_perm:[2,3,0,1] row_mask:0xf bank_mask:0xf
	s_delay_alu instid0(VALU_DEP_2) | instskip(NEXT) | instid1(VALU_DEP_2)
	v_mov_b32_dpp v42, v5 quad_perm:[2,3,0,1] row_mask:0xf bank_mask:0xf
	v_cmp_eq_f32_e64 s0, v3, v1
	s_delay_alu instid0(VALU_DEP_2) | instskip(SKIP_1) | instid1(VALU_DEP_2)
	v_cmp_lt_i32_e64 s1, v42, v5
	v_cmp_lt_f32_e64 s2, v3, v1
	s_and_b32 s0, s0, s1
	s_delay_alu instid0(VALU_DEP_1) | instid1(SALU_CYCLE_1)
	s_or_b32 s0, s2, s0
	s_delay_alu instid0(SALU_CYCLE_1) | instskip(SKIP_1) | instid1(VALU_DEP_2)
	v_cndmask_b32_e64 v1, v3, v1, s0
	v_cndmask_b32_e64 v5, v5, v42, s0
	v_mov_b32_dpp v3, v1 row_half_mirror row_mask:0xf bank_mask:0xf
	s_delay_alu instid0(VALU_DEP_2) | instskip(NEXT) | instid1(VALU_DEP_2)
	v_mov_b32_dpp v42, v5 row_half_mirror row_mask:0xf bank_mask:0xf
	v_cmp_eq_f32_e64 s0, v1, v3
	s_delay_alu instid0(VALU_DEP_2) | instskip(SKIP_1) | instid1(VALU_DEP_2)
	v_cmp_lt_i32_e64 s1, v42, v5
	v_cmp_lt_f32_e64 s2, v1, v3
	s_and_b32 s0, s0, s1
	s_delay_alu instid0(VALU_DEP_1) | instid1(SALU_CYCLE_1)
	s_or_b32 s0, s2, s0
	s_delay_alu instid0(SALU_CYCLE_1)
	v_cndmask_b32_e64 v42, v5, v42, s0
	s_and_saveexec_b32 s2, vcc_lo
	s_cbranch_execz .LBB182_16
; %bb.15:                               ;   in Loop: Header=BB182_14 Depth=1
	v_cndmask_b32_e64 v1, v1, v3, s0
	s_delay_alu instid0(VALU_DEP_2) | instskip(SKIP_4) | instid1(VALU_DEP_4)
	v_cmp_le_i32_e64 s0, s5, v42
	v_cmp_gt_i32_e64 s1, s6, v42
	v_ashrrev_i32_e32 v5, 31, v4
	v_subrev_nc_u32_e32 v51, s5, v42
	v_sub_f32_e32 v43, v1, v44
	s_and_b32 s0, s0, s1
	s_delay_alu instid0(SALU_CYCLE_1) | instskip(NEXT) | instid1(VALU_DEP_1)
	s_and_b32 s0, s17, s0
	v_mul_f32_e32 v1, 0x3fb8aa3b, v43
	s_delay_alu instid0(VALU_DEP_1) | instskip(SKIP_1) | instid1(VALU_DEP_2)
	v_fma_f32 v3, 0x3fb8aa3b, v43, -v1
	v_rndne_f32_e32 v45, v1
	v_fmac_f32_e32 v3, 0x32a5705f, v43
	s_delay_alu instid0(VALU_DEP_2) | instskip(SKIP_2) | instid1(VALU_DEP_3)
	v_sub_f32_e32 v1, v1, v45
	v_cvt_i32_f32_e32 v50, v45
	v_lshlrev_b64 v[45:46], 2, v[4:5]
	v_add_f32_e32 v1, v1, v3
	v_ashrrev_i32_e32 v3, 31, v2
	s_delay_alu instid0(VALU_DEP_2) | instskip(SKIP_1) | instid1(VALU_DEP_2)
	v_exp_f32_e32 v49, v1
	v_ashrrev_i32_e32 v1, 31, v0
	v_lshlrev_b64 v[47:48], 2, v[2:3]
	s_waitcnt_depctr 0xfff
	v_ldexp_f32 v3, v49, v50
	v_lshlrev_b64 v[49:50], 2, v[0:1]
	v_cndmask_b32_e64 v1, 0x80, v51, s0
	v_cmp_ngt_f32_e64 s0, 0xc2ce8ed0, v43
	s_delay_alu instid0(VALU_DEP_1) | instskip(SKIP_1) | instid1(VALU_DEP_1)
	v_cndmask_b32_e64 v3, 0, v3, s0
	v_add_co_u32 v45, s0, s12, v45
	v_add_co_ci_u32_e64 v46, s0, s13, v46, s0
	v_cmp_nlt_f32_e64 s0, 0x42b17218, v43
	s_delay_alu instid0(VALU_DEP_1) | instskip(SKIP_2) | instid1(VALU_DEP_1)
	v_cndmask_b32_e64 v3, 0x7f800000, v3, s0
	s_waitcnt lgkmcnt(0)
	v_add_co_u32 v47, s0, s8, v47
	v_add_co_ci_u32_e64 v48, s0, s9, v48, s0
	v_add_co_u32 v49, s0, s10, v49
	v_add_f32_e32 v11, v11, v3
	v_add_co_ci_u32_e64 v50, s0, s11, v50, s0
	global_store_b32 v[45:46], v3, off
	global_store_b32 v[47:48], v1, off
	;; [unrolled: 1-line block ×3, first 2 shown]
.LBB182_16:                             ;   in Loop: Header=BB182_14 Depth=1
	s_or_b32 exec_lo, exec_lo, s2
	s_delay_alu instid0(VALU_DEP_1) | instskip(SKIP_1) | instid1(VALU_DEP_1)
	v_ashrrev_i32_e32 v3, 31, v42
	s_mov_b32 s1, exec_lo
	v_lshrrev_b32_e32 v1, 28, v3
	s_delay_alu instid0(VALU_DEP_1) | instskip(NEXT) | instid1(VALU_DEP_1)
	v_add_nc_u32_e32 v1, v42, v1
	v_ashrrev_i32_e32 v1, 4, v1
	s_delay_alu instid0(VALU_DEP_1) | instskip(NEXT) | instid1(VALU_DEP_1)
	v_lshrrev_b32_e32 v5, 29, v1
	v_add_nc_u32_e32 v5, v1, v5
	s_delay_alu instid0(VALU_DEP_1) | instskip(NEXT) | instid1(VALU_DEP_1)
	v_and_b32_e32 v5, -8, v5
	v_sub_nc_u32_e32 v5, v1, v5
	s_delay_alu instid0(VALU_DEP_1)
	v_cmpx_eq_u32_e64 v9, v5
	s_cbranch_execz .LBB182_13
; %bb.17:                               ;   in Loop: Header=BB182_14 Depth=1
	v_lshrrev_b32_e32 v3, 25, v3
	v_lshlrev_b32_e32 v1, 4, v1
	s_delay_alu instid0(VALU_DEP_2) | instskip(NEXT) | instid1(VALU_DEP_2)
	v_add_nc_u32_e32 v3, v42, v3
	v_sub_nc_u32_e32 v1, v42, v1
	s_delay_alu instid0(VALU_DEP_2) | instskip(NEXT) | instid1(VALU_DEP_1)
	v_ashrrev_i32_e32 v3, 7, v3
	v_lshl_add_u32 v1, v3, 4, v1
	s_delay_alu instid0(VALU_DEP_1) | instskip(NEXT) | instid1(VALU_DEP_1)
	v_cmp_ne_u32_e64 s0, 15, v1
	v_cndmask_b32_e64 v40, 0xff800000, v40, s0
	v_cmp_ne_u32_e64 s0, 14, v1
	s_delay_alu instid0(VALU_DEP_1) | instskip(SKIP_1) | instid1(VALU_DEP_1)
	v_cndmask_b32_e64 v38, 0xff800000, v38, s0
	v_cmp_ne_u32_e64 s0, 13, v1
	v_cndmask_b32_e64 v36, 0xff800000, v36, s0
	v_cmp_ne_u32_e64 s0, 12, v1
	s_delay_alu instid0(VALU_DEP_1) | instskip(SKIP_1) | instid1(VALU_DEP_1)
	v_cndmask_b32_e64 v34, 0xff800000, v34, s0
	;; [unrolled: 5-line block ×7, first 2 shown]
	v_cmp_ne_u32_e64 s0, 1, v1
	v_cndmask_b32_e64 v14, 0xff800000, v14, s0
	v_cmp_ne_u32_e64 s0, 0, v1
	s_delay_alu instid0(VALU_DEP_1)
	v_cndmask_b32_e64 v12, 0xff800000, v12, s0
	s_branch .LBB182_13
.LBB182_18:
	v_cmp_eq_u32_e32 vcc_lo, 0, v9
	v_cmp_neq_f32_e64 s0, 0, v11
	s_delay_alu instid0(VALU_DEP_1) | instskip(NEXT) | instid1(SALU_CYCLE_1)
	s_and_b32 s0, vcc_lo, s0
	s_and_b32 exec_lo, exec_lo, s0
	s_cbranch_execz .LBB182_22
; %bb.19:
	s_and_not1_b32 vcc_lo, exec_lo, s3
	s_cbranch_vccnz .LBB182_22
; %bb.20:
	v_div_scale_f32 v1, null, v11, v11, 1.0
	v_div_scale_f32 v3, vcc_lo, 1.0, v11, 1.0
	s_delay_alu instid0(VALU_DEP_2) | instskip(SKIP_2) | instid1(VALU_DEP_1)
	v_rcp_f32_e32 v2, v1
	s_waitcnt_depctr 0xfff
	v_fma_f32 v0, -v1, v2, 1.0
	v_fmac_f32_e32 v2, v0, v2
	v_mul_lo_u32 v0, v8, s7
	s_delay_alu instid0(VALU_DEP_2) | instskip(NEXT) | instid1(VALU_DEP_1)
	v_mul_f32_e32 v4, v3, v2
	v_fma_f32 v5, -v1, v4, v3
	s_delay_alu instid0(VALU_DEP_1) | instskip(NEXT) | instid1(VALU_DEP_1)
	v_fmac_f32_e32 v4, v5, v2
	v_fma_f32 v3, -v1, v4, v3
	v_ashrrev_i32_e32 v1, 31, v0
	s_delay_alu instid0(VALU_DEP_2) | instskip(NEXT) | instid1(VALU_DEP_2)
	v_div_fmas_f32 v2, v3, v2, v4
	v_lshlrev_b64 v[0:1], 2, v[0:1]
	s_delay_alu instid0(VALU_DEP_2) | instskip(NEXT) | instid1(VALU_DEP_2)
	v_div_fixup_f32 v2, v2, v11, 1.0
	v_add_co_u32 v0, vcc_lo, s12, v0
	s_delay_alu instid0(VALU_DEP_3)
	v_add_co_ci_u32_e32 v1, vcc_lo, s13, v1, vcc_lo
.LBB182_21:                             ; =>This Inner Loop Header: Depth=1
	global_load_b32 v3, v[0:1], off
	s_add_i32 s4, s4, -1
	s_delay_alu instid0(SALU_CYCLE_1)
	s_cmp_lg_u32 s4, 0
	s_waitcnt vmcnt(0)
	v_mul_f32_e32 v3, v2, v3
	global_store_b32 v[0:1], v3, off
	v_add_co_u32 v0, vcc_lo, v0, 4
	v_add_co_ci_u32_e32 v1, vcc_lo, 0, v1, vcc_lo
	s_cbranch_scc1 .LBB182_21
.LBB182_22:
	s_nop 0
	s_sendmsg sendmsg(MSG_DEALLOC_VGPRS)
	s_endpgm
	.section	.rodata,"a",@progbits
	.p2align	6, 0x0
	.amdhsa_kernel _ZN4vllm3moe17topkGatingSoftmaxIDF16_Li16ELi128ELi8ELi32ELb1ELi4ELNS0_23SharedExpertScoringFuncE1EEEvPKT_PKbPfiPiS9_iiiiii
		.amdhsa_group_segment_fixed_size 0
		.amdhsa_private_segment_fixed_size 0
		.amdhsa_kernarg_size 72
		.amdhsa_user_sgpr_count 15
		.amdhsa_user_sgpr_dispatch_ptr 0
		.amdhsa_user_sgpr_queue_ptr 0
		.amdhsa_user_sgpr_kernarg_segment_ptr 1
		.amdhsa_user_sgpr_dispatch_id 0
		.amdhsa_user_sgpr_private_segment_size 0
		.amdhsa_wavefront_size32 1
		.amdhsa_uses_dynamic_stack 0
		.amdhsa_enable_private_segment 0
		.amdhsa_system_sgpr_workgroup_id_x 1
		.amdhsa_system_sgpr_workgroup_id_y 0
		.amdhsa_system_sgpr_workgroup_id_z 0
		.amdhsa_system_sgpr_workgroup_info 0
		.amdhsa_system_vgpr_workitem_id 1
		.amdhsa_next_free_vgpr 53
		.amdhsa_next_free_sgpr 19
		.amdhsa_reserve_vcc 1
		.amdhsa_float_round_mode_32 0
		.amdhsa_float_round_mode_16_64 0
		.amdhsa_float_denorm_mode_32 3
		.amdhsa_float_denorm_mode_16_64 3
		.amdhsa_dx10_clamp 1
		.amdhsa_ieee_mode 1
		.amdhsa_fp16_overflow 0
		.amdhsa_workgroup_processor_mode 1
		.amdhsa_memory_ordered 1
		.amdhsa_forward_progress 0
		.amdhsa_shared_vgpr_count 0
		.amdhsa_exception_fp_ieee_invalid_op 0
		.amdhsa_exception_fp_denorm_src 0
		.amdhsa_exception_fp_ieee_div_zero 0
		.amdhsa_exception_fp_ieee_overflow 0
		.amdhsa_exception_fp_ieee_underflow 0
		.amdhsa_exception_fp_ieee_inexact 0
		.amdhsa_exception_int_div_zero 0
	.end_amdhsa_kernel
	.section	.text._ZN4vllm3moe17topkGatingSoftmaxIDF16_Li16ELi128ELi8ELi32ELb1ELi4ELNS0_23SharedExpertScoringFuncE1EEEvPKT_PKbPfiPiS9_iiiiii,"axG",@progbits,_ZN4vllm3moe17topkGatingSoftmaxIDF16_Li16ELi128ELi8ELi32ELb1ELi4ELNS0_23SharedExpertScoringFuncE1EEEvPKT_PKbPfiPiS9_iiiiii,comdat
.Lfunc_end182:
	.size	_ZN4vllm3moe17topkGatingSoftmaxIDF16_Li16ELi128ELi8ELi32ELb1ELi4ELNS0_23SharedExpertScoringFuncE1EEEvPKT_PKbPfiPiS9_iiiiii, .Lfunc_end182-_ZN4vllm3moe17topkGatingSoftmaxIDF16_Li16ELi128ELi8ELi32ELb1ELi4ELNS0_23SharedExpertScoringFuncE1EEEvPKT_PKbPfiPiS9_iiiiii
                                        ; -- End function
	.section	.AMDGPU.csdata,"",@progbits
; Kernel info:
; codeLenInByte = 3800
; NumSgprs: 21
; NumVgprs: 53
; ScratchSize: 0
; MemoryBound: 0
; FloatMode: 240
; IeeeMode: 1
; LDSByteSize: 0 bytes/workgroup (compile time only)
; SGPRBlocks: 2
; VGPRBlocks: 6
; NumSGPRsForWavesPerEU: 21
; NumVGPRsForWavesPerEU: 53
; Occupancy: 16
; WaveLimiterHint : 0
; COMPUTE_PGM_RSRC2:SCRATCH_EN: 0
; COMPUTE_PGM_RSRC2:USER_SGPR: 15
; COMPUTE_PGM_RSRC2:TRAP_HANDLER: 0
; COMPUTE_PGM_RSRC2:TGID_X_EN: 1
; COMPUTE_PGM_RSRC2:TGID_Y_EN: 0
; COMPUTE_PGM_RSRC2:TGID_Z_EN: 0
; COMPUTE_PGM_RSRC2:TIDIG_COMP_CNT: 1
	.section	.text._ZN4vllm3moe17topkGatingSoftmaxIDF16_Li16ELi128ELi8ELi32ELb0ELi4ELNS0_23SharedExpertScoringFuncE1EEEvPKT_PKbPfiPiS9_iiiiii,"axG",@progbits,_ZN4vllm3moe17topkGatingSoftmaxIDF16_Li16ELi128ELi8ELi32ELb0ELi4ELNS0_23SharedExpertScoringFuncE1EEEvPKT_PKbPfiPiS9_iiiiii,comdat
	.protected	_ZN4vllm3moe17topkGatingSoftmaxIDF16_Li16ELi128ELi8ELi32ELb0ELi4ELNS0_23SharedExpertScoringFuncE1EEEvPKT_PKbPfiPiS9_iiiiii ; -- Begin function _ZN4vllm3moe17topkGatingSoftmaxIDF16_Li16ELi128ELi8ELi32ELb0ELi4ELNS0_23SharedExpertScoringFuncE1EEEvPKT_PKbPfiPiS9_iiiiii
	.globl	_ZN4vllm3moe17topkGatingSoftmaxIDF16_Li16ELi128ELi8ELi32ELb0ELi4ELNS0_23SharedExpertScoringFuncE1EEEvPKT_PKbPfiPiS9_iiiiii
	.p2align	8
	.type	_ZN4vllm3moe17topkGatingSoftmaxIDF16_Li16ELi128ELi8ELi32ELb0ELi4ELNS0_23SharedExpertScoringFuncE1EEEvPKT_PKbPfiPiS9_iiiiii,@function
_ZN4vllm3moe17topkGatingSoftmaxIDF16_Li16ELi128ELi8ELi32ELb0ELi4ELNS0_23SharedExpertScoringFuncE1EEEvPKT_PKbPfiPiS9_iiiiii: ; @_ZN4vllm3moe17topkGatingSoftmaxIDF16_Li16ELi128ELi8ELi32ELb0ELi4ELNS0_23SharedExpertScoringFuncE1EEEvPKT_PKbPfiPiS9_iiiiii
; %bb.0:
	s_load_b32 s16, s[0:1], 0x18
	v_bfe_u32 v1, v0, 10, 10
	v_and_b32_e32 v0, 0x3ff, v0
	s_lshl_b32 s18, s15, 5
	s_mov_b32 s2, exec_lo
	s_delay_alu instid0(VALU_DEP_2) | instskip(NEXT) | instid1(VALU_DEP_2)
	v_lshlrev_b32_e32 v43, 2, v1
	v_lshrrev_b32_e32 v44, 3, v0
	s_delay_alu instid0(VALU_DEP_1) | instskip(SKIP_1) | instid1(VALU_DEP_1)
	v_add3_u32 v8, s18, v43, v44
	s_waitcnt lgkmcnt(0)
	v_cmpx_gt_i32_e64 s16, v8
	s_cbranch_execz .LBB183_23
; %bb.1:
	s_clause 0x1
	s_load_b128 s[4:7], s[0:1], 0x0
	s_load_b64 s[12:13], s[0:1], 0x10
	s_waitcnt lgkmcnt(0)
	s_cmp_eq_u64 s[6:7], 0
	s_cbranch_scc1 .LBB183_3
; %bb.2:
	v_ashrrev_i32_e32 v2, 31, v8
	v_add_co_u32 v1, vcc_lo, s6, v8
	s_delay_alu instid0(VALU_DEP_2) | instskip(SKIP_3) | instid1(VALU_DEP_1)
	v_add_co_ci_u32_e32 v2, vcc_lo, s7, v2, vcc_lo
	global_load_u8 v1, v[1:2], off
	s_waitcnt vmcnt(0)
	v_and_b32_e32 v1, 1, v1
	v_cmp_eq_u32_e32 vcc_lo, 1, v1
	s_xor_b32 s2, vcc_lo, -1
	s_delay_alu instid0(SALU_CYCLE_1)
	s_or_not1_b32 s17, s2, exec_lo
	s_branch .LBB183_4
.LBB183_3:
	s_mov_b32 s17, -1
.LBB183_4:
	s_load_b64 s[14:15], s[0:1], 0x40
	v_dual_mov_b32 v10, 0 :: v_dual_and_b32 v9, 7, v0
	s_mov_b32 s2, exec_lo
	s_delay_alu instid0(VALU_DEP_1) | instskip(SKIP_2) | instid1(VALU_DEP_1)
	v_lshlrev_b32_e32 v22, 4, v9
	s_waitcnt lgkmcnt(0)
	v_mul_lo_u32 v1, v8, s15
	v_ashrrev_i32_e32 v2, 31, v1
	s_delay_alu instid0(VALU_DEP_1) | instskip(SKIP_1) | instid1(VALU_DEP_2)
	v_lshlrev_b64 v[0:1], 1, v[1:2]
	v_lshlrev_b32_e32 v2, 5, v9
	v_add_co_u32 v11, vcc_lo, s4, v0
	s_delay_alu instid0(VALU_DEP_3) | instskip(SKIP_1) | instid1(VALU_DEP_2)
	v_add_co_ci_u32_e32 v12, vcc_lo, s5, v1, vcc_lo
	s_load_b128 s[4:7], s[0:1], 0x30
	v_add_co_u32 v4, vcc_lo, v11, v2
	s_delay_alu instid0(VALU_DEP_2)
	v_add_co_ci_u32_e32 v5, vcc_lo, 0, v12, vcc_lo
	s_clause 0x1
	global_load_b128 v[0:3], v[4:5], off offset:16
	global_load_b128 v[4:7], v[4:5], off
	v_cmpx_gt_u32_e32 4, v9
	s_cbranch_execz .LBB183_6
; %bb.5:
	v_lshlrev_b32_e32 v13, 1, v9
	s_mov_b32 s3, 0x3fb8aa3b
	s_delay_alu instid0(VALU_DEP_1) | instskip(SKIP_4) | instid1(VALU_DEP_1)
	v_add_co_u32 v11, vcc_lo, v11, v13
	v_add_co_ci_u32_e32 v12, vcc_lo, 0, v12, vcc_lo
	global_load_u16 v11, v[11:12], off offset:256
	s_waitcnt vmcnt(0)
	v_cvt_f32_f16_e64 v12, -v11
	v_mul_f32_e32 v13, 0x3fb8aa3b, v12
	v_cmp_ngt_f32_e32 vcc_lo, 0xc2ce8ed0, v12
	s_delay_alu instid0(VALU_DEP_2)
	v_fma_mix_f32 v14, -v11, s3, -v13 op_sel_hi:[1,0,0]
	v_rndne_f32_e32 v15, v13
	s_mov_b32 s3, 0x32a5705f
	s_delay_alu instid0(VALU_DEP_2) | instid1(SALU_CYCLE_1)
	v_fma_mix_f32 v11, -v11, s3, v14 op_sel_hi:[1,0,0]
	s_delay_alu instid0(VALU_DEP_2) | instskip(NEXT) | instid1(VALU_DEP_1)
	v_sub_f32_e32 v13, v13, v15
	v_add_f32_e32 v11, v13, v11
	v_cvt_i32_f32_e32 v13, v15
	s_delay_alu instid0(VALU_DEP_2) | instskip(SKIP_2) | instid1(VALU_DEP_1)
	v_exp_f32_e32 v11, v11
	s_waitcnt_depctr 0xfff
	v_ldexp_f32 v11, v11, v13
	v_cndmask_b32_e32 v11, 0, v11, vcc_lo
	v_cmp_nlt_f32_e32 vcc_lo, 0x42b17218, v12
	s_delay_alu instid0(VALU_DEP_2) | instskip(NEXT) | instid1(VALU_DEP_1)
	v_cndmask_b32_e32 v11, 0x7f800000, v11, vcc_lo
	v_add_f32_e32 v13, 1.0, v11
	s_delay_alu instid0(VALU_DEP_1) | instskip(SKIP_1) | instid1(VALU_DEP_2)
	v_div_scale_f32 v12, null, v13, v13, 1.0
	v_div_scale_f32 v15, vcc_lo, 1.0, v13, 1.0
	v_rcp_f32_e32 v14, v12
	s_waitcnt_depctr 0xfff
	v_fma_f32 v11, -v12, v14, 1.0
	s_delay_alu instid0(VALU_DEP_1) | instskip(SKIP_2) | instid1(VALU_DEP_2)
	v_fmac_f32_e32 v14, v11, v14
	s_waitcnt lgkmcnt(0)
	v_mul_lo_u32 v11, v8, s7
	v_mul_f32_e32 v16, v15, v14
	s_delay_alu instid0(VALU_DEP_2) | instskip(NEXT) | instid1(VALU_DEP_2)
	v_add3_u32 v11, v11, s4, v9
	v_fma_f32 v17, -v12, v16, v15
	s_delay_alu instid0(VALU_DEP_1) | instskip(NEXT) | instid1(VALU_DEP_1)
	v_fmac_f32_e32 v16, v17, v14
	v_fma_f32 v15, -v12, v16, v15
	s_delay_alu instid0(VALU_DEP_4) | instskip(NEXT) | instid1(VALU_DEP_2)
	v_ashrrev_i32_e32 v12, 31, v11
	v_div_fmas_f32 v14, v15, v14, v16
	s_delay_alu instid0(VALU_DEP_2) | instskip(NEXT) | instid1(VALU_DEP_2)
	v_lshlrev_b64 v[11:12], 2, v[11:12]
	v_div_fixup_f32 v13, v14, v13, 1.0
	s_delay_alu instid0(VALU_DEP_2) | instskip(NEXT) | instid1(VALU_DEP_3)
	v_add_co_u32 v11, vcc_lo, s12, v11
	v_add_co_ci_u32_e32 v12, vcc_lo, s13, v12, vcc_lo
	global_store_b32 v[11:12], v13, off
.LBB183_6:
	s_or_b32 exec_lo, exec_lo, s2
	s_waitcnt vmcnt(0)
	v_lshrrev_b32_e32 v11, 16, v4
	v_cvt_f32_f16_e32 v24, v4
	v_or_b32_e32 v28, 1, v22
	v_cvt_f32_f16_e32 v26, v5
	v_lshrrev_b32_e32 v5, 16, v5
	v_cvt_f32_f16_e32 v27, v11
	v_cmp_lt_f16_e32 vcc_lo, v4, v11
	v_or_b32_e32 v29, 2, v22
	v_or_b32_e32 v30, 3, v22
	v_cvt_f32_f16_e32 v25, v5
	v_cvt_f32_f16_e32 v23, v6
	v_dual_cndmask_b32 v4, v22, v28 :: v_dual_cndmask_b32 v11, v24, v27
	v_lshrrev_b32_e32 v6, 16, v6
	v_or_b32_e32 v31, 4, v22
	v_or_b32_e32 v32, 5, v22
	v_cvt_f32_f16_e32 v20, v7
	v_cmp_lt_f32_e32 vcc_lo, v11, v26
	v_cvt_f32_f16_e32 v21, v6
	v_lshrrev_b32_e32 v6, 16, v7
	v_or_b32_e32 v33, 6, v22
	v_or_b32_e32 v34, 7, v22
	v_dual_cndmask_b32 v4, v4, v29 :: v_dual_cndmask_b32 v5, v11, v26
	s_delay_alu instid0(VALU_DEP_4)
	v_cvt_f32_f16_e32 v19, v6
	v_cvt_f32_f16_e32 v18, v0
	v_lshrrev_b32_e32 v0, 16, v0
	v_or_b32_e32 v35, 8, v22
	v_cmp_lt_f32_e32 vcc_lo, v5, v25
	v_cvt_f32_f16_e32 v13, v2
	v_lshrrev_b32_e32 v2, 16, v2
	v_cvt_f32_f16_e32 v17, v0
	v_or_b32_e32 v36, 9, v22
	v_dual_cndmask_b32 v4, v4, v30 :: v_dual_cndmask_b32 v5, v5, v25
	v_cvt_f32_f16_e32 v16, v1
	v_lshrrev_b32_e32 v1, 16, v1
	v_cvt_f32_f16_e32 v12, v2
	v_or_b32_e32 v37, 10, v22
	v_cmp_lt_f32_e32 vcc_lo, v5, v23
	v_cvt_f32_f16_e32 v11, v3
	v_cvt_f32_f16_e32 v15, v1
	v_or_b32_e32 v38, 11, v22
	v_lshrrev_b32_e32 v2, 16, v3
	v_cndmask_b32_e32 v5, v5, v23, vcc_lo
	v_cndmask_b32_e32 v4, v4, v31, vcc_lo
	v_or_b32_e32 v39, 12, v22
	v_or_b32_e32 v40, 13, v22
	v_cvt_f32_f16_e32 v7, v2
	v_cmp_lt_f32_e32 vcc_lo, v5, v21
	v_or_b32_e32 v41, 14, v22
	v_or_b32_e32 v42, 15, v22
	v_dual_cndmask_b32 v5, v5, v21 :: v_dual_cndmask_b32 v4, v4, v32
	s_delay_alu instid0(VALU_DEP_1) | instskip(NEXT) | instid1(VALU_DEP_2)
	v_cmp_lt_f32_e32 vcc_lo, v5, v20
	v_dual_cndmask_b32 v4, v4, v33 :: v_dual_cndmask_b32 v5, v5, v20
	s_delay_alu instid0(VALU_DEP_1) | instskip(NEXT) | instid1(VALU_DEP_2)
	v_cmp_lt_f32_e32 vcc_lo, v5, v19
	;; [unrolled: 3-line block ×3, first 2 shown]
	v_cndmask_b32_e32 v0, v4, v35, vcc_lo
	v_cndmask_b32_e32 v4, v5, v18, vcc_lo
	s_delay_alu instid0(VALU_DEP_1) | instskip(SKIP_1) | instid1(VALU_DEP_4)
	v_cmp_lt_f32_e32 vcc_lo, v4, v17
	v_cndmask_b32_e32 v4, v4, v17, vcc_lo
	v_cndmask_b32_e32 v0, v0, v36, vcc_lo
	s_delay_alu instid0(VALU_DEP_2) | instskip(SKIP_1) | instid1(VALU_DEP_3)
	v_cmp_lt_f32_e32 vcc_lo, v4, v16
	v_cndmask_b32_e32 v1, v4, v16, vcc_lo
	v_cndmask_b32_e32 v0, v0, v37, vcc_lo
	s_delay_alu instid0(VALU_DEP_2) | instskip(NEXT) | instid1(VALU_DEP_2)
	v_cmp_lt_f32_e32 vcc_lo, v1, v15
	v_dual_cndmask_b32 v1, v1, v15 :: v_dual_cndmask_b32 v0, v0, v38
	s_delay_alu instid0(VALU_DEP_1) | instskip(NEXT) | instid1(VALU_DEP_2)
	v_cmp_lt_f32_e32 vcc_lo, v1, v13
	v_dual_cndmask_b32 v1, v1, v13 :: v_dual_cndmask_b32 v0, v0, v39
	s_delay_alu instid0(VALU_DEP_1) | instskip(SKIP_1) | instid1(VALU_DEP_3)
	v_cmp_lt_f32_e32 vcc_lo, v1, v12
	v_cndmask_b32_e32 v1, v1, v12, vcc_lo
	v_cndmask_b32_e32 v0, v0, v40, vcc_lo
	s_delay_alu instid0(VALU_DEP_2) | instskip(NEXT) | instid1(VALU_DEP_2)
	v_cmp_lt_f32_e32 vcc_lo, v1, v11
	v_dual_cndmask_b32 v1, v1, v11 :: v_dual_cndmask_b32 v0, v0, v41
	s_delay_alu instid0(VALU_DEP_1) | instskip(NEXT) | instid1(VALU_DEP_2)
	v_cmp_lt_f32_e32 vcc_lo, v1, v7
	v_dual_cndmask_b32 v0, v0, v42 :: v_dual_cndmask_b32 v1, v1, v7
	s_delay_alu instid0(VALU_DEP_1) | instskip(NEXT) | instid1(VALU_DEP_2)
	v_mov_b32_dpp v2, v0 quad_perm:[1,0,3,2] row_mask:0xf bank_mask:0xf
	v_mov_b32_dpp v3, v1 quad_perm:[1,0,3,2] row_mask:0xf bank_mask:0xf
	s_delay_alu instid0(VALU_DEP_2) | instskip(NEXT) | instid1(VALU_DEP_2)
	v_cmp_lt_i32_e32 vcc_lo, v2, v0
	v_cmp_eq_f32_e64 s2, v1, v3
	v_cmp_lt_f32_e64 s3, v1, v3
	s_delay_alu instid0(VALU_DEP_2)
	s_and_b32 s2, s2, vcc_lo
	s_delay_alu instid0(VALU_DEP_1) | instid1(SALU_CYCLE_1)
	s_or_b32 vcc_lo, s3, s2
	v_dual_cndmask_b32 v1, v1, v3 :: v_dual_cndmask_b32 v0, v0, v2
	s_delay_alu instid0(VALU_DEP_1) | instskip(NEXT) | instid1(VALU_DEP_2)
	v_mov_b32_dpp v2, v1 quad_perm:[2,3,0,1] row_mask:0xf bank_mask:0xf
	v_mov_b32_dpp v3, v0 quad_perm:[2,3,0,1] row_mask:0xf bank_mask:0xf
	s_delay_alu instid0(VALU_DEP_2) | instskip(NEXT) | instid1(VALU_DEP_2)
	v_cmp_eq_f32_e32 vcc_lo, v1, v2
	v_cmp_lt_i32_e64 s2, v3, v0
	v_cmp_lt_f32_e64 s3, v1, v2
	s_delay_alu instid0(VALU_DEP_2)
	s_and_b32 s2, vcc_lo, s2
	s_delay_alu instid0(VALU_DEP_1) | instid1(SALU_CYCLE_1)
	s_or_b32 vcc_lo, s3, s2
	v_dual_cndmask_b32 v1, v1, v2 :: v_dual_cndmask_b32 v0, v0, v3
	s_delay_alu instid0(VALU_DEP_1) | instskip(NEXT) | instid1(VALU_DEP_2)
	v_mov_b32_dpp v3, v1 row_half_mirror row_mask:0xf bank_mask:0xf
	v_mov_b32_dpp v2, v0 row_half_mirror row_mask:0xf bank_mask:0xf
	s_delay_alu instid0(VALU_DEP_2) | instskip(NEXT) | instid1(VALU_DEP_2)
	v_cmp_eq_f32_e32 vcc_lo, v1, v3
	v_cmp_lt_i32_e64 s2, v2, v0
	v_cmp_lt_f32_e64 s3, v1, v3
	s_delay_alu instid0(VALU_DEP_2) | instskip(SKIP_1) | instid1(VALU_DEP_2)
	s_and_b32 s2, vcc_lo, s2
	v_cmp_eq_u32_e32 vcc_lo, 0, v9
	s_or_b32 s2, s3, s2
	s_waitcnt lgkmcnt(0)
	s_cmp_gt_i32 s4, 0
	v_cndmask_b32_e64 v14, v1, v3, s2
	s_cselect_b32 s3, -1, 0
	s_cmp_lt_i32 s4, 1
	s_cbranch_scc1 .LBB183_18
; %bb.7:
	s_load_b128 s[8:11], s[0:1], 0x20
	v_mul_lo_u32 v1, v8, s7
	v_mul_lo_u32 v3, v8, s14
	;; [unrolled: 1-line block ×3, first 2 shown]
	v_cndmask_b32_e64 v0, v0, v2, s2
	v_mov_b32_e32 v10, 0
	s_and_saveexec_b32 s2, vcc_lo
	s_cbranch_execz .LBB183_9
; %bb.8:
	v_sub_f32_e32 v10, v14, v14
	v_cmp_le_i32_e64 s0, s5, v0
	v_cmp_gt_i32_e64 s1, s6, v0
	v_subrev_nc_u32_e32 v51, s5, v0
	v_ashrrev_i32_e32 v6, 31, v5
	v_mul_f32_e32 v2, 0x3fb8aa3b, v10
	s_delay_alu instid0(VALU_DEP_4) | instskip(NEXT) | instid1(SALU_CYCLE_1)
	s_and_b32 s0, s0, s1
	s_and_b32 s0, s17, s0
	s_delay_alu instid0(VALU_DEP_1) | instskip(SKIP_2) | instid1(VALU_DEP_3)
	v_rndne_f32_e32 v47, v2
	v_fma_f32 v4, 0x3fb8aa3b, v10, -v2
	v_lshlrev_b64 v[49:50], 2, v[5:6]
	v_sub_f32_e32 v2, v2, v47
	s_delay_alu instid0(VALU_DEP_3) | instskip(NEXT) | instid1(VALU_DEP_1)
	v_fmamk_f32 v4, v10, 0x32a5705f, v4
	v_add_f32_e32 v4, v2, v4
	v_ashrrev_i32_e32 v2, 31, v1
	s_delay_alu instid0(VALU_DEP_2) | instskip(NEXT) | instid1(VALU_DEP_1)
	v_exp_f32_e32 v52, v4
	v_lshlrev_b64 v[45:46], 2, v[1:2]
	v_ashrrev_i32_e32 v4, 31, v3
	v_cvt_i32_f32_e32 v2, v47
	s_delay_alu instid0(VALU_DEP_2) | instskip(SKIP_2) | instid1(VALU_DEP_1)
	v_lshlrev_b64 v[47:48], 2, v[3:4]
	v_cndmask_b32_e64 v4, 0x80, v51, s0
	v_add_co_u32 v45, s0, s12, v45
	v_add_co_ci_u32_e64 v46, s0, s13, v46, s0
	s_delay_alu instid0(TRANS32_DEP_1) | instskip(SKIP_1) | instid1(VALU_DEP_1)
	v_ldexp_f32 v2, v52, v2
	v_cmp_ngt_f32_e64 s0, 0xc2ce8ed0, v10
	v_cndmask_b32_e64 v2, 0, v2, s0
	s_waitcnt lgkmcnt(0)
	v_add_co_u32 v47, s0, s8, v47
	s_delay_alu instid0(VALU_DEP_1) | instskip(SKIP_1) | instid1(VALU_DEP_1)
	v_add_co_ci_u32_e64 v48, s0, s9, v48, s0
	v_cmp_nlt_f32_e64 s0, 0x42b17218, v10
	v_cndmask_b32_e64 v10, 0x7f800000, v2, s0
	v_add_co_u32 v49, s0, s10, v49
	s_delay_alu instid0(VALU_DEP_1)
	v_add_co_ci_u32_e64 v50, s0, s11, v50, s0
	global_store_b32 v[47:48], v4, off
	global_store_b32 v[45:46], v10, off
	;; [unrolled: 1-line block ×3, first 2 shown]
.LBB183_9:
	s_or_b32 exec_lo, exec_lo, s2
	v_ashrrev_i32_e32 v4, 31, v0
	s_mov_b32 s1, exec_lo
	s_delay_alu instid0(VALU_DEP_1) | instskip(NEXT) | instid1(VALU_DEP_1)
	v_lshrrev_b32_e32 v2, 28, v4
	v_add_nc_u32_e32 v2, v0, v2
	s_delay_alu instid0(VALU_DEP_1) | instskip(NEXT) | instid1(VALU_DEP_1)
	v_ashrrev_i32_e32 v2, 4, v2
	v_lshrrev_b32_e32 v6, 29, v2
	s_delay_alu instid0(VALU_DEP_1) | instskip(NEXT) | instid1(VALU_DEP_1)
	v_add_nc_u32_e32 v6, v2, v6
	v_and_b32_e32 v6, -8, v6
	s_delay_alu instid0(VALU_DEP_1) | instskip(NEXT) | instid1(VALU_DEP_1)
	v_sub_nc_u32_e32 v6, v2, v6
	v_cmpx_eq_u32_e64 v9, v6
	s_cbranch_execz .LBB183_11
; %bb.10:
	v_lshrrev_b32_e32 v4, 25, v4
	v_lshlrev_b32_e32 v2, 4, v2
	s_delay_alu instid0(VALU_DEP_2) | instskip(NEXT) | instid1(VALU_DEP_2)
	v_add_nc_u32_e32 v4, v0, v4
	v_sub_nc_u32_e32 v0, v0, v2
	s_delay_alu instid0(VALU_DEP_2) | instskip(NEXT) | instid1(VALU_DEP_1)
	v_ashrrev_i32_e32 v2, 7, v4
	v_lshl_add_u32 v0, v2, 4, v0
	s_delay_alu instid0(VALU_DEP_1) | instskip(NEXT) | instid1(VALU_DEP_1)
	v_cmp_ne_u32_e64 s0, 15, v0
	v_cndmask_b32_e64 v7, 0xff800000, v7, s0
	v_cmp_ne_u32_e64 s0, 14, v0
	s_delay_alu instid0(VALU_DEP_1) | instskip(SKIP_1) | instid1(VALU_DEP_1)
	v_cndmask_b32_e64 v11, 0xff800000, v11, s0
	v_cmp_ne_u32_e64 s0, 13, v0
	v_cndmask_b32_e64 v12, 0xff800000, v12, s0
	v_cmp_ne_u32_e64 s0, 12, v0
	s_delay_alu instid0(VALU_DEP_1) | instskip(SKIP_1) | instid1(VALU_DEP_1)
	v_cndmask_b32_e64 v13, 0xff800000, v13, s0
	;; [unrolled: 5-line block ×7, first 2 shown]
	v_cmp_ne_u32_e64 s0, 1, v0
	v_cndmask_b32_e64 v27, 0xff800000, v27, s0
	v_cmp_ne_u32_e64 s0, 0, v0
	s_delay_alu instid0(VALU_DEP_1)
	v_cndmask_b32_e64 v24, 0xff800000, v24, s0
.LBB183_11:
	s_or_b32 exec_lo, exec_lo, s1
	s_cmp_eq_u32 s4, 1
	s_cbranch_scc1 .LBB183_18
; %bb.12:
	s_add_i32 s18, s18, s16
	v_add_nc_u32_e32 v0, 1, v5
	v_add3_u32 v6, s18, v44, v43
	v_add_nc_u32_e32 v2, 1, v3
	v_add_nc_u32_e32 v4, 1, v1
	s_add_i32 s14, s4, -1
	s_branch .LBB183_14
.LBB183_13:                             ;   in Loop: Header=BB183_14 Depth=1
	s_or_b32 exec_lo, exec_lo, s1
	v_add_nc_u32_e32 v6, s16, v6
	v_add_nc_u32_e32 v0, 1, v0
	;; [unrolled: 1-line block ×4, first 2 shown]
	s_add_i32 s14, s14, -1
	s_delay_alu instid0(SALU_CYCLE_1)
	s_cmp_eq_u32 s14, 0
	s_cbranch_scc1 .LBB183_18
.LBB183_14:                             ; =>This Inner Loop Header: Depth=1
	v_cmp_gt_f32_e64 s0, v27, v24
	s_delay_alu instid0(VALU_DEP_1) | instskip(SKIP_1) | instid1(VALU_DEP_2)
	v_cndmask_b32_e64 v3, v24, v27, s0
	v_cndmask_b32_e64 v1, v22, v28, s0
	v_cmp_gt_f32_e64 s0, v26, v3
	s_delay_alu instid0(VALU_DEP_1) | instskip(NEXT) | instid1(VALU_DEP_3)
	v_cndmask_b32_e64 v3, v3, v26, s0
	v_cndmask_b32_e64 v1, v1, v29, s0
	s_delay_alu instid0(VALU_DEP_2) | instskip(NEXT) | instid1(VALU_DEP_1)
	v_cmp_gt_f32_e64 s0, v25, v3
	v_cndmask_b32_e64 v3, v3, v25, s0
	s_delay_alu instid0(VALU_DEP_3) | instskip(NEXT) | instid1(VALU_DEP_2)
	v_cndmask_b32_e64 v1, v1, v30, s0
	v_cmp_gt_f32_e64 s0, v23, v3
	s_delay_alu instid0(VALU_DEP_1) | instskip(NEXT) | instid1(VALU_DEP_3)
	v_cndmask_b32_e64 v3, v3, v23, s0
	v_cndmask_b32_e64 v1, v1, v31, s0
	s_delay_alu instid0(VALU_DEP_2) | instskip(NEXT) | instid1(VALU_DEP_1)
	v_cmp_gt_f32_e64 s0, v21, v3
	v_cndmask_b32_e64 v3, v3, v21, s0
	s_delay_alu instid0(VALU_DEP_3) | instskip(NEXT) | instid1(VALU_DEP_2)
	v_cndmask_b32_e64 v1, v1, v32, s0
	v_cmp_gt_f32_e64 s0, v20, v3
	s_delay_alu instid0(VALU_DEP_1) | instskip(NEXT) | instid1(VALU_DEP_3)
	v_cndmask_b32_e64 v3, v3, v20, s0
	v_cndmask_b32_e64 v1, v1, v33, s0
	s_delay_alu instid0(VALU_DEP_2) | instskip(NEXT) | instid1(VALU_DEP_1)
	v_cmp_gt_f32_e64 s0, v19, v3
	v_cndmask_b32_e64 v3, v3, v19, s0
	s_delay_alu instid0(VALU_DEP_3) | instskip(NEXT) | instid1(VALU_DEP_2)
	v_cndmask_b32_e64 v1, v1, v34, s0
	v_cmp_gt_f32_e64 s0, v18, v3
	s_delay_alu instid0(VALU_DEP_1) | instskip(NEXT) | instid1(VALU_DEP_3)
	v_cndmask_b32_e64 v3, v3, v18, s0
	v_cndmask_b32_e64 v1, v1, v35, s0
	s_delay_alu instid0(VALU_DEP_2) | instskip(NEXT) | instid1(VALU_DEP_1)
	v_cmp_gt_f32_e64 s0, v17, v3
	v_cndmask_b32_e64 v3, v3, v17, s0
	s_delay_alu instid0(VALU_DEP_3) | instskip(NEXT) | instid1(VALU_DEP_2)
	v_cndmask_b32_e64 v1, v1, v36, s0
	v_cmp_gt_f32_e64 s0, v16, v3
	s_delay_alu instid0(VALU_DEP_1) | instskip(NEXT) | instid1(VALU_DEP_3)
	v_cndmask_b32_e64 v3, v3, v16, s0
	v_cndmask_b32_e64 v1, v1, v37, s0
	s_delay_alu instid0(VALU_DEP_2) | instskip(NEXT) | instid1(VALU_DEP_1)
	v_cmp_gt_f32_e64 s0, v15, v3
	v_cndmask_b32_e64 v3, v3, v15, s0
	s_delay_alu instid0(VALU_DEP_3) | instskip(NEXT) | instid1(VALU_DEP_2)
	v_cndmask_b32_e64 v1, v1, v38, s0
	v_cmp_gt_f32_e64 s0, v13, v3
	s_delay_alu instid0(VALU_DEP_1) | instskip(NEXT) | instid1(VALU_DEP_3)
	v_cndmask_b32_e64 v3, v3, v13, s0
	v_cndmask_b32_e64 v1, v1, v39, s0
	s_delay_alu instid0(VALU_DEP_2) | instskip(NEXT) | instid1(VALU_DEP_1)
	v_cmp_gt_f32_e64 s0, v12, v3
	v_cndmask_b32_e64 v3, v3, v12, s0
	s_delay_alu instid0(VALU_DEP_3) | instskip(NEXT) | instid1(VALU_DEP_2)
	v_cndmask_b32_e64 v1, v1, v40, s0
	v_cmp_gt_f32_e64 s0, v11, v3
	s_delay_alu instid0(VALU_DEP_1) | instskip(NEXT) | instid1(VALU_DEP_3)
	v_cndmask_b32_e64 v3, v3, v11, s0
	v_cndmask_b32_e64 v1, v1, v41, s0
	s_delay_alu instid0(VALU_DEP_2) | instskip(NEXT) | instid1(VALU_DEP_1)
	v_cmp_gt_f32_e64 s0, v7, v3
	v_cndmask_b32_e64 v1, v1, v42, s0
	v_cndmask_b32_e64 v3, v3, v7, s0
	s_delay_alu instid0(VALU_DEP_2) | instskip(NEXT) | instid1(VALU_DEP_2)
	v_mov_b32_dpp v5, v1 quad_perm:[1,0,3,2] row_mask:0xf bank_mask:0xf
	v_mov_b32_dpp v43, v3 quad_perm:[1,0,3,2] row_mask:0xf bank_mask:0xf
	s_delay_alu instid0(VALU_DEP_2) | instskip(NEXT) | instid1(VALU_DEP_2)
	v_cmp_lt_i32_e64 s0, v5, v1
	v_cmp_eq_f32_e64 s1, v3, v43
	v_cmp_lt_f32_e64 s2, v3, v43
	s_delay_alu instid0(VALU_DEP_2)
	s_and_b32 s0, s1, s0
	s_delay_alu instid0(VALU_DEP_1) | instid1(SALU_CYCLE_1)
	s_or_b32 s0, s2, s0
	s_delay_alu instid0(SALU_CYCLE_1) | instskip(SKIP_1) | instid1(VALU_DEP_2)
	v_cndmask_b32_e64 v3, v3, v43, s0
	v_cndmask_b32_e64 v5, v1, v5, s0
	v_mov_b32_dpp v1, v3 quad_perm:[2,3,0,1] row_mask:0xf bank_mask:0xf
	s_delay_alu instid0(VALU_DEP_2) | instskip(NEXT) | instid1(VALU_DEP_2)
	v_mov_b32_dpp v43, v5 quad_perm:[2,3,0,1] row_mask:0xf bank_mask:0xf
	v_cmp_eq_f32_e64 s0, v3, v1
	s_delay_alu instid0(VALU_DEP_2) | instskip(SKIP_1) | instid1(VALU_DEP_2)
	v_cmp_lt_i32_e64 s1, v43, v5
	v_cmp_lt_f32_e64 s2, v3, v1
	s_and_b32 s0, s0, s1
	s_delay_alu instid0(VALU_DEP_1) | instid1(SALU_CYCLE_1)
	s_or_b32 s0, s2, s0
	s_delay_alu instid0(SALU_CYCLE_1) | instskip(SKIP_1) | instid1(VALU_DEP_2)
	v_cndmask_b32_e64 v1, v3, v1, s0
	v_cndmask_b32_e64 v5, v5, v43, s0
	v_mov_b32_dpp v3, v1 row_half_mirror row_mask:0xf bank_mask:0xf
	s_delay_alu instid0(VALU_DEP_2) | instskip(NEXT) | instid1(VALU_DEP_2)
	v_mov_b32_dpp v43, v5 row_half_mirror row_mask:0xf bank_mask:0xf
	v_cmp_eq_f32_e64 s0, v1, v3
	s_delay_alu instid0(VALU_DEP_2) | instskip(SKIP_1) | instid1(VALU_DEP_2)
	v_cmp_lt_i32_e64 s1, v43, v5
	v_cmp_lt_f32_e64 s2, v1, v3
	s_and_b32 s0, s0, s1
	s_delay_alu instid0(VALU_DEP_1) | instid1(SALU_CYCLE_1)
	s_or_b32 s0, s2, s0
	s_delay_alu instid0(SALU_CYCLE_1)
	v_cndmask_b32_e64 v43, v5, v43, s0
	s_and_saveexec_b32 s2, vcc_lo
	s_cbranch_execz .LBB183_16
; %bb.15:                               ;   in Loop: Header=BB183_14 Depth=1
	v_cndmask_b32_e64 v1, v1, v3, s0
	s_delay_alu instid0(VALU_DEP_2) | instskip(SKIP_4) | instid1(VALU_DEP_4)
	v_cmp_le_i32_e64 s0, s5, v43
	v_cmp_gt_i32_e64 s1, s6, v43
	v_ashrrev_i32_e32 v5, 31, v4
	v_subrev_nc_u32_e32 v51, s5, v43
	v_sub_f32_e32 v50, v1, v14
	s_and_b32 s0, s0, s1
	s_delay_alu instid0(SALU_CYCLE_1) | instskip(NEXT) | instid1(VALU_DEP_1)
	s_and_b32 s0, s17, s0
	v_mul_f32_e32 v1, 0x3fb8aa3b, v50
	s_delay_alu instid0(VALU_DEP_1) | instskip(SKIP_1) | instid1(VALU_DEP_2)
	v_fma_f32 v3, 0x3fb8aa3b, v50, -v1
	v_rndne_f32_e32 v44, v1
	v_fmac_f32_e32 v3, 0x32a5705f, v50
	s_delay_alu instid0(VALU_DEP_2) | instskip(SKIP_2) | instid1(VALU_DEP_3)
	v_sub_f32_e32 v1, v1, v44
	v_cvt_i32_f32_e32 v49, v44
	v_lshlrev_b64 v[44:45], 2, v[4:5]
	v_add_f32_e32 v1, v1, v3
	v_ashrrev_i32_e32 v3, 31, v2
	s_delay_alu instid0(VALU_DEP_2) | instskip(SKIP_1) | instid1(VALU_DEP_2)
	v_exp_f32_e32 v48, v1
	v_ashrrev_i32_e32 v1, 31, v0
	v_lshlrev_b64 v[46:47], 2, v[2:3]
	s_waitcnt_depctr 0xfff
	v_ldexp_f32 v3, v48, v49
	v_lshlrev_b64 v[48:49], 2, v[0:1]
	v_cndmask_b32_e64 v1, 0x80, v51, s0
	v_cmp_ngt_f32_e64 s0, 0xc2ce8ed0, v50
	s_delay_alu instid0(VALU_DEP_1) | instskip(SKIP_1) | instid1(VALU_DEP_1)
	v_cndmask_b32_e64 v3, 0, v3, s0
	v_add_co_u32 v44, s0, s12, v44
	v_add_co_ci_u32_e64 v45, s0, s13, v45, s0
	v_cmp_nlt_f32_e64 s0, 0x42b17218, v50
	s_delay_alu instid0(VALU_DEP_1) | instskip(SKIP_2) | instid1(VALU_DEP_1)
	v_cndmask_b32_e64 v3, 0x7f800000, v3, s0
	s_waitcnt lgkmcnt(0)
	v_add_co_u32 v46, s0, s8, v46
	v_add_co_ci_u32_e64 v47, s0, s9, v47, s0
	s_delay_alu instid0(VALU_DEP_3) | instskip(SKIP_1) | instid1(VALU_DEP_1)
	v_add_f32_e32 v10, v10, v3
	v_add_co_u32 v48, s0, s10, v48
	v_add_co_ci_u32_e64 v49, s0, s11, v49, s0
	global_store_b32 v[44:45], v3, off
	global_store_b32 v[46:47], v1, off
	;; [unrolled: 1-line block ×3, first 2 shown]
.LBB183_16:                             ;   in Loop: Header=BB183_14 Depth=1
	s_or_b32 exec_lo, exec_lo, s2
	s_delay_alu instid0(VALU_DEP_1) | instskip(SKIP_1) | instid1(VALU_DEP_1)
	v_ashrrev_i32_e32 v3, 31, v43
	s_mov_b32 s1, exec_lo
	v_lshrrev_b32_e32 v1, 28, v3
	s_delay_alu instid0(VALU_DEP_1) | instskip(NEXT) | instid1(VALU_DEP_1)
	v_add_nc_u32_e32 v1, v43, v1
	v_ashrrev_i32_e32 v1, 4, v1
	s_delay_alu instid0(VALU_DEP_1) | instskip(NEXT) | instid1(VALU_DEP_1)
	v_lshrrev_b32_e32 v5, 29, v1
	v_add_nc_u32_e32 v5, v1, v5
	s_delay_alu instid0(VALU_DEP_1) | instskip(NEXT) | instid1(VALU_DEP_1)
	v_and_b32_e32 v5, -8, v5
	v_sub_nc_u32_e32 v5, v1, v5
	s_delay_alu instid0(VALU_DEP_1)
	v_cmpx_eq_u32_e64 v9, v5
	s_cbranch_execz .LBB183_13
; %bb.17:                               ;   in Loop: Header=BB183_14 Depth=1
	v_lshrrev_b32_e32 v3, 25, v3
	v_lshlrev_b32_e32 v1, 4, v1
	s_delay_alu instid0(VALU_DEP_2) | instskip(NEXT) | instid1(VALU_DEP_2)
	v_add_nc_u32_e32 v3, v43, v3
	v_sub_nc_u32_e32 v1, v43, v1
	s_delay_alu instid0(VALU_DEP_2) | instskip(NEXT) | instid1(VALU_DEP_1)
	v_ashrrev_i32_e32 v3, 7, v3
	v_lshl_add_u32 v1, v3, 4, v1
	s_delay_alu instid0(VALU_DEP_1) | instskip(NEXT) | instid1(VALU_DEP_1)
	v_cmp_ne_u32_e64 s0, 15, v1
	v_cndmask_b32_e64 v7, 0xff800000, v7, s0
	v_cmp_ne_u32_e64 s0, 14, v1
	s_delay_alu instid0(VALU_DEP_1) | instskip(SKIP_1) | instid1(VALU_DEP_1)
	v_cndmask_b32_e64 v11, 0xff800000, v11, s0
	v_cmp_ne_u32_e64 s0, 13, v1
	v_cndmask_b32_e64 v12, 0xff800000, v12, s0
	v_cmp_ne_u32_e64 s0, 12, v1
	s_delay_alu instid0(VALU_DEP_1) | instskip(SKIP_1) | instid1(VALU_DEP_1)
	v_cndmask_b32_e64 v13, 0xff800000, v13, s0
	;; [unrolled: 5-line block ×7, first 2 shown]
	v_cmp_ne_u32_e64 s0, 1, v1
	v_cndmask_b32_e64 v27, 0xff800000, v27, s0
	v_cmp_ne_u32_e64 s0, 0, v1
	s_delay_alu instid0(VALU_DEP_1)
	v_cndmask_b32_e64 v24, 0xff800000, v24, s0
	s_branch .LBB183_13
.LBB183_18:
	s_delay_alu instid0(VALU_DEP_1) | instskip(SKIP_4) | instid1(VALU_DEP_4)
	v_sub_f32_e32 v5, v25, v14
	v_sub_f32_e32 v0, v24, v14
	;; [unrolled: 1-line block ×5, first 2 shown]
	v_dual_mul_f32 v27, 0x3fb8aa3b, v5 :: v_dual_mul_f32 v2, 0x3fb8aa3b, v0
	s_delay_alu instid0(VALU_DEP_4) | instskip(SKIP_1) | instid1(VALU_DEP_3)
	v_dual_sub_f32 v3, v26, v14 :: v_dual_mul_f32 v4, 0x3fb8aa3b, v1
	v_cmp_ngt_f32_e32 vcc_lo, 0xc2ce8ed0, v0
	v_rndne_f32_e32 v30, v27
	s_delay_alu instid0(VALU_DEP_4) | instskip(NEXT) | instid1(VALU_DEP_4)
	v_fma_f32 v22, 0x3fb8aa3b, v0, -v2
	v_mul_f32_e32 v26, 0x3fb8aa3b, v3
	v_fma_f32 v29, 0x3fb8aa3b, v5, -v27
	v_sub_f32_e32 v6, v23, v14
	v_rndne_f32_e32 v23, v2
	v_fma_f32 v24, 0x3fb8aa3b, v1, -v4
	v_rndne_f32_e32 v25, v4
	v_dual_fmac_f32 v29, 0x32a5705f, v5 :: v_dual_fmac_f32 v22, 0x32a5705f, v0
	s_delay_alu instid0(VALU_DEP_4) | instskip(NEXT) | instid1(VALU_DEP_4)
	v_sub_f32_e32 v2, v2, v23
	v_fmac_f32_e32 v24, 0x32a5705f, v1
	s_delay_alu instid0(VALU_DEP_4) | instskip(SKIP_1) | instid1(VALU_DEP_4)
	v_dual_sub_f32 v4, v4, v25 :: v_dual_sub_f32 v21, v21, v14
	v_cvt_i32_f32_e32 v23, v23
	v_add_f32_e32 v2, v2, v22
	v_fma_f32 v22, 0x3fb8aa3b, v3, -v26
	s_delay_alu instid0(VALU_DEP_4)
	v_add_f32_e32 v4, v4, v24
	v_rndne_f32_e32 v24, v26
	v_cvt_i32_f32_e32 v25, v25
	v_exp_f32_e32 v2, v2
	v_fmac_f32_e32 v22, 0x32a5705f, v3
	v_exp_f32_e32 v4, v4
	v_sub_f32_e32 v26, v26, v24
	v_cvt_i32_f32_e32 v24, v24
	v_sub_f32_e32 v19, v19, v14
	v_sub_f32_e32 v15, v15, v14
	;; [unrolled: 1-line block ×3, first 2 shown]
	v_add_f32_e32 v22, v26, v22
	s_delay_alu instid0(TRANS32_DEP_2) | instskip(SKIP_1) | instid1(TRANS32_DEP_1)
	v_ldexp_f32 v2, v2, v23
	v_sub_f32_e32 v23, v27, v30
	v_ldexp_f32 v4, v4, v25
	s_delay_alu instid0(VALU_DEP_4) | instskip(NEXT) | instid1(VALU_DEP_3)
	v_exp_f32_e32 v22, v22
	v_cndmask_b32_e32 v2, 0, v2, vcc_lo
	v_cmp_ngt_f32_e32 vcc_lo, 0xc2ce8ed0, v1
	s_delay_alu instid0(VALU_DEP_3) | instskip(SKIP_1) | instid1(VALU_DEP_2)
	v_dual_add_f32 v23, v23, v29 :: v_dual_cndmask_b32 v4, 0, v4
	v_cmp_nlt_f32_e32 vcc_lo, 0x42b17218, v0
	v_exp_f32_e32 v23, v23
	v_cndmask_b32_e32 v0, 0x7f800000, v2, vcc_lo
	v_cmp_nlt_f32_e32 vcc_lo, 0x42b17218, v1
	v_cndmask_b32_e32 v1, 0x7f800000, v4, vcc_lo
	s_delay_alu instid0(TRANS32_DEP_2) | instskip(SKIP_1) | instid1(VALU_DEP_2)
	v_ldexp_f32 v4, v22, v24
	v_cmp_ngt_f32_e32 vcc_lo, 0xc2ce8ed0, v3
	v_dual_add_f32 v0, v0, v1 :: v_dual_cndmask_b32 v1, 0, v4
	v_cvt_i32_f32_e32 v4, v30
	v_cmp_nlt_f32_e32 vcc_lo, 0x42b17218, v3
	s_delay_alu instid0(TRANS32_DEP_1) | instid1(VALU_DEP_2)
	v_ldexp_f32 v3, v23, v4
	s_delay_alu instid0(VALU_DEP_4) | instskip(SKIP_3) | instid1(VALU_DEP_4)
	v_cndmask_b32_e32 v1, 0x7f800000, v1, vcc_lo
	v_cmp_ngt_f32_e32 vcc_lo, 0xc2ce8ed0, v5
	v_mul_f32_e32 v28, 0x3fb8aa3b, v6
	v_mul_f32_e32 v4, 0x3fb8aa3b, v21
	v_dual_add_f32 v0, v0, v1 :: v_dual_cndmask_b32 v1, 0, v3
	s_delay_alu instid0(VALU_DEP_3) | instskip(SKIP_1) | instid1(VALU_DEP_4)
	v_fma_f32 v2, 0x3fb8aa3b, v6, -v28
	v_rndne_f32_e32 v22, v28
	v_fma_f32 v3, 0x3fb8aa3b, v21, -v4
	v_rndne_f32_e32 v23, v4
	v_cmp_nlt_f32_e32 vcc_lo, 0x42b17218, v5
	v_fmac_f32_e32 v2, 0x32a5705f, v6
	v_sub_f32_e32 v24, v28, v22
	v_cvt_i32_f32_e32 v5, v22
	v_fmac_f32_e32 v3, 0x32a5705f, v21
	v_dual_cndmask_b32 v1, 0x7f800000, v1 :: v_dual_sub_f32 v4, v4, v23
	s_delay_alu instid0(VALU_DEP_4) | instskip(SKIP_1) | instid1(VALU_DEP_3)
	v_add_f32_e32 v2, v24, v2
	v_cmp_ngt_f32_e32 vcc_lo, 0xc2ce8ed0, v6
	v_add_f32_e32 v0, v0, v1
	s_delay_alu instid0(VALU_DEP_3) | instskip(SKIP_2) | instid1(VALU_DEP_1)
	v_exp_f32_e32 v2, v2
	s_waitcnt_depctr 0xfff
	v_ldexp_f32 v1, v2, v5
	v_dual_add_f32 v2, v4, v3 :: v_dual_cndmask_b32 v1, 0, v1
	s_delay_alu instid0(VALU_DEP_1) | instskip(SKIP_2) | instid1(VALU_DEP_3)
	v_exp_f32_e32 v2, v2
	v_cmp_nlt_f32_e32 vcc_lo, 0x42b17218, v6
	v_cvt_i32_f32_e32 v6, v23
	v_cndmask_b32_e32 v1, 0x7f800000, v1, vcc_lo
	v_cmp_ngt_f32_e32 vcc_lo, 0xc2ce8ed0, v21
	s_delay_alu instid0(VALU_DEP_2) | instskip(SKIP_2) | instid1(VALU_DEP_1)
	v_add_f32_e32 v0, v0, v1
	s_waitcnt_depctr 0xfff
	v_ldexp_f32 v1, v2, v6
	v_cndmask_b32_e32 v1, 0, v1, vcc_lo
	v_cmp_nlt_f32_e32 vcc_lo, 0x42b17218, v21
	v_mul_f32_e32 v21, 0x3fb8aa3b, v15
	s_delay_alu instid0(VALU_DEP_3) | instskip(SKIP_2) | instid1(VALU_DEP_3)
	v_cndmask_b32_e32 v1, 0x7f800000, v1, vcc_lo
	v_mul_f32_e32 v22, 0x3fb8aa3b, v20
	v_cmp_ngt_f32_e32 vcc_lo, 0xc2ce8ed0, v20
	v_add_f32_e32 v0, v0, v1
	s_delay_alu instid0(VALU_DEP_3) | instskip(SKIP_1) | instid1(VALU_DEP_2)
	v_fma_f32 v3, 0x3fb8aa3b, v20, -v22
	v_rndne_f32_e32 v4, v22
	v_fmac_f32_e32 v3, 0x32a5705f, v20
	s_delay_alu instid0(VALU_DEP_2) | instskip(SKIP_1) | instid1(VALU_DEP_2)
	v_sub_f32_e32 v5, v22, v4
	v_cvt_i32_f32_e32 v4, v4
	v_add_f32_e32 v3, v5, v3
	v_mul_f32_e32 v5, 0x3fb8aa3b, v19
	s_delay_alu instid0(VALU_DEP_2) | instskip(NEXT) | instid1(VALU_DEP_1)
	v_exp_f32_e32 v2, v3
	v_fma_f32 v3, 0x3fb8aa3b, v19, -v5
	v_rndne_f32_e32 v6, v5
	s_delay_alu instid0(VALU_DEP_2) | instskip(NEXT) | instid1(VALU_DEP_2)
	v_fmac_f32_e32 v3, 0x32a5705f, v19
	v_sub_f32_e32 v5, v5, v6
	v_cvt_i32_f32_e32 v6, v6
	s_waitcnt_depctr 0xfff
	v_ldexp_f32 v2, v2, v4
	v_add_f32_e32 v3, v5, v3
	v_sub_f32_e32 v5, v17, v14
	v_sub_f32_e32 v16, v16, v14
	s_delay_alu instid0(VALU_DEP_4)
	v_cndmask_b32_e32 v1, 0, v2, vcc_lo
	v_cmp_nlt_f32_e32 vcc_lo, 0x42b17218, v20
	v_sub_f32_e32 v4, v18, v14
	v_exp_f32_e32 v2, v3
	v_mul_f32_e32 v20, 0x3fb8aa3b, v5
	v_cndmask_b32_e32 v1, 0x7f800000, v1, vcc_lo
	s_delay_alu instid0(VALU_DEP_3) | instskip(SKIP_1) | instid1(VALU_DEP_3)
	v_mul_f32_e32 v3, 0x3fb8aa3b, v4
	v_cmp_ngt_f32_e32 vcc_lo, 0xc2ce8ed0, v19
	v_add_f32_e32 v0, v0, v1
	s_delay_alu instid0(VALU_DEP_3) | instskip(SKIP_1) | instid1(TRANS32_DEP_1)
	v_fma_f32 v17, 0x3fb8aa3b, v4, -v3
	v_rndne_f32_e32 v18, v3
	v_ldexp_f32 v1, v2, v6
	v_rndne_f32_e32 v6, v20
	s_delay_alu instid0(VALU_DEP_3) | instskip(NEXT) | instid1(VALU_DEP_3)
	v_dual_fmac_f32 v17, 0x32a5705f, v4 :: v_dual_sub_f32 v2, v3, v18
	v_cndmask_b32_e32 v1, 0, v1, vcc_lo
	v_fma_f32 v3, 0x3fb8aa3b, v5, -v20
	v_cmp_nlt_f32_e32 vcc_lo, 0x42b17218, v19
	v_cvt_i32_f32_e32 v18, v18
	v_dual_add_f32 v2, v2, v17 :: v_dual_sub_f32 v17, v20, v6
	s_delay_alu instid0(VALU_DEP_4) | instskip(SKIP_1) | instid1(VALU_DEP_3)
	v_fmac_f32_e32 v3, 0x32a5705f, v5
	v_mul_f32_e32 v20, 0x3fb8aa3b, v16
	v_exp_f32_e32 v2, v2
	s_delay_alu instid0(VALU_DEP_2) | instskip(NEXT) | instid1(VALU_DEP_2)
	v_add_f32_e32 v3, v17, v3
	v_fma_f32 v17, 0x3fb8aa3b, v16, -v20
	v_rndne_f32_e32 v19, v20
	v_cndmask_b32_e32 v1, 0x7f800000, v1, vcc_lo
	v_cmp_ngt_f32_e32 vcc_lo, 0xc2ce8ed0, v4
	v_exp_f32_e32 v3, v3
	s_delay_alu instid0(VALU_DEP_3) | instskip(NEXT) | instid1(VALU_DEP_3)
	v_dual_fmac_f32 v17, 0x32a5705f, v16 :: v_dual_sub_f32 v20, v20, v19
	v_add_f32_e32 v0, v0, v1
	s_delay_alu instid0(TRANS32_DEP_2)
	v_ldexp_f32 v1, v2, v18
	v_cvt_i32_f32_e32 v2, v6
	v_rndne_f32_e32 v18, v21
	v_add_f32_e32 v6, v20, v17
	v_fma_f32 v17, 0x3fb8aa3b, v15, -v21
	v_cndmask_b32_e32 v1, 0, v1, vcc_lo
	s_delay_alu instid0(TRANS32_DEP_1)
	v_ldexp_f32 v2, v3, v2
	v_cmp_nlt_f32_e32 vcc_lo, 0x42b17218, v4
	v_exp_f32_e32 v3, v6
	v_sub_f32_e32 v6, v21, v18
	v_cvt_i32_f32_e32 v4, v19
	v_fmac_f32_e32 v17, 0x32a5705f, v15
	v_cndmask_b32_e32 v1, 0x7f800000, v1, vcc_lo
	v_cmp_ngt_f32_e32 vcc_lo, 0xc2ce8ed0, v5
	s_delay_alu instid0(VALU_DEP_2) | instskip(NEXT) | instid1(TRANS32_DEP_1)
	v_add_f32_e32 v0, v0, v1
	v_ldexp_f32 v1, v3, v4
	v_cndmask_b32_e32 v2, 0, v2, vcc_lo
	v_cmp_nlt_f32_e32 vcc_lo, 0x42b17218, v5
	v_dual_sub_f32 v4, v13, v14 :: v_dual_mul_f32 v13, 0x3fb8aa3b, v11
	s_delay_alu instid0(VALU_DEP_3) | instskip(SKIP_1) | instid1(VALU_DEP_3)
	v_cndmask_b32_e32 v2, 0x7f800000, v2, vcc_lo
	v_cmp_ngt_f32_e32 vcc_lo, 0xc2ce8ed0, v16
	v_mul_f32_e32 v5, 0x3fb8aa3b, v4
	v_cndmask_b32_e32 v1, 0, v1, vcc_lo
	v_cmp_nlt_f32_e32 vcc_lo, 0x42b17218, v16
	v_add_f32_e32 v0, v0, v2
	v_cvt_i32_f32_e32 v2, v18
	s_delay_alu instid0(VALU_DEP_4) | instskip(SKIP_1) | instid1(VALU_DEP_2)
	v_cndmask_b32_e32 v1, 0x7f800000, v1, vcc_lo
	v_cmp_ngt_f32_e32 vcc_lo, 0xc2ce8ed0, v15
	v_add_f32_e32 v0, v0, v1
	v_fma_f32 v1, 0x3fb8aa3b, v4, -v5
	s_delay_alu instid0(VALU_DEP_1) | instskip(NEXT) | instid1(VALU_DEP_1)
	v_dual_add_f32 v6, v6, v17 :: v_dual_fmac_f32 v1, 0x32a5705f, v4
	v_exp_f32_e32 v3, v6
	v_sub_f32_e32 v6, v12, v14
	v_fma_f32 v14, 0x3fb8aa3b, v11, -v13
	s_delay_alu instid0(VALU_DEP_1) | instskip(SKIP_3) | instid1(VALU_DEP_1)
	v_fmac_f32_e32 v14, 0x32a5705f, v11
	s_waitcnt_depctr 0xfff
	v_ldexp_f32 v2, v3, v2
	v_rndne_f32_e32 v3, v5
	v_dual_cndmask_b32 v2, 0, v2 :: v_dual_sub_f32 v5, v5, v3
	v_cmp_nlt_f32_e32 vcc_lo, 0x42b17218, v15
	v_cvt_i32_f32_e32 v3, v3
	v_rndne_f32_e32 v15, v13
	s_delay_alu instid0(VALU_DEP_4) | instskip(SKIP_1) | instid1(VALU_DEP_2)
	v_dual_add_f32 v1, v5, v1 :: v_dual_cndmask_b32 v2, 0x7f800000, v2
	v_cmp_ngt_f32_e32 vcc_lo, 0xc2ce8ed0, v4
	v_exp_f32_e32 v1, v1
	s_waitcnt_depctr 0xfff
	v_ldexp_f32 v1, v1, v3
	s_delay_alu instid0(VALU_DEP_1) | instskip(NEXT) | instid1(VALU_DEP_1)
	v_dual_mul_f32 v12, 0x3fb8aa3b, v6 :: v_dual_cndmask_b32 v1, 0, v1
	v_rndne_f32_e32 v5, v12
	v_cmp_nlt_f32_e32 vcc_lo, 0x42b17218, v4
	v_add_f32_e32 v0, v0, v2
	v_fma_f32 v2, 0x3fb8aa3b, v6, -v12
	v_cvt_i32_f32_e32 v4, v15
	v_sub_f32_e32 v12, v12, v5
	v_cndmask_b32_e32 v1, 0x7f800000, v1, vcc_lo
	v_cvt_i32_f32_e32 v5, v5
	v_fmac_f32_e32 v2, 0x32a5705f, v6
	s_delay_alu instid0(VALU_DEP_3) | instskip(NEXT) | instid1(VALU_DEP_2)
	v_add_f32_e32 v0, v0, v1
	v_add_f32_e32 v2, v12, v2
	v_sub_f32_e32 v12, v13, v15
	v_mul_f32_e32 v16, 0x3fb8aa3b, v7
	s_delay_alu instid0(VALU_DEP_3) | instskip(NEXT) | instid1(VALU_DEP_2)
	v_exp_f32_e32 v2, v2
	v_add_f32_e32 v3, v12, v14
	s_delay_alu instid0(VALU_DEP_2) | instskip(SKIP_1) | instid1(VALU_DEP_3)
	v_fma_f32 v13, 0x3fb8aa3b, v7, -v16
	v_rndne_f32_e32 v17, v16
	v_exp_f32_e32 v3, v3
	s_delay_alu instid0(VALU_DEP_1) | instskip(SKIP_1) | instid1(TRANS32_DEP_2)
	v_dual_fmac_f32 v13, 0x32a5705f, v7 :: v_dual_sub_f32 v12, v16, v17
	v_cmp_ngt_f32_e32 vcc_lo, 0xc2ce8ed0, v6
	v_ldexp_f32 v2, v2, v5
	s_delay_alu instid0(VALU_DEP_3) | instskip(NEXT) | instid1(VALU_DEP_2)
	v_add_f32_e32 v12, v12, v13
	v_cndmask_b32_e32 v2, 0, v2, vcc_lo
	v_cmp_nlt_f32_e32 vcc_lo, 0x42b17218, v6
	s_delay_alu instid0(TRANS32_DEP_1) | instskip(NEXT) | instid1(VALU_DEP_4)
	v_ldexp_f32 v1, v3, v4
	v_exp_f32_e32 v5, v12
	v_cvt_i32_f32_e32 v3, v17
	v_cndmask_b32_e32 v2, 0x7f800000, v2, vcc_lo
	v_cmp_ngt_f32_e32 vcc_lo, 0xc2ce8ed0, v11
	s_delay_alu instid0(VALU_DEP_2)
	v_dual_add_f32 v0, v0, v2 :: v_dual_cndmask_b32 v1, 0, v1
	v_cmp_nlt_f32_e32 vcc_lo, 0x42b17218, v11
	s_waitcnt_depctr 0xfff
	v_ldexp_f32 v3, v5, v3
	v_cndmask_b32_e32 v1, 0x7f800000, v1, vcc_lo
	v_cmp_ngt_f32_e32 vcc_lo, 0xc2ce8ed0, v7
	s_delay_alu instid0(VALU_DEP_2) | instskip(NEXT) | instid1(VALU_DEP_4)
	v_add_f32_e32 v0, v0, v1
	v_cndmask_b32_e32 v2, 0, v3, vcc_lo
	v_cmp_nlt_f32_e32 vcc_lo, 0x42b17218, v7
	s_delay_alu instid0(VALU_DEP_2) | instskip(SKIP_1) | instid1(VALU_DEP_2)
	v_cndmask_b32_e32 v1, 0x7f800000, v2, vcc_lo
	v_cmp_eq_u32_e32 vcc_lo, 0, v9
	v_add_f32_e32 v0, v0, v1
	s_delay_alu instid0(VALU_DEP_1) | instskip(NEXT) | instid1(VALU_DEP_1)
	v_mov_b32_dpp v1, v0 quad_perm:[1,0,3,2] row_mask:0xf bank_mask:0xf
	v_add_f32_e32 v0, v0, v1
	s_delay_alu instid0(VALU_DEP_1) | instskip(NEXT) | instid1(VALU_DEP_1)
	v_mov_b32_dpp v1, v0 quad_perm:[2,3,0,1] row_mask:0xf bank_mask:0xf
	v_add_f32_e32 v0, v0, v1
	s_delay_alu instid0(VALU_DEP_1)
	v_mov_b32_dpp v1, v0 row_half_mirror row_mask:0xf bank_mask:0xf
	s_and_b32 exec_lo, exec_lo, vcc_lo
	s_cbranch_execz .LBB183_23
; %bb.19:
	s_delay_alu instid0(VALU_DEP_1) | instskip(NEXT) | instid1(VALU_DEP_1)
	v_add_f32_e32 v0, v0, v1
	v_add_f32_e32 v0, v10, v0
	s_delay_alu instid0(VALU_DEP_1)
	v_cmp_neq_f32_e32 vcc_lo, 0, v0
	s_and_b32 exec_lo, exec_lo, vcc_lo
	s_cbranch_execz .LBB183_23
; %bb.20:
	s_and_not1_b32 vcc_lo, exec_lo, s3
	s_cbranch_vccnz .LBB183_23
; %bb.21:
	v_div_scale_f32 v2, null, v0, v0, 1.0
	v_div_scale_f32 v4, vcc_lo, 1.0, v0, 1.0
	s_delay_alu instid0(VALU_DEP_2) | instskip(SKIP_2) | instid1(VALU_DEP_1)
	v_rcp_f32_e32 v3, v2
	s_waitcnt_depctr 0xfff
	v_fma_f32 v1, -v2, v3, 1.0
	v_fmac_f32_e32 v3, v1, v3
	v_mul_lo_u32 v1, v8, s7
	s_delay_alu instid0(VALU_DEP_2) | instskip(NEXT) | instid1(VALU_DEP_1)
	v_mul_f32_e32 v5, v4, v3
	v_fma_f32 v6, -v2, v5, v4
	s_delay_alu instid0(VALU_DEP_1) | instskip(NEXT) | instid1(VALU_DEP_1)
	v_fmac_f32_e32 v5, v6, v3
	v_fma_f32 v4, -v2, v5, v4
	v_ashrrev_i32_e32 v2, 31, v1
	s_delay_alu instid0(VALU_DEP_2) | instskip(NEXT) | instid1(VALU_DEP_2)
	v_div_fmas_f32 v5, v4, v3, v5
	v_lshlrev_b64 v[3:4], 2, v[1:2]
	s_delay_alu instid0(VALU_DEP_2) | instskip(NEXT) | instid1(VALU_DEP_2)
	v_div_fixup_f32 v2, v5, v0, 1.0
	v_add_co_u32 v0, vcc_lo, s12, v3
	s_delay_alu instid0(VALU_DEP_3)
	v_add_co_ci_u32_e32 v1, vcc_lo, s13, v4, vcc_lo
.LBB183_22:                             ; =>This Inner Loop Header: Depth=1
	global_load_b32 v3, v[0:1], off
	s_add_i32 s4, s4, -1
	s_delay_alu instid0(SALU_CYCLE_1)
	s_cmp_lg_u32 s4, 0
	s_waitcnt vmcnt(0)
	v_mul_f32_e32 v3, v2, v3
	global_store_b32 v[0:1], v3, off
	v_add_co_u32 v0, vcc_lo, v0, 4
	v_add_co_ci_u32_e32 v1, vcc_lo, 0, v1, vcc_lo
	s_cbranch_scc1 .LBB183_22
.LBB183_23:
	s_nop 0
	s_sendmsg sendmsg(MSG_DEALLOC_VGPRS)
	s_endpgm
	.section	.rodata,"a",@progbits
	.p2align	6, 0x0
	.amdhsa_kernel _ZN4vllm3moe17topkGatingSoftmaxIDF16_Li16ELi128ELi8ELi32ELb0ELi4ELNS0_23SharedExpertScoringFuncE1EEEvPKT_PKbPfiPiS9_iiiiii
		.amdhsa_group_segment_fixed_size 0
		.amdhsa_private_segment_fixed_size 0
		.amdhsa_kernarg_size 72
		.amdhsa_user_sgpr_count 15
		.amdhsa_user_sgpr_dispatch_ptr 0
		.amdhsa_user_sgpr_queue_ptr 0
		.amdhsa_user_sgpr_kernarg_segment_ptr 1
		.amdhsa_user_sgpr_dispatch_id 0
		.amdhsa_user_sgpr_private_segment_size 0
		.amdhsa_wavefront_size32 1
		.amdhsa_uses_dynamic_stack 0
		.amdhsa_enable_private_segment 0
		.amdhsa_system_sgpr_workgroup_id_x 1
		.amdhsa_system_sgpr_workgroup_id_y 0
		.amdhsa_system_sgpr_workgroup_id_z 0
		.amdhsa_system_sgpr_workgroup_info 0
		.amdhsa_system_vgpr_workitem_id 1
		.amdhsa_next_free_vgpr 53
		.amdhsa_next_free_sgpr 19
		.amdhsa_reserve_vcc 1
		.amdhsa_float_round_mode_32 0
		.amdhsa_float_round_mode_16_64 0
		.amdhsa_float_denorm_mode_32 3
		.amdhsa_float_denorm_mode_16_64 3
		.amdhsa_dx10_clamp 1
		.amdhsa_ieee_mode 1
		.amdhsa_fp16_overflow 0
		.amdhsa_workgroup_processor_mode 1
		.amdhsa_memory_ordered 1
		.amdhsa_forward_progress 0
		.amdhsa_shared_vgpr_count 0
		.amdhsa_exception_fp_ieee_invalid_op 0
		.amdhsa_exception_fp_denorm_src 0
		.amdhsa_exception_fp_ieee_div_zero 0
		.amdhsa_exception_fp_ieee_overflow 0
		.amdhsa_exception_fp_ieee_underflow 0
		.amdhsa_exception_fp_ieee_inexact 0
		.amdhsa_exception_int_div_zero 0
	.end_amdhsa_kernel
	.section	.text._ZN4vllm3moe17topkGatingSoftmaxIDF16_Li16ELi128ELi8ELi32ELb0ELi4ELNS0_23SharedExpertScoringFuncE1EEEvPKT_PKbPfiPiS9_iiiiii,"axG",@progbits,_ZN4vllm3moe17topkGatingSoftmaxIDF16_Li16ELi128ELi8ELi32ELb0ELi4ELNS0_23SharedExpertScoringFuncE1EEEvPKT_PKbPfiPiS9_iiiiii,comdat
.Lfunc_end183:
	.size	_ZN4vllm3moe17topkGatingSoftmaxIDF16_Li16ELi128ELi8ELi32ELb0ELi4ELNS0_23SharedExpertScoringFuncE1EEEvPKT_PKbPfiPiS9_iiiiii, .Lfunc_end183-_ZN4vllm3moe17topkGatingSoftmaxIDF16_Li16ELi128ELi8ELi32ELb0ELi4ELNS0_23SharedExpertScoringFuncE1EEEvPKT_PKbPfiPiS9_iiiiii
                                        ; -- End function
	.section	.AMDGPU.csdata,"",@progbits
; Kernel info:
; codeLenInByte = 5524
; NumSgprs: 21
; NumVgprs: 53
; ScratchSize: 0
; MemoryBound: 0
; FloatMode: 240
; IeeeMode: 1
; LDSByteSize: 0 bytes/workgroup (compile time only)
; SGPRBlocks: 2
; VGPRBlocks: 6
; NumSGPRsForWavesPerEU: 21
; NumVGPRsForWavesPerEU: 53
; Occupancy: 16
; WaveLimiterHint : 0
; COMPUTE_PGM_RSRC2:SCRATCH_EN: 0
; COMPUTE_PGM_RSRC2:USER_SGPR: 15
; COMPUTE_PGM_RSRC2:TRAP_HANDLER: 0
; COMPUTE_PGM_RSRC2:TGID_X_EN: 1
; COMPUTE_PGM_RSRC2:TGID_Y_EN: 0
; COMPUTE_PGM_RSRC2:TGID_Z_EN: 0
; COMPUTE_PGM_RSRC2:TIDIG_COMP_CNT: 1
	.section	.text._ZN4vllm3moe17topkGatingSoftmaxIDF16_Li16ELi128ELi8ELi32ELb1ELi8ELNS0_23SharedExpertScoringFuncE1EEEvPKT_PKbPfiPiS9_iiiiii,"axG",@progbits,_ZN4vllm3moe17topkGatingSoftmaxIDF16_Li16ELi128ELi8ELi32ELb1ELi8ELNS0_23SharedExpertScoringFuncE1EEEvPKT_PKbPfiPiS9_iiiiii,comdat
	.protected	_ZN4vllm3moe17topkGatingSoftmaxIDF16_Li16ELi128ELi8ELi32ELb1ELi8ELNS0_23SharedExpertScoringFuncE1EEEvPKT_PKbPfiPiS9_iiiiii ; -- Begin function _ZN4vllm3moe17topkGatingSoftmaxIDF16_Li16ELi128ELi8ELi32ELb1ELi8ELNS0_23SharedExpertScoringFuncE1EEEvPKT_PKbPfiPiS9_iiiiii
	.globl	_ZN4vllm3moe17topkGatingSoftmaxIDF16_Li16ELi128ELi8ELi32ELb1ELi8ELNS0_23SharedExpertScoringFuncE1EEEvPKT_PKbPfiPiS9_iiiiii
	.p2align	8
	.type	_ZN4vllm3moe17topkGatingSoftmaxIDF16_Li16ELi128ELi8ELi32ELb1ELi8ELNS0_23SharedExpertScoringFuncE1EEEvPKT_PKbPfiPiS9_iiiiii,@function
_ZN4vllm3moe17topkGatingSoftmaxIDF16_Li16ELi128ELi8ELi32ELb1ELi8ELNS0_23SharedExpertScoringFuncE1EEEvPKT_PKbPfiPiS9_iiiiii: ; @_ZN4vllm3moe17topkGatingSoftmaxIDF16_Li16ELi128ELi8ELi32ELb1ELi8ELNS0_23SharedExpertScoringFuncE1EEEvPKT_PKbPfiPiS9_iiiiii
; %bb.0:
	s_load_b32 s16, s[0:1], 0x18
	v_bfe_u32 v1, v0, 10, 10
	v_and_b32_e32 v0, 0x3ff, v0
	s_lshl_b32 s18, s15, 5
	s_mov_b32 s2, exec_lo
	s_delay_alu instid0(VALU_DEP_2) | instskip(NEXT) | instid1(VALU_DEP_2)
	v_lshlrev_b32_e32 v6, 2, v1
	v_lshrrev_b32_e32 v40, 3, v0
	s_delay_alu instid0(VALU_DEP_1) | instskip(SKIP_1) | instid1(VALU_DEP_1)
	v_add3_u32 v43, s18, v6, v40
	s_waitcnt lgkmcnt(0)
	v_cmpx_gt_i32_e64 s16, v43
	s_cbranch_execz .LBB184_20
; %bb.1:
	s_clause 0x1
	s_load_b128 s[4:7], s[0:1], 0x0
	s_load_b64 s[12:13], s[0:1], 0x10
	s_waitcnt lgkmcnt(0)
	s_cmp_eq_u64 s[6:7], 0
	s_cbranch_scc1 .LBB184_3
; %bb.2:
	v_ashrrev_i32_e32 v2, 31, v43
	v_add_co_u32 v1, vcc_lo, s6, v43
	s_delay_alu instid0(VALU_DEP_2) | instskip(SKIP_3) | instid1(VALU_DEP_1)
	v_add_co_ci_u32_e32 v2, vcc_lo, s7, v2, vcc_lo
	global_load_u8 v1, v[1:2], off
	s_waitcnt vmcnt(0)
	v_and_b32_e32 v1, 1, v1
	v_cmp_eq_u32_e32 vcc_lo, 1, v1
	s_xor_b32 s2, vcc_lo, -1
	s_delay_alu instid0(SALU_CYCLE_1)
	s_or_not1_b32 s17, s2, exec_lo
	s_branch .LBB184_4
.LBB184_3:
	s_mov_b32 s17, -1
.LBB184_4:
	s_clause 0x1
	s_load_b64 s[14:15], s[0:1], 0x40
	s_load_b128 s[8:11], s[0:1], 0x30
	v_and_b32_e32 v7, 7, v0
	s_mov_b32 s2, 0x3fb8aa3b
	s_mov_b32 s3, 0x32a5705f
	v_mov_b32_e32 v41, 0
	s_waitcnt lgkmcnt(0)
	v_mul_lo_u32 v1, v43, s15
	s_delay_alu instid0(VALU_DEP_1) | instskip(NEXT) | instid1(VALU_DEP_1)
	v_ashrrev_i32_e32 v2, 31, v1
	v_lshlrev_b64 v[0:1], 1, v[1:2]
	v_lshlrev_b32_e32 v2, 5, v7
	s_delay_alu instid0(VALU_DEP_2) | instskip(NEXT) | instid1(VALU_DEP_3)
	v_add_co_u32 v8, vcc_lo, s4, v0
	v_add_co_ci_u32_e32 v9, vcc_lo, s5, v1, vcc_lo
	s_delay_alu instid0(VALU_DEP_2) | instskip(NEXT) | instid1(VALU_DEP_2)
	v_add_co_u32 v4, vcc_lo, v8, v2
	v_add_co_ci_u32_e32 v5, vcc_lo, 0, v9, vcc_lo
	s_clause 0x1
	global_load_b128 v[0:3], v[4:5], off
	global_load_b128 v[34:37], v[4:5], off offset:16
	s_waitcnt vmcnt(1)
	v_cvt_f32_f16_e32 v12, v1
	v_lshrrev_b32_e32 v1, 16, v1
	v_cvt_f32_f16_e32 v16, v2
	v_cvt_f32_f16_e32 v10, v0
	v_lshrrev_b32_e32 v2, 16, v2
	v_cvt_f32_f16_e32 v20, v3
	v_cvt_f32_f16_e32 v14, v1
	v_lshlrev_b32_e32 v4, 1, v7
	s_waitcnt vmcnt(0)
	v_cvt_f32_f16_e32 v24, v34
	v_cvt_f32_f16_e32 v18, v2
	v_lshrrev_b32_e32 v2, 16, v3
	v_cvt_f32_f16_e32 v28, v35
	v_add_co_u32 v4, vcc_lo, v8, v4
	v_add_co_ci_u32_e32 v5, vcc_lo, 0, v9, vcc_lo
	v_lshlrev_b32_e32 v8, 4, v7
	v_cvt_f32_f16_e32 v22, v2
	v_lshrrev_b32_e32 v2, 16, v34
	global_load_u16 v4, v[4:5], off offset:256
	v_lshrrev_b32_e32 v5, 16, v0
	v_or_b32_e32 v9, 1, v8
	v_or_b32_e32 v13, 2, v8
	;; [unrolled: 1-line block ×3, first 2 shown]
	v_cvt_f32_f16_e32 v26, v2
	v_cvt_f32_f16_e32 v11, v5
	v_cmp_lt_f16_e32 vcc_lo, v0, v5
	v_cvt_f32_f16_e32 v32, v36
	s_delay_alu instid0(VALU_DEP_3) | instskip(NEXT) | instid1(VALU_DEP_1)
	v_dual_cndmask_b32 v0, v8, v9 :: v_dual_cndmask_b32 v5, v10, v11
	v_cmp_lt_f32_e32 vcc_lo, v5, v12
	s_delay_alu instid0(VALU_DEP_2) | instskip(SKIP_1) | instid1(VALU_DEP_2)
	v_dual_cndmask_b32 v0, v0, v13 :: v_dual_cndmask_b32 v1, v5, v12
	v_lshrrev_b32_e32 v5, 16, v35
	v_cmp_lt_f32_e32 vcc_lo, v1, v14
	s_delay_alu instid0(VALU_DEP_2) | instskip(NEXT) | instid1(VALU_DEP_4)
	v_cvt_f32_f16_e32 v30, v5
	v_dual_cndmask_b32 v1, v1, v14 :: v_dual_cndmask_b32 v0, v0, v15
	s_delay_alu instid0(VALU_DEP_1)
	v_cmp_lt_f32_e32 vcc_lo, v1, v16
	v_cndmask_b32_e32 v1, v1, v16, vcc_lo
	v_or_b32_e32 v17, 4, v8
	v_or_b32_e32 v19, 5, v8
	;; [unrolled: 1-line block ×5, first 2 shown]
	v_cndmask_b32_e32 v0, v0, v17, vcc_lo
	v_cmp_lt_f32_e32 vcc_lo, v1, v18
	v_or_b32_e32 v27, 9, v8
	v_or_b32_e32 v29, 10, v8
	;; [unrolled: 1-line block ×4, first 2 shown]
	v_dual_cndmask_b32 v1, v1, v18 :: v_dual_cndmask_b32 v0, v0, v19
	v_or_b32_e32 v39, 15, v8
	s_delay_alu instid0(VALU_DEP_2) | instskip(NEXT) | instid1(VALU_DEP_3)
	v_cmp_lt_f32_e32 vcc_lo, v1, v20
	v_dual_cndmask_b32 v1, v1, v20 :: v_dual_cndmask_b32 v0, v0, v21
	s_delay_alu instid0(VALU_DEP_1) | instskip(NEXT) | instid1(VALU_DEP_2)
	v_cmp_lt_f32_e32 vcc_lo, v1, v22
	v_dual_cndmask_b32 v1, v1, v22 :: v_dual_cndmask_b32 v0, v0, v23
	s_delay_alu instid0(VALU_DEP_1) | instskip(SKIP_4) | instid1(VALU_DEP_3)
	v_cmp_lt_f32_e32 vcc_lo, v1, v24
	v_cndmask_b32_e32 v1, v1, v24, vcc_lo
	s_waitcnt vmcnt(0)
	v_cvt_f32_f16_e64 v2, -v4
	v_cndmask_b32_e32 v0, v0, v25, vcc_lo
	v_cmp_lt_f32_e32 vcc_lo, v1, v26
	s_delay_alu instid0(VALU_DEP_3) | instskip(NEXT) | instid1(VALU_DEP_3)
	v_mul_f32_e32 v3, 0x3fb8aa3b, v2
	v_dual_cndmask_b32 v1, v1, v26 :: v_dual_cndmask_b32 v0, v0, v27
	s_delay_alu instid0(VALU_DEP_2) | instskip(SKIP_1) | instid1(VALU_DEP_3)
	v_fma_mix_f32 v31, -v4, s2, -v3 op_sel_hi:[1,0,0]
	v_rndne_f32_e32 v34, v3
	v_cmp_lt_f32_e32 vcc_lo, v1, v28
	v_cmp_ngt_f32_e64 s2, 0xc2ce8ed0, v2
	s_delay_alu instid0(VALU_DEP_4) | instskip(NEXT) | instid1(VALU_DEP_4)
	v_fma_mix_f32 v4, -v4, s3, v31 op_sel_hi:[1,0,0]
	v_sub_f32_e32 v3, v3, v34
	v_dual_cndmask_b32 v1, v1, v28 :: v_dual_cndmask_b32 v0, v0, v29
	v_or_b32_e32 v31, 11, v8
	v_cvt_i32_f32_e32 v5, v34
	s_delay_alu instid0(VALU_DEP_3) | instskip(SKIP_4) | instid1(VALU_DEP_4)
	v_cmp_lt_f32_e32 vcc_lo, v1, v30
	v_add_f32_e32 v3, v3, v4
	v_lshrrev_b32_e32 v4, 16, v36
	v_cvt_f32_f16_e32 v36, v37
	v_dual_cndmask_b32 v0, v0, v31 :: v_dual_cndmask_b32 v1, v1, v30
	v_exp_f32_e32 v3, v3
	s_delay_alu instid0(VALU_DEP_3) | instskip(NEXT) | instid1(VALU_DEP_2)
	v_cvt_f32_f16_e32 v34, v4
	v_cmp_lt_f32_e32 vcc_lo, v1, v32
	s_delay_alu instid0(VALU_DEP_3) | instskip(SKIP_3) | instid1(VALU_DEP_2)
	v_dual_cndmask_b32 v0, v0, v33 :: v_dual_cndmask_b32 v1, v1, v32
	s_waitcnt_depctr 0xfff
	v_ldexp_f32 v3, v3, v5
	v_cmp_lt_f32_e32 vcc_lo, v1, v34
	v_cndmask_b32_e64 v3, 0, v3, s2
	v_dual_cndmask_b32 v0, v0, v35 :: v_dual_cndmask_b32 v1, v1, v34
	v_cmp_nlt_f32_e32 vcc_lo, 0x42b17218, v2
	s_delay_alu instid0(VALU_DEP_3) | instskip(SKIP_3) | instid1(VALU_DEP_3)
	v_cndmask_b32_e32 v2, 0x7f800000, v3, vcc_lo
	v_lshrrev_b32_e32 v3, 16, v37
	v_or_b32_e32 v37, 14, v8
	v_cmp_lt_f32_e32 vcc_lo, v1, v36
	v_cvt_f32_f16_e32 v38, v3
	s_delay_alu instid0(VALU_DEP_3) | instskip(SKIP_1) | instid1(VALU_DEP_1)
	v_cndmask_b32_e32 v0, v0, v37, vcc_lo
	v_dual_add_f32 v42, 1.0, v2 :: v_dual_cndmask_b32 v1, v1, v36
	v_div_scale_f32 v3, null, v42, v42, 1.0
	s_delay_alu instid0(VALU_DEP_2) | instskip(NEXT) | instid1(VALU_DEP_2)
	v_cmp_lt_f32_e32 vcc_lo, v1, v38
	v_rcp_f32_e32 v44, v3
	v_dual_cndmask_b32 v2, v0, v39 :: v_dual_cndmask_b32 v1, v1, v38
	v_div_scale_f32 v45, vcc_lo, 1.0, v42, 1.0
	s_delay_alu instid0(VALU_DEP_2) | instskip(NEXT) | instid1(VALU_DEP_3)
	v_mov_b32_dpp v4, v2 quad_perm:[1,0,3,2] row_mask:0xf bank_mask:0xf
	v_mov_b32_dpp v5, v1 quad_perm:[1,0,3,2] row_mask:0xf bank_mask:0xf
	s_waitcnt_depctr 0xfff
	v_fma_f32 v0, -v3, v44, 1.0
	v_cmp_lt_i32_e64 s2, v4, v2
	v_cmp_eq_f32_e64 s3, v1, v5
	v_cmp_lt_f32_e64 s4, v1, v5
	s_delay_alu instid0(VALU_DEP_2)
	s_and_b32 s2, s3, s2
	s_delay_alu instid0(VALU_DEP_1) | instid1(SALU_CYCLE_1)
	s_or_b32 s2, s4, s2
	s_delay_alu instid0(SALU_CYCLE_1) | instskip(SKIP_1) | instid1(VALU_DEP_2)
	v_cndmask_b32_e64 v47, v1, v5, s2
	v_cndmask_b32_e64 v48, v2, v4, s2
	v_mov_b32_dpp v49, v47 quad_perm:[2,3,0,1] row_mask:0xf bank_mask:0xf
	v_fmac_f32_e32 v44, v0, v44
	v_mul_lo_u32 v0, v43, s11
	s_delay_alu instid0(VALU_DEP_4) | instskip(NEXT) | instid1(VALU_DEP_4)
	v_mov_b32_dpp v50, v48 quad_perm:[2,3,0,1] row_mask:0xf bank_mask:0xf
	v_cmp_eq_f32_e64 s2, v47, v49
	s_delay_alu instid0(VALU_DEP_4) | instskip(SKIP_1) | instid1(VALU_DEP_4)
	v_mul_f32_e32 v46, v45, v44
	v_cmp_lt_f32_e64 s4, v47, v49
	v_cmp_lt_i32_e64 s3, v50, v48
	v_add3_u32 v1, v0, s8, v7
	s_delay_alu instid0(VALU_DEP_4) | instskip(NEXT) | instid1(VALU_DEP_3)
	v_fma_f32 v4, -v3, v46, v45
	s_and_b32 s2, s2, s3
	s_delay_alu instid0(VALU_DEP_2) | instskip(NEXT) | instid1(VALU_DEP_2)
	v_ashrrev_i32_e32 v2, 31, v1
	v_fmac_f32_e32 v46, v4, v44
	s_delay_alu instid0(VALU_DEP_2) | instskip(NEXT) | instid1(VALU_DEP_2)
	v_lshlrev_b64 v[4:5], 2, v[1:2]
	v_fma_f32 v1, -v3, v46, v45
	s_delay_alu instid0(VALU_DEP_1)
	v_div_fmas_f32 v2, v1, v44, v46
	s_or_b32 vcc_lo, s4, s2
	s_cmp_gt_i32 s8, 0
	v_cndmask_b32_e32 v3, v48, v50, vcc_lo
	v_cndmask_b32_e32 v1, v47, v49, vcc_lo
	v_add_co_u32 v44, vcc_lo, s12, v4
	v_add_co_ci_u32_e32 v45, vcc_lo, s13, v5, vcc_lo
	v_div_fixup_f32 v2, v2, v42, 1.0
	s_delay_alu instid0(VALU_DEP_4)
	v_mov_b32_dpp v5, v1 row_half_mirror row_mask:0xf bank_mask:0xf
	v_mov_b32_dpp v42, v3 row_half_mirror row_mask:0xf bank_mask:0xf
	v_cmp_eq_u32_e32 vcc_lo, 0, v7
	s_cselect_b32 s3, -1, 0
	s_cmp_lt_i32 s8, 1
	global_store_b32 v[44:45], v2, off
	s_cbranch_scc1 .LBB184_16
; %bb.5:
	s_load_b128 s[4:7], s[0:1], 0x20
	v_cmp_eq_f32_e64 s0, v1, v5
	v_cmp_lt_i32_e64 s1, v42, v3
	v_cmp_lt_f32_e64 s2, v1, v5
	v_mul_lo_u32 v2, v43, s14
	v_mul_lo_u32 v4, v43, s8
	v_mov_b32_e32 v41, 0
	s_and_b32 s0, s0, s1
	s_delay_alu instid0(SALU_CYCLE_1) | instskip(NEXT) | instid1(SALU_CYCLE_1)
	s_or_b32 s0, s2, s0
	v_cndmask_b32_e64 v44, v3, v42, s0
	v_cndmask_b32_e64 v42, v1, v5, s0
	s_and_saveexec_b32 s2, vcc_lo
	s_cbranch_execz .LBB184_7
; %bb.6:
	s_delay_alu instid0(VALU_DEP_1)
	v_sub_f32_e32 v41, v42, v42
	v_cmp_le_i32_e64 s0, s9, v44
	v_cmp_gt_i32_e64 s1, s10, v44
	v_subrev_nc_u32_e32 v51, s9, v44
	v_ashrrev_i32_e32 v5, 31, v4
	v_mul_f32_e32 v1, 0x3fb8aa3b, v41
	s_delay_alu instid0(VALU_DEP_4) | instskip(NEXT) | instid1(SALU_CYCLE_1)
	s_and_b32 s0, s0, s1
	s_and_b32 s0, s17, s0
	s_delay_alu instid0(VALU_DEP_1) | instskip(SKIP_2) | instid1(VALU_DEP_3)
	v_rndne_f32_e32 v47, v1
	v_fma_f32 v3, 0x3fb8aa3b, v41, -v1
	v_lshlrev_b64 v[49:50], 2, v[4:5]
	v_sub_f32_e32 v1, v1, v47
	s_delay_alu instid0(VALU_DEP_3) | instskip(NEXT) | instid1(VALU_DEP_1)
	v_fmamk_f32 v3, v41, 0x32a5705f, v3
	v_add_f32_e32 v3, v1, v3
	v_ashrrev_i32_e32 v1, 31, v0
	s_delay_alu instid0(VALU_DEP_2) | instskip(NEXT) | instid1(VALU_DEP_1)
	v_exp_f32_e32 v52, v3
	v_lshlrev_b64 v[45:46], 2, v[0:1]
	v_ashrrev_i32_e32 v3, 31, v2
	v_cvt_i32_f32_e32 v1, v47
	s_delay_alu instid0(VALU_DEP_2) | instskip(SKIP_2) | instid1(VALU_DEP_1)
	v_lshlrev_b64 v[47:48], 2, v[2:3]
	v_cndmask_b32_e64 v3, 0x80, v51, s0
	v_add_co_u32 v45, s0, s12, v45
	v_add_co_ci_u32_e64 v46, s0, s13, v46, s0
	s_delay_alu instid0(TRANS32_DEP_1) | instskip(SKIP_1) | instid1(VALU_DEP_1)
	v_ldexp_f32 v1, v52, v1
	v_cmp_ngt_f32_e64 s0, 0xc2ce8ed0, v41
	v_cndmask_b32_e64 v1, 0, v1, s0
	s_waitcnt lgkmcnt(0)
	v_add_co_u32 v47, s0, s4, v47
	s_delay_alu instid0(VALU_DEP_1) | instskip(SKIP_1) | instid1(VALU_DEP_1)
	v_add_co_ci_u32_e64 v48, s0, s5, v48, s0
	v_cmp_nlt_f32_e64 s0, 0x42b17218, v41
	v_cndmask_b32_e64 v41, 0x7f800000, v1, s0
	v_add_co_u32 v49, s0, s6, v49
	s_delay_alu instid0(VALU_DEP_1)
	v_add_co_ci_u32_e64 v50, s0, s7, v50, s0
	global_store_b32 v[47:48], v3, off
	global_store_b32 v[45:46], v41, off
	;; [unrolled: 1-line block ×3, first 2 shown]
.LBB184_7:
	s_or_b32 exec_lo, exec_lo, s2
	v_ashrrev_i32_e32 v3, 31, v44
	s_mov_b32 s1, exec_lo
	s_delay_alu instid0(VALU_DEP_1) | instskip(NEXT) | instid1(VALU_DEP_1)
	v_lshrrev_b32_e32 v1, 28, v3
	v_add_nc_u32_e32 v1, v44, v1
	s_delay_alu instid0(VALU_DEP_1) | instskip(NEXT) | instid1(VALU_DEP_1)
	v_ashrrev_i32_e32 v1, 4, v1
	v_lshrrev_b32_e32 v5, 29, v1
	s_delay_alu instid0(VALU_DEP_1) | instskip(NEXT) | instid1(VALU_DEP_1)
	v_add_nc_u32_e32 v5, v1, v5
	v_and_b32_e32 v5, -8, v5
	s_delay_alu instid0(VALU_DEP_1) | instskip(NEXT) | instid1(VALU_DEP_1)
	v_sub_nc_u32_e32 v5, v1, v5
	v_cmpx_eq_u32_e64 v7, v5
	s_cbranch_execz .LBB184_9
; %bb.8:
	v_lshrrev_b32_e32 v3, 25, v3
	v_lshlrev_b32_e32 v1, 4, v1
	s_delay_alu instid0(VALU_DEP_2) | instskip(NEXT) | instid1(VALU_DEP_2)
	v_add_nc_u32_e32 v3, v44, v3
	v_sub_nc_u32_e32 v1, v44, v1
	s_delay_alu instid0(VALU_DEP_2) | instskip(NEXT) | instid1(VALU_DEP_1)
	v_ashrrev_i32_e32 v3, 7, v3
	v_lshl_add_u32 v1, v3, 4, v1
	s_delay_alu instid0(VALU_DEP_1) | instskip(NEXT) | instid1(VALU_DEP_1)
	v_cmp_ne_u32_e64 s0, 15, v1
	v_cndmask_b32_e64 v38, 0xff800000, v38, s0
	v_cmp_ne_u32_e64 s0, 14, v1
	s_delay_alu instid0(VALU_DEP_1) | instskip(SKIP_1) | instid1(VALU_DEP_1)
	v_cndmask_b32_e64 v36, 0xff800000, v36, s0
	v_cmp_ne_u32_e64 s0, 13, v1
	v_cndmask_b32_e64 v34, 0xff800000, v34, s0
	v_cmp_ne_u32_e64 s0, 12, v1
	s_delay_alu instid0(VALU_DEP_1) | instskip(SKIP_1) | instid1(VALU_DEP_1)
	v_cndmask_b32_e64 v32, 0xff800000, v32, s0
	;; [unrolled: 5-line block ×7, first 2 shown]
	v_cmp_ne_u32_e64 s0, 1, v1
	v_cndmask_b32_e64 v11, 0xff800000, v11, s0
	v_cmp_ne_u32_e64 s0, 0, v1
	s_delay_alu instid0(VALU_DEP_1)
	v_cndmask_b32_e64 v10, 0xff800000, v10, s0
.LBB184_9:
	s_or_b32 exec_lo, exec_lo, s1
	s_cmp_eq_u32 s8, 1
	s_cbranch_scc1 .LBB184_16
; %bb.10:
	s_add_i32 s18, s18, s16
	v_add_nc_u32_e32 v1, 1, v4
	v_add3_u32 v40, s18, v40, v6
	v_add_nc_u32_e32 v3, 1, v2
	v_add_nc_u32_e32 v5, 1, v0
	s_add_i32 s11, s8, -1
	s_branch .LBB184_12
.LBB184_11:                             ;   in Loop: Header=BB184_12 Depth=1
	s_or_b32 exec_lo, exec_lo, s1
	v_add_nc_u32_e32 v40, s16, v40
	v_add_nc_u32_e32 v1, 1, v1
	;; [unrolled: 1-line block ×4, first 2 shown]
	s_add_i32 s11, s11, -1
	s_delay_alu instid0(SALU_CYCLE_1)
	s_cmp_eq_u32 s11, 0
	s_cbranch_scc1 .LBB184_16
.LBB184_12:                             ; =>This Inner Loop Header: Depth=1
	v_cmp_gt_f32_e64 s0, v11, v10
	s_delay_alu instid0(VALU_DEP_1) | instskip(SKIP_1) | instid1(VALU_DEP_2)
	v_cndmask_b32_e64 v4, v10, v11, s0
	v_cndmask_b32_e64 v2, v8, v9, s0
	v_cmp_gt_f32_e64 s0, v12, v4
	s_delay_alu instid0(VALU_DEP_1) | instskip(NEXT) | instid1(VALU_DEP_3)
	v_cndmask_b32_e64 v4, v4, v12, s0
	v_cndmask_b32_e64 v2, v2, v13, s0
	s_delay_alu instid0(VALU_DEP_2) | instskip(NEXT) | instid1(VALU_DEP_1)
	v_cmp_gt_f32_e64 s0, v14, v4
	v_cndmask_b32_e64 v4, v4, v14, s0
	s_delay_alu instid0(VALU_DEP_3) | instskip(NEXT) | instid1(VALU_DEP_2)
	v_cndmask_b32_e64 v2, v2, v15, s0
	v_cmp_gt_f32_e64 s0, v16, v4
	s_delay_alu instid0(VALU_DEP_1) | instskip(NEXT) | instid1(VALU_DEP_3)
	v_cndmask_b32_e64 v4, v4, v16, s0
	v_cndmask_b32_e64 v2, v2, v17, s0
	s_delay_alu instid0(VALU_DEP_2) | instskip(NEXT) | instid1(VALU_DEP_1)
	v_cmp_gt_f32_e64 s0, v18, v4
	v_cndmask_b32_e64 v4, v4, v18, s0
	s_delay_alu instid0(VALU_DEP_3) | instskip(NEXT) | instid1(VALU_DEP_2)
	;; [unrolled: 9-line block ×6, first 2 shown]
	v_cndmask_b32_e64 v2, v2, v35, s0
	v_cmp_gt_f32_e64 s0, v36, v4
	s_delay_alu instid0(VALU_DEP_1) | instskip(NEXT) | instid1(VALU_DEP_3)
	v_cndmask_b32_e64 v4, v4, v36, s0
	v_cndmask_b32_e64 v2, v2, v37, s0
	s_delay_alu instid0(VALU_DEP_2) | instskip(NEXT) | instid1(VALU_DEP_1)
	v_cmp_gt_f32_e64 s0, v38, v4
	v_cndmask_b32_e64 v2, v2, v39, s0
	v_cndmask_b32_e64 v4, v4, v38, s0
	s_delay_alu instid0(VALU_DEP_2) | instskip(NEXT) | instid1(VALU_DEP_2)
	v_mov_b32_dpp v6, v2 quad_perm:[1,0,3,2] row_mask:0xf bank_mask:0xf
	v_mov_b32_dpp v43, v4 quad_perm:[1,0,3,2] row_mask:0xf bank_mask:0xf
	s_delay_alu instid0(VALU_DEP_2) | instskip(NEXT) | instid1(VALU_DEP_2)
	v_cmp_lt_i32_e64 s0, v6, v2
	v_cmp_eq_f32_e64 s1, v4, v43
	v_cmp_lt_f32_e64 s2, v4, v43
	s_delay_alu instid0(VALU_DEP_2)
	s_and_b32 s0, s1, s0
	s_delay_alu instid0(VALU_DEP_1) | instid1(SALU_CYCLE_1)
	s_or_b32 s0, s2, s0
	s_delay_alu instid0(SALU_CYCLE_1) | instskip(SKIP_1) | instid1(VALU_DEP_2)
	v_cndmask_b32_e64 v4, v4, v43, s0
	v_cndmask_b32_e64 v6, v2, v6, s0
	v_mov_b32_dpp v2, v4 quad_perm:[2,3,0,1] row_mask:0xf bank_mask:0xf
	s_delay_alu instid0(VALU_DEP_2) | instskip(NEXT) | instid1(VALU_DEP_2)
	v_mov_b32_dpp v43, v6 quad_perm:[2,3,0,1] row_mask:0xf bank_mask:0xf
	v_cmp_eq_f32_e64 s0, v4, v2
	s_delay_alu instid0(VALU_DEP_2) | instskip(SKIP_1) | instid1(VALU_DEP_2)
	v_cmp_lt_i32_e64 s1, v43, v6
	v_cmp_lt_f32_e64 s2, v4, v2
	s_and_b32 s0, s0, s1
	s_delay_alu instid0(VALU_DEP_1) | instid1(SALU_CYCLE_1)
	s_or_b32 s0, s2, s0
	s_delay_alu instid0(SALU_CYCLE_1) | instskip(SKIP_1) | instid1(VALU_DEP_2)
	v_cndmask_b32_e64 v2, v4, v2, s0
	v_cndmask_b32_e64 v6, v6, v43, s0
	v_mov_b32_dpp v4, v2 row_half_mirror row_mask:0xf bank_mask:0xf
	s_delay_alu instid0(VALU_DEP_2) | instskip(NEXT) | instid1(VALU_DEP_2)
	v_mov_b32_dpp v43, v6 row_half_mirror row_mask:0xf bank_mask:0xf
	v_cmp_eq_f32_e64 s0, v2, v4
	s_delay_alu instid0(VALU_DEP_2) | instskip(SKIP_1) | instid1(VALU_DEP_2)
	v_cmp_lt_i32_e64 s1, v43, v6
	v_cmp_lt_f32_e64 s2, v2, v4
	s_and_b32 s0, s0, s1
	s_delay_alu instid0(VALU_DEP_1) | instid1(SALU_CYCLE_1)
	s_or_b32 s0, s2, s0
	s_delay_alu instid0(SALU_CYCLE_1)
	v_cndmask_b32_e64 v43, v6, v43, s0
	s_and_saveexec_b32 s2, vcc_lo
	s_cbranch_execz .LBB184_14
; %bb.13:                               ;   in Loop: Header=BB184_12 Depth=1
	v_cndmask_b32_e64 v2, v2, v4, s0
	s_delay_alu instid0(VALU_DEP_2) | instskip(SKIP_4) | instid1(VALU_DEP_4)
	v_cmp_le_i32_e64 s0, s9, v43
	v_cmp_gt_i32_e64 s1, s10, v43
	v_ashrrev_i32_e32 v6, 31, v5
	v_subrev_nc_u32_e32 v51, s9, v43
	v_sub_f32_e32 v50, v2, v42
	s_and_b32 s0, s0, s1
	s_delay_alu instid0(SALU_CYCLE_1) | instskip(NEXT) | instid1(VALU_DEP_1)
	s_and_b32 s0, s17, s0
	v_mul_f32_e32 v2, 0x3fb8aa3b, v50
	s_delay_alu instid0(VALU_DEP_1) | instskip(SKIP_1) | instid1(VALU_DEP_2)
	v_fma_f32 v4, 0x3fb8aa3b, v50, -v2
	v_rndne_f32_e32 v44, v2
	v_fmac_f32_e32 v4, 0x32a5705f, v50
	s_delay_alu instid0(VALU_DEP_2) | instskip(SKIP_2) | instid1(VALU_DEP_3)
	v_sub_f32_e32 v2, v2, v44
	v_cvt_i32_f32_e32 v49, v44
	v_lshlrev_b64 v[44:45], 2, v[5:6]
	v_add_f32_e32 v2, v2, v4
	v_ashrrev_i32_e32 v4, 31, v3
	s_delay_alu instid0(VALU_DEP_2) | instskip(SKIP_1) | instid1(VALU_DEP_2)
	v_exp_f32_e32 v48, v2
	v_ashrrev_i32_e32 v2, 31, v1
	v_lshlrev_b64 v[46:47], 2, v[3:4]
	s_waitcnt_depctr 0xfff
	v_ldexp_f32 v4, v48, v49
	v_lshlrev_b64 v[48:49], 2, v[1:2]
	v_cndmask_b32_e64 v2, 0x80, v51, s0
	v_cmp_ngt_f32_e64 s0, 0xc2ce8ed0, v50
	s_delay_alu instid0(VALU_DEP_1) | instskip(SKIP_1) | instid1(VALU_DEP_1)
	v_cndmask_b32_e64 v4, 0, v4, s0
	v_add_co_u32 v44, s0, s12, v44
	v_add_co_ci_u32_e64 v45, s0, s13, v45, s0
	v_cmp_nlt_f32_e64 s0, 0x42b17218, v50
	s_delay_alu instid0(VALU_DEP_1) | instskip(SKIP_2) | instid1(VALU_DEP_1)
	v_cndmask_b32_e64 v4, 0x7f800000, v4, s0
	s_waitcnt lgkmcnt(0)
	v_add_co_u32 v46, s0, s4, v46
	v_add_co_ci_u32_e64 v47, s0, s5, v47, s0
	s_delay_alu instid0(VALU_DEP_3) | instskip(SKIP_1) | instid1(VALU_DEP_1)
	v_add_f32_e32 v41, v41, v4
	v_add_co_u32 v48, s0, s6, v48
	v_add_co_ci_u32_e64 v49, s0, s7, v49, s0
	global_store_b32 v[44:45], v4, off
	global_store_b32 v[46:47], v2, off
	;; [unrolled: 1-line block ×3, first 2 shown]
.LBB184_14:                             ;   in Loop: Header=BB184_12 Depth=1
	s_or_b32 exec_lo, exec_lo, s2
	s_delay_alu instid0(VALU_DEP_1) | instskip(SKIP_1) | instid1(VALU_DEP_1)
	v_ashrrev_i32_e32 v4, 31, v43
	s_mov_b32 s1, exec_lo
	v_lshrrev_b32_e32 v2, 28, v4
	s_delay_alu instid0(VALU_DEP_1) | instskip(NEXT) | instid1(VALU_DEP_1)
	v_add_nc_u32_e32 v2, v43, v2
	v_ashrrev_i32_e32 v2, 4, v2
	s_delay_alu instid0(VALU_DEP_1) | instskip(NEXT) | instid1(VALU_DEP_1)
	v_lshrrev_b32_e32 v6, 29, v2
	v_add_nc_u32_e32 v6, v2, v6
	s_delay_alu instid0(VALU_DEP_1) | instskip(NEXT) | instid1(VALU_DEP_1)
	v_and_b32_e32 v6, -8, v6
	v_sub_nc_u32_e32 v6, v2, v6
	s_delay_alu instid0(VALU_DEP_1)
	v_cmpx_eq_u32_e64 v7, v6
	s_cbranch_execz .LBB184_11
; %bb.15:                               ;   in Loop: Header=BB184_12 Depth=1
	v_lshrrev_b32_e32 v4, 25, v4
	v_lshlrev_b32_e32 v2, 4, v2
	s_delay_alu instid0(VALU_DEP_2) | instskip(NEXT) | instid1(VALU_DEP_2)
	v_add_nc_u32_e32 v4, v43, v4
	v_sub_nc_u32_e32 v2, v43, v2
	s_delay_alu instid0(VALU_DEP_2) | instskip(NEXT) | instid1(VALU_DEP_1)
	v_ashrrev_i32_e32 v4, 7, v4
	v_lshl_add_u32 v2, v4, 4, v2
	s_delay_alu instid0(VALU_DEP_1) | instskip(NEXT) | instid1(VALU_DEP_1)
	v_cmp_ne_u32_e64 s0, 15, v2
	v_cndmask_b32_e64 v38, 0xff800000, v38, s0
	v_cmp_ne_u32_e64 s0, 14, v2
	s_delay_alu instid0(VALU_DEP_1) | instskip(SKIP_1) | instid1(VALU_DEP_1)
	v_cndmask_b32_e64 v36, 0xff800000, v36, s0
	v_cmp_ne_u32_e64 s0, 13, v2
	v_cndmask_b32_e64 v34, 0xff800000, v34, s0
	v_cmp_ne_u32_e64 s0, 12, v2
	s_delay_alu instid0(VALU_DEP_1) | instskip(SKIP_1) | instid1(VALU_DEP_1)
	v_cndmask_b32_e64 v32, 0xff800000, v32, s0
	;; [unrolled: 5-line block ×7, first 2 shown]
	v_cmp_ne_u32_e64 s0, 1, v2
	v_cndmask_b32_e64 v11, 0xff800000, v11, s0
	v_cmp_ne_u32_e64 s0, 0, v2
	s_delay_alu instid0(VALU_DEP_1)
	v_cndmask_b32_e64 v10, 0xff800000, v10, s0
	s_branch .LBB184_11
.LBB184_16:
	v_cmp_eq_u32_e32 vcc_lo, 0, v7
	v_cmp_neq_f32_e64 s0, 0, v41
	s_delay_alu instid0(VALU_DEP_1) | instskip(NEXT) | instid1(SALU_CYCLE_1)
	s_and_b32 s0, vcc_lo, s0
	s_and_b32 exec_lo, exec_lo, s0
	s_cbranch_execz .LBB184_20
; %bb.17:
	s_and_not1_b32 vcc_lo, exec_lo, s3
	s_cbranch_vccnz .LBB184_20
; %bb.18:
	v_div_scale_f32 v1, null, v41, v41, 1.0
	v_div_scale_f32 v4, vcc_lo, 1.0, v41, 1.0
	s_delay_alu instid0(VALU_DEP_2) | instskip(SKIP_2) | instid1(VALU_DEP_1)
	v_rcp_f32_e32 v2, v1
	s_waitcnt_depctr 0xfff
	v_fma_f32 v3, -v1, v2, 1.0
	v_fmac_f32_e32 v2, v3, v2
	s_delay_alu instid0(VALU_DEP_1) | instskip(NEXT) | instid1(VALU_DEP_1)
	v_mul_f32_e32 v3, v4, v2
	v_fma_f32 v5, -v1, v3, v4
	s_delay_alu instid0(VALU_DEP_1) | instskip(NEXT) | instid1(VALU_DEP_1)
	v_fmac_f32_e32 v3, v5, v2
	v_fma_f32 v4, -v1, v3, v4
	v_ashrrev_i32_e32 v1, 31, v0
	s_delay_alu instid0(VALU_DEP_2) | instskip(NEXT) | instid1(VALU_DEP_2)
	v_div_fmas_f32 v2, v4, v2, v3
	v_lshlrev_b64 v[0:1], 2, v[0:1]
	s_delay_alu instid0(VALU_DEP_2) | instskip(NEXT) | instid1(VALU_DEP_2)
	v_div_fixup_f32 v2, v2, v41, 1.0
	v_add_co_u32 v0, vcc_lo, s12, v0
	s_delay_alu instid0(VALU_DEP_3)
	v_add_co_ci_u32_e32 v1, vcc_lo, s13, v1, vcc_lo
.LBB184_19:                             ; =>This Inner Loop Header: Depth=1
	global_load_b32 v3, v[0:1], off
	s_add_i32 s8, s8, -1
	s_delay_alu instid0(SALU_CYCLE_1)
	s_cmp_lg_u32 s8, 0
	s_waitcnt vmcnt(0)
	v_mul_f32_e32 v3, v2, v3
	global_store_b32 v[0:1], v3, off
	v_add_co_u32 v0, vcc_lo, v0, 4
	v_add_co_ci_u32_e32 v1, vcc_lo, 0, v1, vcc_lo
	s_cbranch_scc1 .LBB184_19
.LBB184_20:
	s_nop 0
	s_sendmsg sendmsg(MSG_DEALLOC_VGPRS)
	s_endpgm
	.section	.rodata,"a",@progbits
	.p2align	6, 0x0
	.amdhsa_kernel _ZN4vllm3moe17topkGatingSoftmaxIDF16_Li16ELi128ELi8ELi32ELb1ELi8ELNS0_23SharedExpertScoringFuncE1EEEvPKT_PKbPfiPiS9_iiiiii
		.amdhsa_group_segment_fixed_size 0
		.amdhsa_private_segment_fixed_size 0
		.amdhsa_kernarg_size 72
		.amdhsa_user_sgpr_count 15
		.amdhsa_user_sgpr_dispatch_ptr 0
		.amdhsa_user_sgpr_queue_ptr 0
		.amdhsa_user_sgpr_kernarg_segment_ptr 1
		.amdhsa_user_sgpr_dispatch_id 0
		.amdhsa_user_sgpr_private_segment_size 0
		.amdhsa_wavefront_size32 1
		.amdhsa_uses_dynamic_stack 0
		.amdhsa_enable_private_segment 0
		.amdhsa_system_sgpr_workgroup_id_x 1
		.amdhsa_system_sgpr_workgroup_id_y 0
		.amdhsa_system_sgpr_workgroup_id_z 0
		.amdhsa_system_sgpr_workgroup_info 0
		.amdhsa_system_vgpr_workitem_id 1
		.amdhsa_next_free_vgpr 53
		.amdhsa_next_free_sgpr 19
		.amdhsa_reserve_vcc 1
		.amdhsa_float_round_mode_32 0
		.amdhsa_float_round_mode_16_64 0
		.amdhsa_float_denorm_mode_32 3
		.amdhsa_float_denorm_mode_16_64 3
		.amdhsa_dx10_clamp 1
		.amdhsa_ieee_mode 1
		.amdhsa_fp16_overflow 0
		.amdhsa_workgroup_processor_mode 1
		.amdhsa_memory_ordered 1
		.amdhsa_forward_progress 0
		.amdhsa_shared_vgpr_count 0
		.amdhsa_exception_fp_ieee_invalid_op 0
		.amdhsa_exception_fp_denorm_src 0
		.amdhsa_exception_fp_ieee_div_zero 0
		.amdhsa_exception_fp_ieee_overflow 0
		.amdhsa_exception_fp_ieee_underflow 0
		.amdhsa_exception_fp_ieee_inexact 0
		.amdhsa_exception_int_div_zero 0
	.end_amdhsa_kernel
	.section	.text._ZN4vllm3moe17topkGatingSoftmaxIDF16_Li16ELi128ELi8ELi32ELb1ELi8ELNS0_23SharedExpertScoringFuncE1EEEvPKT_PKbPfiPiS9_iiiiii,"axG",@progbits,_ZN4vllm3moe17topkGatingSoftmaxIDF16_Li16ELi128ELi8ELi32ELb1ELi8ELNS0_23SharedExpertScoringFuncE1EEEvPKT_PKbPfiPiS9_iiiiii,comdat
.Lfunc_end184:
	.size	_ZN4vllm3moe17topkGatingSoftmaxIDF16_Li16ELi128ELi8ELi32ELb1ELi8ELNS0_23SharedExpertScoringFuncE1EEEvPKT_PKbPfiPiS9_iiiiii, .Lfunc_end184-_ZN4vllm3moe17topkGatingSoftmaxIDF16_Li16ELi128ELi8ELi32ELb1ELi8ELNS0_23SharedExpertScoringFuncE1EEEvPKT_PKbPfiPiS9_iiiiii
                                        ; -- End function
	.section	.AMDGPU.csdata,"",@progbits
; Kernel info:
; codeLenInByte = 3764
; NumSgprs: 21
; NumVgprs: 53
; ScratchSize: 0
; MemoryBound: 0
; FloatMode: 240
; IeeeMode: 1
; LDSByteSize: 0 bytes/workgroup (compile time only)
; SGPRBlocks: 2
; VGPRBlocks: 6
; NumSGPRsForWavesPerEU: 21
; NumVGPRsForWavesPerEU: 53
; Occupancy: 16
; WaveLimiterHint : 0
; COMPUTE_PGM_RSRC2:SCRATCH_EN: 0
; COMPUTE_PGM_RSRC2:USER_SGPR: 15
; COMPUTE_PGM_RSRC2:TRAP_HANDLER: 0
; COMPUTE_PGM_RSRC2:TGID_X_EN: 1
; COMPUTE_PGM_RSRC2:TGID_Y_EN: 0
; COMPUTE_PGM_RSRC2:TGID_Z_EN: 0
; COMPUTE_PGM_RSRC2:TIDIG_COMP_CNT: 1
	.section	.text._ZN4vllm3moe17topkGatingSoftmaxIDF16_Li16ELi128ELi8ELi32ELb0ELi8ELNS0_23SharedExpertScoringFuncE1EEEvPKT_PKbPfiPiS9_iiiiii,"axG",@progbits,_ZN4vllm3moe17topkGatingSoftmaxIDF16_Li16ELi128ELi8ELi32ELb0ELi8ELNS0_23SharedExpertScoringFuncE1EEEvPKT_PKbPfiPiS9_iiiiii,comdat
	.protected	_ZN4vllm3moe17topkGatingSoftmaxIDF16_Li16ELi128ELi8ELi32ELb0ELi8ELNS0_23SharedExpertScoringFuncE1EEEvPKT_PKbPfiPiS9_iiiiii ; -- Begin function _ZN4vllm3moe17topkGatingSoftmaxIDF16_Li16ELi128ELi8ELi32ELb0ELi8ELNS0_23SharedExpertScoringFuncE1EEEvPKT_PKbPfiPiS9_iiiiii
	.globl	_ZN4vllm3moe17topkGatingSoftmaxIDF16_Li16ELi128ELi8ELi32ELb0ELi8ELNS0_23SharedExpertScoringFuncE1EEEvPKT_PKbPfiPiS9_iiiiii
	.p2align	8
	.type	_ZN4vllm3moe17topkGatingSoftmaxIDF16_Li16ELi128ELi8ELi32ELb0ELi8ELNS0_23SharedExpertScoringFuncE1EEEvPKT_PKbPfiPiS9_iiiiii,@function
_ZN4vllm3moe17topkGatingSoftmaxIDF16_Li16ELi128ELi8ELi32ELb0ELi8ELNS0_23SharedExpertScoringFuncE1EEEvPKT_PKbPfiPiS9_iiiiii: ; @_ZN4vllm3moe17topkGatingSoftmaxIDF16_Li16ELi128ELi8ELi32ELb0ELi8ELNS0_23SharedExpertScoringFuncE1EEEvPKT_PKbPfiPiS9_iiiiii
; %bb.0:
	s_load_b32 s16, s[0:1], 0x18
	v_bfe_u32 v1, v0, 10, 10
	v_and_b32_e32 v0, 0x3ff, v0
	s_lshl_b32 s18, s15, 5
	s_mov_b32 s2, exec_lo
	s_delay_alu instid0(VALU_DEP_2) | instskip(NEXT) | instid1(VALU_DEP_2)
	v_lshlrev_b32_e32 v6, 2, v1
	v_lshrrev_b32_e32 v42, 3, v0
	s_delay_alu instid0(VALU_DEP_1) | instskip(SKIP_1) | instid1(VALU_DEP_1)
	v_add3_u32 v43, s18, v6, v42
	s_waitcnt lgkmcnt(0)
	v_cmpx_gt_i32_e64 s16, v43
	s_cbranch_execz .LBB185_21
; %bb.1:
	s_clause 0x1
	s_load_b128 s[4:7], s[0:1], 0x0
	s_load_b64 s[12:13], s[0:1], 0x10
	s_waitcnt lgkmcnt(0)
	s_cmp_eq_u64 s[6:7], 0
	s_cbranch_scc1 .LBB185_3
; %bb.2:
	v_ashrrev_i32_e32 v2, 31, v43
	v_add_co_u32 v1, vcc_lo, s6, v43
	s_delay_alu instid0(VALU_DEP_2) | instskip(SKIP_3) | instid1(VALU_DEP_1)
	v_add_co_ci_u32_e32 v2, vcc_lo, s7, v2, vcc_lo
	global_load_u8 v1, v[1:2], off
	s_waitcnt vmcnt(0)
	v_and_b32_e32 v1, 1, v1
	v_cmp_eq_u32_e32 vcc_lo, 1, v1
	s_xor_b32 s2, vcc_lo, -1
	s_delay_alu instid0(SALU_CYCLE_1)
	s_or_not1_b32 s17, s2, exec_lo
	s_branch .LBB185_4
.LBB185_3:
	s_mov_b32 s17, -1
.LBB185_4:
	s_clause 0x1
	s_load_b64 s[14:15], s[0:1], 0x40
	s_load_b128 s[8:11], s[0:1], 0x30
	v_and_b32_e32 v7, 7, v0
	s_mov_b32 s2, 0x3fb8aa3b
	s_mov_b32 s3, 0x32a5705f
	s_delay_alu instid0(VALU_DEP_1) | instskip(NEXT) | instid1(VALU_DEP_1)
	v_dual_mov_b32 v12, 0 :: v_dual_lshlrev_b32 v23, 4, v7
	v_or_b32_e32 v27, 1, v23
	v_or_b32_e32 v28, 2, v23
	s_waitcnt lgkmcnt(0)
	v_mul_lo_u32 v1, v43, s15
	s_delay_alu instid0(VALU_DEP_1) | instskip(NEXT) | instid1(VALU_DEP_1)
	v_ashrrev_i32_e32 v2, 31, v1
	v_lshlrev_b64 v[0:1], 1, v[1:2]
	v_lshlrev_b32_e32 v2, 5, v7
	s_delay_alu instid0(VALU_DEP_2) | instskip(NEXT) | instid1(VALU_DEP_3)
	v_add_co_u32 v8, vcc_lo, s4, v0
	v_add_co_ci_u32_e32 v9, vcc_lo, s5, v1, vcc_lo
	s_delay_alu instid0(VALU_DEP_2) | instskip(NEXT) | instid1(VALU_DEP_2)
	v_add_co_u32 v4, vcc_lo, v8, v2
	v_add_co_ci_u32_e32 v5, vcc_lo, 0, v9, vcc_lo
	s_clause 0x1
	global_load_b128 v[0:3], v[4:5], off
	global_load_b128 v[37:40], v[4:5], off offset:16
	s_waitcnt vmcnt(1)
	v_cvt_f32_f16_e32 v24, v1
	v_lshlrev_b32_e32 v4, 1, v7
	v_cvt_f32_f16_e32 v26, v0
	v_lshrrev_b32_e32 v1, 16, v1
	v_cvt_f32_f16_e32 v21, v2
	v_lshrrev_b32_e32 v2, 16, v2
	v_add_co_u32 v4, vcc_lo, v8, v4
	v_add_co_ci_u32_e32 v5, vcc_lo, 0, v9, vcc_lo
	v_cvt_f32_f16_e32 v22, v1
	s_delay_alu instid0(VALU_DEP_4)
	v_cvt_f32_f16_e32 v20, v2
	v_cvt_f32_f16_e32 v19, v3
	global_load_u16 v4, v[4:5], off offset:256
	v_lshrrev_b32_e32 v5, 16, v0
	v_lshrrev_b32_e32 v2, 16, v3
	s_waitcnt vmcnt(1)
	v_cvt_f32_f16_e32 v17, v37
	v_cvt_f32_f16_e32 v15, v38
	v_lshrrev_b32_e32 v3, 16, v38
	v_cvt_f32_f16_e32 v25, v5
	v_cmp_lt_f16_e32 vcc_lo, v0, v5
	v_cvt_f32_f16_e32 v18, v2
	v_lshrrev_b32_e32 v2, 16, v37
	v_cvt_f32_f16_e32 v13, v3
	v_cvt_f32_f16_e32 v11, v39
	v_dual_cndmask_b32 v5, v26, v25 :: v_dual_cndmask_b32 v0, v23, v27
	s_delay_alu instid0(VALU_DEP_4) | instskip(SKIP_1) | instid1(VALU_DEP_3)
	v_cvt_f32_f16_e32 v16, v2
	v_cvt_f32_f16_e32 v9, v40
	v_cmp_lt_f32_e32 vcc_lo, v5, v24
	v_cndmask_b32_e32 v1, v5, v24, vcc_lo
	v_cndmask_b32_e32 v0, v0, v28, vcc_lo
	v_or_b32_e32 v29, 3, v23
	v_or_b32_e32 v30, 4, v23
	;; [unrolled: 1-line block ×3, first 2 shown]
	v_cmp_lt_f32_e32 vcc_lo, v1, v22
	v_or_b32_e32 v32, 6, v23
	v_or_b32_e32 v33, 7, v23
	;; [unrolled: 1-line block ×4, first 2 shown]
	v_dual_cndmask_b32 v0, v0, v29 :: v_dual_cndmask_b32 v1, v1, v22
	v_or_b32_e32 v36, 10, v23
	v_or_b32_e32 v37, 11, v23
	;; [unrolled: 1-line block ×4, first 2 shown]
	v_cmp_lt_f32_e32 vcc_lo, v1, v21
	v_dual_cndmask_b32 v0, v0, v30 :: v_dual_cndmask_b32 v1, v1, v21
	s_delay_alu instid0(VALU_DEP_1) | instskip(NEXT) | instid1(VALU_DEP_2)
	v_cmp_lt_f32_e32 vcc_lo, v1, v20
	v_dual_cndmask_b32 v0, v0, v31 :: v_dual_cndmask_b32 v1, v1, v20
	s_delay_alu instid0(VALU_DEP_1) | instskip(NEXT) | instid1(VALU_DEP_2)
	;; [unrolled: 3-line block ×7, first 2 shown]
	v_cmp_lt_f32_e32 vcc_lo, v1, v13
	v_cndmask_b32_e32 v0, v0, v37, vcc_lo
	v_cndmask_b32_e32 v1, v1, v13, vcc_lo
	s_delay_alu instid0(VALU_DEP_1) | instskip(NEXT) | instid1(VALU_DEP_3)
	v_cmp_lt_f32_e32 vcc_lo, v1, v11
	v_cndmask_b32_e32 v0, v0, v38, vcc_lo
	s_waitcnt vmcnt(0)
	v_cvt_f32_f16_e64 v2, -v4
	s_delay_alu instid0(VALU_DEP_1) | instskip(NEXT) | instid1(VALU_DEP_1)
	v_mul_f32_e32 v5, 0x3fb8aa3b, v2
	v_fma_mix_f32 v3, -v4, s2, -v5 op_sel_hi:[1,0,0]
	v_rndne_f32_e32 v8, v5
	v_cmp_nlt_f32_e64 s2, 0x42b17218, v2
	s_delay_alu instid0(VALU_DEP_3) | instskip(NEXT) | instid1(VALU_DEP_3)
	v_fma_mix_f32 v3, -v4, s3, v3 op_sel_hi:[1,0,0]
	v_sub_f32_e32 v4, v5, v8
	v_lshrrev_b32_e32 v5, 16, v39
	v_or_b32_e32 v39, 13, v23
	s_delay_alu instid0(VALU_DEP_3) | instskip(SKIP_1) | instid1(VALU_DEP_4)
	v_add_f32_e32 v3, v4, v3
	v_cvt_i32_f32_e32 v4, v8
	v_cvt_f32_f16_e32 v10, v5
	s_delay_alu instid0(VALU_DEP_3)
	v_exp_f32_e32 v3, v3
	s_waitcnt_depctr 0xfff
	v_ldexp_f32 v3, v3, v4
	v_lshrrev_b32_e32 v4, 16, v40
	v_or_b32_e32 v40, 14, v23
	v_cndmask_b32_e32 v1, v1, v11, vcc_lo
	s_delay_alu instid0(VALU_DEP_3) | instskip(NEXT) | instid1(VALU_DEP_2)
	v_cvt_f32_f16_e32 v8, v4
	v_cmp_lt_f32_e32 vcc_lo, v1, v10
	v_dual_cndmask_b32 v0, v0, v39 :: v_dual_cndmask_b32 v1, v1, v10
	v_cmp_ngt_f32_e32 vcc_lo, 0xc2ce8ed0, v2
	v_cndmask_b32_e32 v3, 0, v3, vcc_lo
	s_delay_alu instid0(VALU_DEP_3) | instskip(NEXT) | instid1(VALU_DEP_2)
	v_cmp_lt_f32_e32 vcc_lo, v1, v9
	v_cndmask_b32_e64 v2, 0x7f800000, v3, s2
	v_dual_cndmask_b32 v1, v1, v9 :: v_dual_cndmask_b32 v0, v0, v40
	s_delay_alu instid0(VALU_DEP_2) | instskip(NEXT) | instid1(VALU_DEP_2)
	v_add_f32_e32 v14, 1.0, v2
	v_cmp_lt_f32_e32 vcc_lo, v1, v8
	s_delay_alu instid0(VALU_DEP_2) | instskip(NEXT) | instid1(VALU_DEP_4)
	v_div_scale_f32 v44, null, v14, v14, 1.0
	v_dual_cndmask_b32 v2, v0, v41 :: v_dual_cndmask_b32 v1, v1, v8
	v_mul_lo_u32 v0, v43, s11
	s_delay_alu instid0(VALU_DEP_3) | instskip(NEXT) | instid1(VALU_DEP_2)
	v_rcp_f32_e32 v45, v44
	v_mov_b32_dpp v3, v2 quad_perm:[1,0,3,2] row_mask:0xf bank_mask:0xf
	s_delay_alu instid0(VALU_DEP_3) | instskip(NEXT) | instid1(VALU_DEP_2)
	v_mov_b32_dpp v4, v1 quad_perm:[1,0,3,2] row_mask:0xf bank_mask:0xf
	v_cmp_lt_i32_e32 vcc_lo, v3, v2
	s_delay_alu instid0(VALU_DEP_2)
	v_cmp_eq_f32_e64 s2, v1, v4
	v_cmp_lt_f32_e64 s3, v1, v4
	s_waitcnt_depctr 0xfff
	v_fma_f32 v5, -v44, v45, 1.0
	s_and_b32 s2, s2, vcc_lo
	v_div_scale_f32 v46, vcc_lo, 1.0, v14, 1.0
	s_or_b32 s2, s3, s2
	s_delay_alu instid0(VALU_DEP_2) | instskip(SKIP_3) | instid1(VALU_DEP_4)
	v_fmac_f32_e32 v45, v5, v45
	v_cndmask_b32_e64 v1, v1, v4, s2
	v_cndmask_b32_e64 v4, v2, v3, s2
	v_add3_u32 v2, v0, s8, v7
	v_mul_f32_e32 v48, v46, v45
	s_delay_alu instid0(VALU_DEP_4) | instskip(NEXT) | instid1(VALU_DEP_4)
	v_mov_b32_dpp v5, v1 quad_perm:[2,3,0,1] row_mask:0xf bank_mask:0xf
	v_mov_b32_dpp v47, v4 quad_perm:[2,3,0,1] row_mask:0xf bank_mask:0xf
	s_delay_alu instid0(VALU_DEP_4) | instskip(NEXT) | instid1(VALU_DEP_4)
	v_ashrrev_i32_e32 v3, 31, v2
	v_fma_f32 v49, -v44, v48, v46
	s_delay_alu instid0(VALU_DEP_4) | instskip(NEXT) | instid1(VALU_DEP_4)
	v_cmp_eq_f32_e64 s2, v1, v5
	v_cmp_lt_i32_e64 s3, v47, v4
	v_cmp_lt_f32_e64 s4, v1, v5
	s_delay_alu instid0(VALU_DEP_4) | instskip(NEXT) | instid1(VALU_DEP_3)
	v_fmac_f32_e32 v48, v49, v45
	s_and_b32 s2, s2, s3
	s_delay_alu instid0(VALU_DEP_2) | instid1(SALU_CYCLE_1)
	s_or_b32 s2, s4, s2
	s_delay_alu instid0(SALU_CYCLE_1)
	v_cndmask_b32_e64 v49, v1, v5, s2
	v_cndmask_b32_e64 v1, v4, v47, s2
	v_lshlrev_b64 v[4:5], 2, v[2:3]
	v_fma_f32 v2, -v44, v48, v46
	v_cmp_eq_u32_e64 s2, 0, v7
	v_mov_b32_dpp v44, v49 row_half_mirror row_mask:0xf bank_mask:0xf
	v_mov_b32_dpp v3, v1 row_half_mirror row_mask:0xf bank_mask:0xf
	s_delay_alu instid0(VALU_DEP_4) | instskip(SKIP_1) | instid1(VALU_DEP_4)
	v_div_fmas_f32 v2, v2, v45, v48
	v_add_co_u32 v4, s5, s12, v4
	v_cmp_eq_f32_e64 s3, v49, v44
	s_delay_alu instid0(VALU_DEP_4) | instskip(SKIP_3) | instid1(VALU_DEP_4)
	v_cmp_lt_i32_e64 s4, v3, v1
	v_cmp_lt_f32_e32 vcc_lo, v49, v44
	v_add_co_ci_u32_e64 v5, s5, s13, v5, s5
	v_div_fixup_f32 v2, v2, v14, 1.0
	s_and_b32 s3, s3, s4
	s_delay_alu instid0(SALU_CYCLE_1)
	s_or_b32 vcc_lo, vcc_lo, s3
	s_cmp_gt_i32 s8, 0
	v_cndmask_b32_e32 v14, v49, v44, vcc_lo
	s_cselect_b32 s3, -1, 0
	s_cmp_lt_i32 s8, 1
	global_store_b32 v[4:5], v2, off
	s_cbranch_scc1 .LBB185_16
; %bb.5:
	s_load_b128 s[4:7], s[0:1], 0x20
	v_mul_lo_u32 v2, v43, s14
	v_mul_lo_u32 v4, v43, s8
	v_cndmask_b32_e32 v44, v1, v3, vcc_lo
	v_mov_b32_e32 v12, 0
	s_and_saveexec_b32 s1, s2
	s_cbranch_execz .LBB185_7
; %bb.6:
	v_sub_f32_e32 v12, v14, v14
	v_cmp_le_i32_e32 vcc_lo, s9, v44
	v_cmp_gt_i32_e64 s0, s10, v44
	v_subrev_nc_u32_e32 v51, s9, v44
	v_ashrrev_i32_e32 v5, 31, v4
	v_mul_f32_e32 v1, 0x3fb8aa3b, v12
	s_delay_alu instid0(VALU_DEP_4) | instskip(NEXT) | instid1(SALU_CYCLE_1)
	s_and_b32 s0, vcc_lo, s0
	s_and_b32 vcc_lo, s17, s0
	s_delay_alu instid0(VALU_DEP_1) | instskip(SKIP_2) | instid1(VALU_DEP_3)
	v_rndne_f32_e32 v47, v1
	v_fma_f32 v3, 0x3fb8aa3b, v12, -v1
	v_lshlrev_b64 v[49:50], 2, v[4:5]
	v_sub_f32_e32 v1, v1, v47
	s_delay_alu instid0(VALU_DEP_3) | instskip(NEXT) | instid1(VALU_DEP_1)
	v_fmamk_f32 v3, v12, 0x32a5705f, v3
	v_add_f32_e32 v3, v1, v3
	v_ashrrev_i32_e32 v1, 31, v0
	s_delay_alu instid0(VALU_DEP_2) | instskip(NEXT) | instid1(VALU_DEP_1)
	v_exp_f32_e32 v52, v3
	v_lshlrev_b64 v[45:46], 2, v[0:1]
	v_ashrrev_i32_e32 v3, 31, v2
	v_cvt_i32_f32_e32 v1, v47
	s_delay_alu instid0(VALU_DEP_2) | instskip(SKIP_3) | instid1(TRANS32_DEP_1)
	v_lshlrev_b64 v[47:48], 2, v[2:3]
	v_cndmask_b32_e32 v3, 0x80, v51, vcc_lo
	v_add_co_u32 v45, vcc_lo, s12, v45
	v_add_co_ci_u32_e32 v46, vcc_lo, s13, v46, vcc_lo
	v_ldexp_f32 v1, v52, v1
	v_cmp_ngt_f32_e32 vcc_lo, 0xc2ce8ed0, v12
	s_delay_alu instid0(VALU_DEP_2)
	v_cndmask_b32_e32 v1, 0, v1, vcc_lo
	s_waitcnt lgkmcnt(0)
	v_add_co_u32 v47, vcc_lo, s4, v47
	v_add_co_ci_u32_e32 v48, vcc_lo, s5, v48, vcc_lo
	v_cmp_nlt_f32_e32 vcc_lo, 0x42b17218, v12
	v_cndmask_b32_e32 v12, 0x7f800000, v1, vcc_lo
	v_add_co_u32 v49, vcc_lo, s6, v49
	v_add_co_ci_u32_e32 v50, vcc_lo, s7, v50, vcc_lo
	global_store_b32 v[47:48], v3, off
	global_store_b32 v[45:46], v12, off
	;; [unrolled: 1-line block ×3, first 2 shown]
.LBB185_7:
	s_or_b32 exec_lo, exec_lo, s1
	v_ashrrev_i32_e32 v3, 31, v44
	s_mov_b32 s0, exec_lo
	s_delay_alu instid0(VALU_DEP_1) | instskip(NEXT) | instid1(VALU_DEP_1)
	v_lshrrev_b32_e32 v1, 28, v3
	v_add_nc_u32_e32 v1, v44, v1
	s_delay_alu instid0(VALU_DEP_1) | instskip(NEXT) | instid1(VALU_DEP_1)
	v_ashrrev_i32_e32 v1, 4, v1
	v_lshrrev_b32_e32 v5, 29, v1
	s_delay_alu instid0(VALU_DEP_1) | instskip(NEXT) | instid1(VALU_DEP_1)
	v_add_nc_u32_e32 v5, v1, v5
	v_and_b32_e32 v5, -8, v5
	s_delay_alu instid0(VALU_DEP_1) | instskip(NEXT) | instid1(VALU_DEP_1)
	v_sub_nc_u32_e32 v5, v1, v5
	v_cmpx_eq_u32_e64 v7, v5
	s_cbranch_execz .LBB185_9
; %bb.8:
	v_lshrrev_b32_e32 v3, 25, v3
	v_lshlrev_b32_e32 v1, 4, v1
	s_delay_alu instid0(VALU_DEP_2) | instskip(NEXT) | instid1(VALU_DEP_2)
	v_add_nc_u32_e32 v3, v44, v3
	v_sub_nc_u32_e32 v1, v44, v1
	s_delay_alu instid0(VALU_DEP_2) | instskip(NEXT) | instid1(VALU_DEP_1)
	v_ashrrev_i32_e32 v3, 7, v3
	v_lshl_add_u32 v1, v3, 4, v1
	s_delay_alu instid0(VALU_DEP_1)
	v_cmp_ne_u32_e32 vcc_lo, 15, v1
	v_cndmask_b32_e32 v8, 0xff800000, v8, vcc_lo
	v_cmp_ne_u32_e32 vcc_lo, 14, v1
	v_cndmask_b32_e32 v9, 0xff800000, v9, vcc_lo
	;; [unrolled: 2-line block ×16, first 2 shown]
.LBB185_9:
	s_or_b32 exec_lo, exec_lo, s0
	s_cmp_eq_u32 s8, 1
	s_cbranch_scc1 .LBB185_16
; %bb.10:
	s_add_i32 s18, s18, s16
	v_add_nc_u32_e32 v1, 1, v4
	v_add3_u32 v42, s18, v42, v6
	v_add_nc_u32_e32 v3, 1, v2
	v_add_nc_u32_e32 v5, 1, v0
	s_add_i32 s11, s8, -1
	s_branch .LBB185_12
.LBB185_11:                             ;   in Loop: Header=BB185_12 Depth=1
	s_or_b32 exec_lo, exec_lo, s0
	v_add_nc_u32_e32 v42, s16, v42
	v_add_nc_u32_e32 v1, 1, v1
	;; [unrolled: 1-line block ×4, first 2 shown]
	s_add_i32 s11, s11, -1
	s_delay_alu instid0(SALU_CYCLE_1)
	s_cmp_eq_u32 s11, 0
	s_cbranch_scc1 .LBB185_16
.LBB185_12:                             ; =>This Inner Loop Header: Depth=1
	v_cmp_gt_f32_e32 vcc_lo, v25, v26
	v_cndmask_b32_e32 v4, v26, v25, vcc_lo
	v_cndmask_b32_e32 v2, v23, v27, vcc_lo
	s_delay_alu instid0(VALU_DEP_2) | instskip(SKIP_1) | instid1(VALU_DEP_3)
	v_cmp_gt_f32_e32 vcc_lo, v24, v4
	v_cndmask_b32_e32 v4, v4, v24, vcc_lo
	v_cndmask_b32_e32 v2, v2, v28, vcc_lo
	s_delay_alu instid0(VALU_DEP_2) | instskip(SKIP_1) | instid1(VALU_DEP_3)
	;; [unrolled: 4-line block ×13, first 2 shown]
	v_cmp_gt_f32_e32 vcc_lo, v9, v4
	v_cndmask_b32_e32 v4, v4, v9, vcc_lo
	v_cndmask_b32_e32 v2, v2, v40, vcc_lo
	s_delay_alu instid0(VALU_DEP_2) | instskip(NEXT) | instid1(VALU_DEP_2)
	v_cmp_gt_f32_e32 vcc_lo, v8, v4
	v_cndmask_b32_e32 v2, v2, v41, vcc_lo
	v_cndmask_b32_e32 v4, v4, v8, vcc_lo
	s_delay_alu instid0(VALU_DEP_2) | instskip(NEXT) | instid1(VALU_DEP_2)
	v_mov_b32_dpp v6, v2 quad_perm:[1,0,3,2] row_mask:0xf bank_mask:0xf
	v_mov_b32_dpp v43, v4 quad_perm:[1,0,3,2] row_mask:0xf bank_mask:0xf
	s_delay_alu instid0(VALU_DEP_2) | instskip(NEXT) | instid1(VALU_DEP_2)
	v_cmp_lt_i32_e32 vcc_lo, v6, v2
	v_cmp_eq_f32_e64 s0, v4, v43
	v_cmp_lt_f32_e64 s1, v4, v43
	s_delay_alu instid0(VALU_DEP_2)
	s_and_b32 s0, s0, vcc_lo
	s_delay_alu instid0(VALU_DEP_1) | instid1(SALU_CYCLE_1)
	s_or_b32 vcc_lo, s1, s0
	v_cndmask_b32_e32 v4, v4, v43, vcc_lo
	v_cndmask_b32_e32 v6, v2, v6, vcc_lo
	s_delay_alu instid0(VALU_DEP_2) | instskip(NEXT) | instid1(VALU_DEP_2)
	v_mov_b32_dpp v2, v4 quad_perm:[2,3,0,1] row_mask:0xf bank_mask:0xf
	v_mov_b32_dpp v43, v6 quad_perm:[2,3,0,1] row_mask:0xf bank_mask:0xf
	s_delay_alu instid0(VALU_DEP_2) | instskip(NEXT) | instid1(VALU_DEP_2)
	v_cmp_eq_f32_e32 vcc_lo, v4, v2
	v_cmp_lt_i32_e64 s0, v43, v6
	v_cmp_lt_f32_e64 s1, v4, v2
	s_delay_alu instid0(VALU_DEP_2)
	s_and_b32 s0, vcc_lo, s0
	s_delay_alu instid0(VALU_DEP_1) | instid1(SALU_CYCLE_1)
	s_or_b32 vcc_lo, s1, s0
	v_cndmask_b32_e32 v2, v4, v2, vcc_lo
	v_cndmask_b32_e32 v6, v6, v43, vcc_lo
	s_delay_alu instid0(VALU_DEP_2) | instskip(NEXT) | instid1(VALU_DEP_2)
	v_mov_b32_dpp v4, v2 row_half_mirror row_mask:0xf bank_mask:0xf
	v_mov_b32_dpp v43, v6 row_half_mirror row_mask:0xf bank_mask:0xf
	s_delay_alu instid0(VALU_DEP_2) | instskip(NEXT) | instid1(VALU_DEP_2)
	v_cmp_eq_f32_e32 vcc_lo, v2, v4
	v_cmp_lt_i32_e64 s0, v43, v6
	v_cmp_lt_f32_e64 s1, v2, v4
	s_delay_alu instid0(VALU_DEP_2)
	s_and_b32 s0, vcc_lo, s0
	s_delay_alu instid0(VALU_DEP_1) | instid1(SALU_CYCLE_1)
	s_or_b32 vcc_lo, s1, s0
	v_cndmask_b32_e32 v43, v6, v43, vcc_lo
	s_and_saveexec_b32 s1, s2
	s_cbranch_execz .LBB185_14
; %bb.13:                               ;   in Loop: Header=BB185_12 Depth=1
	v_cndmask_b32_e32 v2, v2, v4, vcc_lo
	s_delay_alu instid0(VALU_DEP_2) | instskip(SKIP_4) | instid1(VALU_DEP_4)
	v_cmp_le_i32_e32 vcc_lo, s9, v43
	v_cmp_gt_i32_e64 s0, s10, v43
	v_ashrrev_i32_e32 v6, 31, v5
	v_subrev_nc_u32_e32 v51, s9, v43
	v_sub_f32_e32 v50, v2, v14
	s_and_b32 s0, vcc_lo, s0
	s_delay_alu instid0(SALU_CYCLE_1) | instskip(NEXT) | instid1(VALU_DEP_1)
	s_and_b32 vcc_lo, s17, s0
	v_mul_f32_e32 v2, 0x3fb8aa3b, v50
	s_delay_alu instid0(VALU_DEP_1) | instskip(SKIP_1) | instid1(VALU_DEP_2)
	v_fma_f32 v4, 0x3fb8aa3b, v50, -v2
	v_rndne_f32_e32 v44, v2
	v_fmac_f32_e32 v4, 0x32a5705f, v50
	s_delay_alu instid0(VALU_DEP_2) | instskip(SKIP_2) | instid1(VALU_DEP_3)
	v_sub_f32_e32 v2, v2, v44
	v_cvt_i32_f32_e32 v49, v44
	v_lshlrev_b64 v[44:45], 2, v[5:6]
	v_add_f32_e32 v2, v2, v4
	v_ashrrev_i32_e32 v4, 31, v3
	s_delay_alu instid0(VALU_DEP_2) | instskip(SKIP_1) | instid1(VALU_DEP_2)
	v_exp_f32_e32 v48, v2
	v_ashrrev_i32_e32 v2, 31, v1
	v_lshlrev_b64 v[46:47], 2, v[3:4]
	s_waitcnt_depctr 0xfff
	v_ldexp_f32 v4, v48, v49
	v_lshlrev_b64 v[48:49], 2, v[1:2]
	v_cndmask_b32_e32 v2, 0x80, v51, vcc_lo
	v_cmp_ngt_f32_e32 vcc_lo, 0xc2ce8ed0, v50
	s_delay_alu instid0(VALU_DEP_4) | instskip(SKIP_3) | instid1(VALU_DEP_4)
	v_cndmask_b32_e32 v4, 0, v4, vcc_lo
	v_add_co_u32 v44, vcc_lo, s12, v44
	v_add_co_ci_u32_e32 v45, vcc_lo, s13, v45, vcc_lo
	v_cmp_nlt_f32_e32 vcc_lo, 0x42b17218, v50
	v_cndmask_b32_e32 v4, 0x7f800000, v4, vcc_lo
	s_waitcnt lgkmcnt(0)
	v_add_co_u32 v46, vcc_lo, s4, v46
	v_add_co_ci_u32_e32 v47, vcc_lo, s5, v47, vcc_lo
	v_add_co_u32 v48, vcc_lo, s6, v48
	v_add_f32_e32 v12, v12, v4
	v_add_co_ci_u32_e32 v49, vcc_lo, s7, v49, vcc_lo
	global_store_b32 v[44:45], v4, off
	global_store_b32 v[46:47], v2, off
	;; [unrolled: 1-line block ×3, first 2 shown]
.LBB185_14:                             ;   in Loop: Header=BB185_12 Depth=1
	s_or_b32 exec_lo, exec_lo, s1
	s_delay_alu instid0(VALU_DEP_1) | instskip(SKIP_1) | instid1(VALU_DEP_1)
	v_ashrrev_i32_e32 v4, 31, v43
	s_mov_b32 s0, exec_lo
	v_lshrrev_b32_e32 v2, 28, v4
	s_delay_alu instid0(VALU_DEP_1) | instskip(NEXT) | instid1(VALU_DEP_1)
	v_add_nc_u32_e32 v2, v43, v2
	v_ashrrev_i32_e32 v2, 4, v2
	s_delay_alu instid0(VALU_DEP_1) | instskip(NEXT) | instid1(VALU_DEP_1)
	v_lshrrev_b32_e32 v6, 29, v2
	v_add_nc_u32_e32 v6, v2, v6
	s_delay_alu instid0(VALU_DEP_1) | instskip(NEXT) | instid1(VALU_DEP_1)
	v_and_b32_e32 v6, -8, v6
	v_sub_nc_u32_e32 v6, v2, v6
	s_delay_alu instid0(VALU_DEP_1)
	v_cmpx_eq_u32_e64 v7, v6
	s_cbranch_execz .LBB185_11
; %bb.15:                               ;   in Loop: Header=BB185_12 Depth=1
	v_lshrrev_b32_e32 v4, 25, v4
	v_lshlrev_b32_e32 v2, 4, v2
	s_delay_alu instid0(VALU_DEP_2) | instskip(NEXT) | instid1(VALU_DEP_2)
	v_add_nc_u32_e32 v4, v43, v4
	v_sub_nc_u32_e32 v2, v43, v2
	s_delay_alu instid0(VALU_DEP_2) | instskip(NEXT) | instid1(VALU_DEP_1)
	v_ashrrev_i32_e32 v4, 7, v4
	v_lshl_add_u32 v2, v4, 4, v2
	s_delay_alu instid0(VALU_DEP_1)
	v_cmp_ne_u32_e32 vcc_lo, 15, v2
	v_cndmask_b32_e32 v8, 0xff800000, v8, vcc_lo
	v_cmp_ne_u32_e32 vcc_lo, 14, v2
	v_cndmask_b32_e32 v9, 0xff800000, v9, vcc_lo
	;; [unrolled: 2-line block ×16, first 2 shown]
	s_branch .LBB185_11
.LBB185_16:
	v_sub_f32_e32 v4, v24, v14
	v_sub_f32_e32 v1, v26, v14
	;; [unrolled: 1-line block ×4, first 2 shown]
	s_delay_alu instid0(VALU_DEP_4) | instskip(NEXT) | instid1(VALU_DEP_4)
	v_dual_sub_f32 v13, v13, v14 :: v_dual_mul_f32 v26, 0x3fb8aa3b, v4
	v_dual_sub_f32 v2, v25, v14 :: v_dual_mul_f32 v3, 0x3fb8aa3b, v1
	v_sub_f32_e32 v21, v21, v14
	v_cmp_ngt_f32_e32 vcc_lo, 0xc2ce8ed0, v1
	v_sub_f32_e32 v8, v8, v14
	s_delay_alu instid0(VALU_DEP_4) | instskip(SKIP_3) | instid1(VALU_DEP_4)
	v_mul_f32_e32 v5, 0x3fb8aa3b, v2
	v_rndne_f32_e32 v23, v3
	v_dual_mul_f32 v28, 0x3fb8aa3b, v21 :: v_dual_sub_f32 v9, v9, v14
	v_sub_f32_e32 v20, v20, v14
	v_rndne_f32_e32 v25, v5
	v_sub_f32_e32 v6, v22, v14
	v_fma_f32 v22, 0x3fb8aa3b, v1, -v3
	v_sub_f32_e32 v3, v3, v23
	v_fma_f32 v24, 0x3fb8aa3b, v2, -v5
	v_sub_f32_e32 v5, v5, v25
	v_cvt_i32_f32_e32 v23, v23
	v_fmac_f32_e32 v22, 0x32a5705f, v1
	v_cvt_i32_f32_e32 v25, v25
	s_delay_alu instid0(VALU_DEP_2) | instskip(SKIP_1) | instid1(VALU_DEP_1)
	v_add_f32_e32 v3, v3, v22
	v_fma_f32 v22, 0x3fb8aa3b, v4, -v26
	v_fmac_f32_e32 v22, 0x32a5705f, v4
	s_delay_alu instid0(VALU_DEP_3) | instskip(SKIP_2) | instid1(VALU_DEP_1)
	v_exp_f32_e32 v3, v3
	s_waitcnt_depctr 0xfff
	v_ldexp_f32 v3, v3, v23
	v_dual_fmac_f32 v24, 0x32a5705f, v2 :: v_dual_cndmask_b32 v3, 0, v3
	s_delay_alu instid0(VALU_DEP_1) | instskip(SKIP_3) | instid1(VALU_DEP_3)
	v_add_f32_e32 v5, v5, v24
	v_rndne_f32_e32 v24, v26
	v_mul_f32_e32 v27, 0x3fb8aa3b, v6
	v_cmp_ngt_f32_e32 vcc_lo, 0xc2ce8ed0, v2
	v_sub_f32_e32 v26, v26, v24
	s_delay_alu instid0(VALU_DEP_3) | instskip(SKIP_2) | instid1(VALU_DEP_4)
	v_fma_f32 v29, 0x3fb8aa3b, v6, -v27
	v_rndne_f32_e32 v30, v27
	v_cvt_i32_f32_e32 v24, v24
	v_add_f32_e32 v22, v26, v22
	v_exp_f32_e32 v5, v5
	s_delay_alu instid0(VALU_DEP_1) | instskip(SKIP_2) | instid1(VALU_DEP_1)
	v_exp_f32_e32 v22, v22
	s_waitcnt_depctr 0xfff
	v_ldexp_f32 v5, v5, v25
	v_cndmask_b32_e32 v5, 0, v5, vcc_lo
	v_cmp_nlt_f32_e32 vcc_lo, 0x42b17218, v1
	v_cndmask_b32_e32 v1, 0x7f800000, v3, vcc_lo
	v_cmp_nlt_f32_e32 vcc_lo, 0x42b17218, v2
	v_sub_f32_e32 v23, v27, v30
	v_fma_f32 v3, 0x3fb8aa3b, v21, -v28
	v_cndmask_b32_e32 v2, 0x7f800000, v5, vcc_lo
	v_ldexp_f32 v5, v22, v24
	v_cmp_ngt_f32_e32 vcc_lo, 0xc2ce8ed0, v4
	v_fmac_f32_e32 v29, 0x32a5705f, v6
	v_rndne_f32_e32 v22, v28
	s_delay_alu instid0(VALU_DEP_4) | instskip(NEXT) | instid1(VALU_DEP_3)
	v_dual_add_f32 v1, v1, v2 :: v_dual_cndmask_b32 v2, 0, v5
	v_add_f32_e32 v23, v23, v29
	v_cvt_i32_f32_e32 v5, v30
	v_cmp_nlt_f32_e32 vcc_lo, 0x42b17218, v4
	v_sub_f32_e32 v24, v28, v22
	s_delay_alu instid0(VALU_DEP_4) | instskip(SKIP_2) | instid1(VALU_DEP_2)
	v_exp_f32_e32 v23, v23
	v_cndmask_b32_e32 v2, 0x7f800000, v2, vcc_lo
	v_cmp_ngt_f32_e32 vcc_lo, 0xc2ce8ed0, v6
	v_add_f32_e32 v1, v1, v2
	s_waitcnt_depctr 0xfff
	v_ldexp_f32 v4, v23, v5
	v_mul_f32_e32 v5, 0x3fb8aa3b, v20
	s_delay_alu instid0(VALU_DEP_2)
	v_cndmask_b32_e32 v2, 0, v4, vcc_lo
	v_cmp_nlt_f32_e32 vcc_lo, 0x42b17218, v6
	v_cvt_i32_f32_e32 v6, v22
	v_mul_f32_e32 v22, 0x3fb8aa3b, v19
	v_fma_f32 v4, 0x3fb8aa3b, v20, -v5
	v_fmac_f32_e32 v3, 0x32a5705f, v21
	v_rndne_f32_e32 v23, v5
	v_cndmask_b32_e32 v2, 0x7f800000, v2, vcc_lo
	v_cmp_ngt_f32_e32 vcc_lo, 0xc2ce8ed0, v21
	s_delay_alu instid0(VALU_DEP_4) | instskip(NEXT) | instid1(VALU_DEP_4)
	v_dual_fmac_f32 v4, 0x32a5705f, v20 :: v_dual_add_f32 v3, v24, v3
	v_sub_f32_e32 v5, v5, v23
	s_delay_alu instid0(VALU_DEP_4) | instskip(NEXT) | instid1(VALU_DEP_3)
	v_add_f32_e32 v1, v1, v2
	v_exp_f32_e32 v3, v3
	s_waitcnt_depctr 0xfff
	v_ldexp_f32 v2, v3, v6
	v_add_f32_e32 v3, v5, v4
	v_fma_f32 v4, 0x3fb8aa3b, v19, -v22
	v_rndne_f32_e32 v5, v22
	s_delay_alu instid0(VALU_DEP_4) | instskip(NEXT) | instid1(VALU_DEP_4)
	v_cndmask_b32_e32 v2, 0, v2, vcc_lo
	v_exp_f32_e32 v3, v3
	s_delay_alu instid0(VALU_DEP_3) | instskip(NEXT) | instid1(VALU_DEP_3)
	v_fmac_f32_e32 v4, 0x32a5705f, v19
	v_sub_f32_e32 v6, v22, v5
	v_cmp_nlt_f32_e32 vcc_lo, 0x42b17218, v21
	v_cvt_i32_f32_e32 v21, v23
	v_cvt_i32_f32_e32 v5, v5
	s_delay_alu instid0(VALU_DEP_4) | instskip(SKIP_2) | instid1(VALU_DEP_2)
	v_add_f32_e32 v4, v6, v4
	v_cndmask_b32_e32 v2, 0x7f800000, v2, vcc_lo
	v_cmp_ngt_f32_e32 vcc_lo, 0xc2ce8ed0, v20
	v_add_f32_e32 v1, v1, v2
	v_ldexp_f32 v2, v3, v21
	v_exp_f32_e32 v3, v4
	s_delay_alu instid0(VALU_DEP_1) | instskip(SKIP_1) | instid1(VALU_DEP_2)
	v_cndmask_b32_e32 v2, 0, v2, vcc_lo
	v_cmp_nlt_f32_e32 vcc_lo, 0x42b17218, v20
	v_cndmask_b32_e32 v2, 0x7f800000, v2, vcc_lo
	s_waitcnt_depctr 0xfff
	v_ldexp_f32 v3, v3, v5
	v_cmp_ngt_f32_e32 vcc_lo, 0xc2ce8ed0, v19
	v_sub_f32_e32 v5, v17, v14
	v_sub_f32_e32 v18, v18, v14
	s_delay_alu instid0(VALU_DEP_1) | instskip(NEXT) | instid1(VALU_DEP_1)
	v_mul_f32_e32 v6, 0x3fb8aa3b, v18
	v_fma_f32 v4, 0x3fb8aa3b, v18, -v6
	v_rndne_f32_e32 v21, v6
	s_delay_alu instid0(VALU_DEP_2) | instskip(NEXT) | instid1(VALU_DEP_2)
	v_fmac_f32_e32 v4, 0x32a5705f, v18
	v_sub_f32_e32 v6, v6, v21
	s_delay_alu instid0(VALU_DEP_1) | instskip(SKIP_3) | instid1(VALU_DEP_4)
	v_dual_add_f32 v4, v6, v4 :: v_dual_add_f32 v1, v1, v2
	v_cndmask_b32_e32 v2, 0, v3, vcc_lo
	v_cmp_nlt_f32_e32 vcc_lo, 0x42b17218, v19
	v_sub_f32_e32 v6, v16, v14
	v_exp_f32_e32 v3, v4
	v_mul_f32_e32 v4, 0x3fb8aa3b, v5
	v_cvt_i32_f32_e32 v16, v21
	v_mul_f32_e32 v21, 0x3fb8aa3b, v13
	v_cndmask_b32_e32 v2, 0x7f800000, v2, vcc_lo
	s_delay_alu instid0(VALU_DEP_4) | instskip(SKIP_1) | instid1(VALU_DEP_3)
	v_fma_f32 v17, 0x3fb8aa3b, v5, -v4
	v_rndne_f32_e32 v19, v4
	v_add_f32_e32 v1, v1, v2
	s_delay_alu instid0(TRANS32_DEP_1) | instskip(NEXT) | instid1(VALU_DEP_4)
	v_ldexp_f32 v2, v3, v16
	v_fmac_f32_e32 v17, 0x32a5705f, v5
	s_delay_alu instid0(VALU_DEP_4) | instskip(SKIP_2) | instid1(VALU_DEP_3)
	v_sub_f32_e32 v3, v4, v19
	v_cmp_ngt_f32_e32 vcc_lo, 0xc2ce8ed0, v18
	v_cvt_i32_f32_e32 v19, v19
	v_dual_add_f32 v3, v3, v17 :: v_dual_cndmask_b32 v2, 0, v2
	v_cmp_nlt_f32_e32 vcc_lo, 0x42b17218, v18
	s_delay_alu instid0(VALU_DEP_2) | instskip(NEXT) | instid1(VALU_DEP_2)
	v_exp_f32_e32 v3, v3
	v_cndmask_b32_e32 v2, 0x7f800000, v2, vcc_lo
	v_cmp_ngt_f32_e32 vcc_lo, 0xc2ce8ed0, v5
	s_delay_alu instid0(VALU_DEP_2) | instskip(SKIP_3) | instid1(VALU_DEP_2)
	v_add_f32_e32 v1, v1, v2
	s_waitcnt_depctr 0xfff
	v_ldexp_f32 v2, v3, v19
	v_rndne_f32_e32 v19, v21
	v_cndmask_b32_e32 v2, 0, v2, vcc_lo
	v_cmp_nlt_f32_e32 vcc_lo, 0x42b17218, v5
	s_delay_alu instid0(VALU_DEP_2) | instskip(SKIP_2) | instid1(VALU_DEP_1)
	v_cndmask_b32_e32 v2, 0x7f800000, v2, vcc_lo
	v_cmp_ngt_f32_e32 vcc_lo, 0xc2ce8ed0, v6
	v_mul_f32_e32 v20, 0x3fb8aa3b, v6
	v_fma_f32 v4, 0x3fb8aa3b, v6, -v20
	v_rndne_f32_e32 v16, v20
	s_delay_alu instid0(VALU_DEP_1) | instskip(SKIP_1) | instid1(VALU_DEP_2)
	v_dual_fmac_f32 v4, 0x32a5705f, v6 :: v_dual_sub_f32 v17, v20, v16
	v_cvt_i32_f32_e32 v3, v16
	v_add_f32_e32 v4, v17, v4
	v_mul_f32_e32 v20, 0x3fb8aa3b, v15
	s_delay_alu instid0(VALU_DEP_2) | instskip(NEXT) | instid1(VALU_DEP_1)
	v_exp_f32_e32 v4, v4
	v_fma_f32 v17, 0x3fb8aa3b, v15, -v20
	v_rndne_f32_e32 v18, v20
	s_delay_alu instid0(VALU_DEP_2) | instskip(NEXT) | instid1(VALU_DEP_2)
	v_fmac_f32_e32 v17, 0x32a5705f, v15
	v_cvt_i32_f32_e32 v5, v18
	s_waitcnt_depctr 0xfff
	v_ldexp_f32 v3, v4, v3
	s_delay_alu instid0(VALU_DEP_1) | instskip(SKIP_1) | instid1(VALU_DEP_2)
	v_cndmask_b32_e32 v3, 0, v3, vcc_lo
	v_cmp_nlt_f32_e32 vcc_lo, 0x42b17218, v6
	v_dual_sub_f32 v20, v20, v18 :: v_dual_cndmask_b32 v3, 0x7f800000, v3
	s_delay_alu instid0(VALU_DEP_1) | instskip(SKIP_2) | instid1(VALU_DEP_3)
	v_add_f32_e32 v16, v20, v17
	v_fma_f32 v17, 0x3fb8aa3b, v13, -v21
	v_cmp_ngt_f32_e32 vcc_lo, 0xc2ce8ed0, v15
	v_exp_f32_e32 v4, v16
	s_delay_alu instid0(VALU_DEP_2) | instskip(NEXT) | instid1(VALU_DEP_1)
	v_dual_fmac_f32 v17, 0x32a5705f, v13 :: v_dual_sub_f32 v16, v21, v19
	v_dual_add_f32 v16, v16, v17 :: v_dual_add_f32 v1, v1, v2
	s_waitcnt_depctr 0xfff
	v_ldexp_f32 v2, v4, v5
	v_sub_f32_e32 v5, v11, v14
	v_exp_f32_e32 v4, v16
	v_mul_f32_e32 v16, 0x3fb8aa3b, v8
	s_delay_alu instid0(VALU_DEP_3)
	v_cndmask_b32_e32 v2, 0, v2, vcc_lo
	v_cmp_nlt_f32_e32 vcc_lo, 0x42b17218, v15
	v_dual_mul_f32 v6, 0x3fb8aa3b, v5 :: v_dual_add_f32 v1, v1, v3
	v_cvt_i32_f32_e32 v3, v19
	v_rndne_f32_e32 v17, v16
	v_cndmask_b32_e32 v2, 0x7f800000, v2, vcc_lo
	v_cmp_ngt_f32_e32 vcc_lo, 0xc2ce8ed0, v13
	s_delay_alu instid0(TRANS32_DEP_1) | instid1(VALU_DEP_4)
	v_ldexp_f32 v3, v4, v3
	v_rndne_f32_e32 v4, v6
	s_delay_alu instid0(VALU_DEP_4) | instskip(SKIP_1) | instid1(VALU_DEP_4)
	v_add_f32_e32 v1, v1, v2
	v_fma_f32 v2, 0x3fb8aa3b, v5, -v6
	v_cndmask_b32_e32 v3, 0, v3, vcc_lo
	v_cmp_nlt_f32_e32 vcc_lo, 0x42b17218, v13
	v_sub_f32_e32 v10, v10, v14
	s_delay_alu instid0(VALU_DEP_4) | instskip(SKIP_2) | instid1(VALU_DEP_4)
	v_fmac_f32_e32 v2, 0x32a5705f, v5
	v_mul_f32_e32 v13, 0x3fb8aa3b, v9
	v_dual_cndmask_b32 v3, 0x7f800000, v3 :: v_dual_sub_f32 v6, v6, v4
	v_mul_f32_e32 v11, 0x3fb8aa3b, v10
	s_delay_alu instid0(VALU_DEP_3) | instskip(SKIP_1) | instid1(VALU_DEP_4)
	v_fma_f32 v14, 0x3fb8aa3b, v9, -v13
	v_cvt_i32_f32_e32 v4, v4
	v_dual_add_f32 v1, v1, v3 :: v_dual_add_f32 v2, v6, v2
	s_delay_alu instid0(VALU_DEP_4)
	v_fma_f32 v3, 0x3fb8aa3b, v10, -v11
	v_rndne_f32_e32 v6, v11
	v_fmac_f32_e32 v14, 0x32a5705f, v9
	v_cmp_ngt_f32_e32 vcc_lo, 0xc2ce8ed0, v5
	v_exp_f32_e32 v2, v2
	v_fmac_f32_e32 v3, 0x32a5705f, v10
	v_sub_f32_e32 v11, v11, v6
	v_cvt_i32_f32_e32 v6, v6
	v_rndne_f32_e32 v15, v13
	s_delay_alu instid0(VALU_DEP_3) | instskip(NEXT) | instid1(VALU_DEP_2)
	v_add_f32_e32 v3, v11, v3
	v_sub_f32_e32 v11, v13, v15
	s_delay_alu instid0(TRANS32_DEP_1) | instskip(NEXT) | instid1(VALU_DEP_3)
	v_ldexp_f32 v2, v2, v4
	v_exp_f32_e32 v3, v3
	s_delay_alu instid0(VALU_DEP_1) | instskip(SKIP_2) | instid1(VALU_DEP_3)
	v_cndmask_b32_e32 v2, 0, v2, vcc_lo
	v_cmp_nlt_f32_e32 vcc_lo, 0x42b17218, v5
	v_cvt_i32_f32_e32 v5, v15
	v_cndmask_b32_e32 v2, 0x7f800000, v2, vcc_lo
	s_waitcnt_depctr 0xfff
	v_ldexp_f32 v3, v3, v6
	v_cmp_ngt_f32_e32 vcc_lo, 0xc2ce8ed0, v10
	v_add_f32_e32 v1, v1, v2
	s_delay_alu instid0(VALU_DEP_3) | instskip(SKIP_3) | instid1(VALU_DEP_3)
	v_cndmask_b32_e32 v3, 0, v3, vcc_lo
	v_fma_f32 v13, 0x3fb8aa3b, v8, -v16
	v_cmp_nlt_f32_e32 vcc_lo, 0x42b17218, v10
	v_dual_add_f32 v4, v11, v14 :: v_dual_sub_f32 v11, v16, v17
	v_fmac_f32_e32 v13, 0x32a5705f, v8
	v_cndmask_b32_e32 v3, 0x7f800000, v3, vcc_lo
	s_delay_alu instid0(VALU_DEP_3) | instskip(SKIP_1) | instid1(VALU_DEP_3)
	v_exp_f32_e32 v4, v4
	v_cmp_ngt_f32_e32 vcc_lo, 0xc2ce8ed0, v9
	v_add_f32_e32 v11, v11, v13
	s_delay_alu instid0(VALU_DEP_3) | instskip(NEXT) | instid1(VALU_DEP_2)
	v_add_f32_e32 v1, v1, v3
	v_exp_f32_e32 v6, v11
	s_waitcnt_depctr 0xfff
	v_ldexp_f32 v2, v4, v5
	v_cvt_i32_f32_e32 v4, v17
	s_delay_alu instid0(VALU_DEP_1) | instskip(NEXT) | instid1(VALU_DEP_3)
	v_ldexp_f32 v4, v6, v4
	v_cndmask_b32_e32 v2, 0, v2, vcc_lo
	v_cmp_nlt_f32_e32 vcc_lo, 0x42b17218, v9
	s_delay_alu instid0(VALU_DEP_2) | instskip(SKIP_1) | instid1(VALU_DEP_2)
	v_cndmask_b32_e32 v2, 0x7f800000, v2, vcc_lo
	v_cmp_ngt_f32_e32 vcc_lo, 0xc2ce8ed0, v8
	v_add_f32_e32 v1, v1, v2
	v_cndmask_b32_e32 v3, 0, v4, vcc_lo
	v_cmp_nlt_f32_e32 vcc_lo, 0x42b17218, v8
	s_delay_alu instid0(VALU_DEP_2) | instskip(SKIP_1) | instid1(VALU_DEP_2)
	v_cndmask_b32_e32 v2, 0x7f800000, v3, vcc_lo
	v_cmp_eq_u32_e32 vcc_lo, 0, v7
	v_add_f32_e32 v1, v1, v2
	s_delay_alu instid0(VALU_DEP_1) | instskip(NEXT) | instid1(VALU_DEP_1)
	v_mov_b32_dpp v2, v1 quad_perm:[1,0,3,2] row_mask:0xf bank_mask:0xf
	v_add_f32_e32 v1, v1, v2
	s_delay_alu instid0(VALU_DEP_1) | instskip(NEXT) | instid1(VALU_DEP_1)
	v_mov_b32_dpp v2, v1 quad_perm:[2,3,0,1] row_mask:0xf bank_mask:0xf
	v_add_f32_e32 v1, v1, v2
	s_delay_alu instid0(VALU_DEP_1)
	v_mov_b32_dpp v2, v1 row_half_mirror row_mask:0xf bank_mask:0xf
	s_and_b32 exec_lo, exec_lo, vcc_lo
	s_cbranch_execz .LBB185_21
; %bb.17:
	s_delay_alu instid0(VALU_DEP_1) | instskip(NEXT) | instid1(VALU_DEP_1)
	v_add_f32_e32 v1, v1, v2
	v_add_f32_e32 v2, v12, v1
	s_delay_alu instid0(VALU_DEP_1)
	v_cmp_neq_f32_e32 vcc_lo, 0, v2
	s_and_b32 exec_lo, exec_lo, vcc_lo
	s_cbranch_execz .LBB185_21
; %bb.18:
	s_and_not1_b32 vcc_lo, exec_lo, s3
	s_cbranch_vccnz .LBB185_21
; %bb.19:
	v_div_scale_f32 v1, null, v2, v2, 1.0
	v_div_scale_f32 v5, vcc_lo, 1.0, v2, 1.0
	s_delay_alu instid0(VALU_DEP_2) | instskip(SKIP_2) | instid1(VALU_DEP_1)
	v_rcp_f32_e32 v3, v1
	s_waitcnt_depctr 0xfff
	v_fma_f32 v4, -v1, v3, 1.0
	v_fmac_f32_e32 v3, v4, v3
	s_delay_alu instid0(VALU_DEP_1) | instskip(NEXT) | instid1(VALU_DEP_1)
	v_mul_f32_e32 v4, v5, v3
	v_fma_f32 v6, -v1, v4, v5
	s_delay_alu instid0(VALU_DEP_1) | instskip(NEXT) | instid1(VALU_DEP_1)
	v_fmac_f32_e32 v4, v6, v3
	v_fma_f32 v5, -v1, v4, v5
	v_ashrrev_i32_e32 v1, 31, v0
	s_delay_alu instid0(VALU_DEP_2) | instskip(NEXT) | instid1(VALU_DEP_2)
	v_div_fmas_f32 v3, v5, v3, v4
	v_lshlrev_b64 v[0:1], 2, v[0:1]
	s_delay_alu instid0(VALU_DEP_2) | instskip(NEXT) | instid1(VALU_DEP_2)
	v_div_fixup_f32 v2, v3, v2, 1.0
	v_add_co_u32 v0, vcc_lo, s12, v0
	s_delay_alu instid0(VALU_DEP_3)
	v_add_co_ci_u32_e32 v1, vcc_lo, s13, v1, vcc_lo
.LBB185_20:                             ; =>This Inner Loop Header: Depth=1
	global_load_b32 v3, v[0:1], off
	s_add_i32 s8, s8, -1
	s_delay_alu instid0(SALU_CYCLE_1)
	s_cmp_lg_u32 s8, 0
	s_waitcnt vmcnt(0)
	v_mul_f32_e32 v3, v2, v3
	global_store_b32 v[0:1], v3, off
	v_add_co_u32 v0, vcc_lo, v0, 4
	v_add_co_ci_u32_e32 v1, vcc_lo, 0, v1, vcc_lo
	s_cbranch_scc1 .LBB185_20
.LBB185_21:
	s_nop 0
	s_sendmsg sendmsg(MSG_DEALLOC_VGPRS)
	s_endpgm
	.section	.rodata,"a",@progbits
	.p2align	6, 0x0
	.amdhsa_kernel _ZN4vllm3moe17topkGatingSoftmaxIDF16_Li16ELi128ELi8ELi32ELb0ELi8ELNS0_23SharedExpertScoringFuncE1EEEvPKT_PKbPfiPiS9_iiiiii
		.amdhsa_group_segment_fixed_size 0
		.amdhsa_private_segment_fixed_size 0
		.amdhsa_kernarg_size 72
		.amdhsa_user_sgpr_count 15
		.amdhsa_user_sgpr_dispatch_ptr 0
		.amdhsa_user_sgpr_queue_ptr 0
		.amdhsa_user_sgpr_kernarg_segment_ptr 1
		.amdhsa_user_sgpr_dispatch_id 0
		.amdhsa_user_sgpr_private_segment_size 0
		.amdhsa_wavefront_size32 1
		.amdhsa_uses_dynamic_stack 0
		.amdhsa_enable_private_segment 0
		.amdhsa_system_sgpr_workgroup_id_x 1
		.amdhsa_system_sgpr_workgroup_id_y 0
		.amdhsa_system_sgpr_workgroup_id_z 0
		.amdhsa_system_sgpr_workgroup_info 0
		.amdhsa_system_vgpr_workitem_id 1
		.amdhsa_next_free_vgpr 53
		.amdhsa_next_free_sgpr 19
		.amdhsa_reserve_vcc 1
		.amdhsa_float_round_mode_32 0
		.amdhsa_float_round_mode_16_64 0
		.amdhsa_float_denorm_mode_32 3
		.amdhsa_float_denorm_mode_16_64 3
		.amdhsa_dx10_clamp 1
		.amdhsa_ieee_mode 1
		.amdhsa_fp16_overflow 0
		.amdhsa_workgroup_processor_mode 1
		.amdhsa_memory_ordered 1
		.amdhsa_forward_progress 0
		.amdhsa_shared_vgpr_count 0
		.amdhsa_exception_fp_ieee_invalid_op 0
		.amdhsa_exception_fp_denorm_src 0
		.amdhsa_exception_fp_ieee_div_zero 0
		.amdhsa_exception_fp_ieee_overflow 0
		.amdhsa_exception_fp_ieee_underflow 0
		.amdhsa_exception_fp_ieee_inexact 0
		.amdhsa_exception_int_div_zero 0
	.end_amdhsa_kernel
	.section	.text._ZN4vllm3moe17topkGatingSoftmaxIDF16_Li16ELi128ELi8ELi32ELb0ELi8ELNS0_23SharedExpertScoringFuncE1EEEvPKT_PKbPfiPiS9_iiiiii,"axG",@progbits,_ZN4vllm3moe17topkGatingSoftmaxIDF16_Li16ELi128ELi8ELi32ELb0ELi8ELNS0_23SharedExpertScoringFuncE1EEEvPKT_PKbPfiPiS9_iiiiii,comdat
.Lfunc_end185:
	.size	_ZN4vllm3moe17topkGatingSoftmaxIDF16_Li16ELi128ELi8ELi32ELb0ELi8ELNS0_23SharedExpertScoringFuncE1EEEvPKT_PKbPfiPiS9_iiiiii, .Lfunc_end185-_ZN4vllm3moe17topkGatingSoftmaxIDF16_Li16ELi128ELi8ELi32ELb0ELi8ELNS0_23SharedExpertScoringFuncE1EEEvPKT_PKbPfiPiS9_iiiiii
                                        ; -- End function
	.section	.AMDGPU.csdata,"",@progbits
; Kernel info:
; codeLenInByte = 4868
; NumSgprs: 21
; NumVgprs: 53
; ScratchSize: 0
; MemoryBound: 0
; FloatMode: 240
; IeeeMode: 1
; LDSByteSize: 0 bytes/workgroup (compile time only)
; SGPRBlocks: 2
; VGPRBlocks: 6
; NumSGPRsForWavesPerEU: 21
; NumVGPRsForWavesPerEU: 53
; Occupancy: 16
; WaveLimiterHint : 0
; COMPUTE_PGM_RSRC2:SCRATCH_EN: 0
; COMPUTE_PGM_RSRC2:USER_SGPR: 15
; COMPUTE_PGM_RSRC2:TRAP_HANDLER: 0
; COMPUTE_PGM_RSRC2:TGID_X_EN: 1
; COMPUTE_PGM_RSRC2:TGID_Y_EN: 0
; COMPUTE_PGM_RSRC2:TGID_Z_EN: 0
; COMPUTE_PGM_RSRC2:TIDIG_COMP_CNT: 1
	.section	.text._ZN4vllm3moe17topkGatingSoftmaxIDF16_Li16ELi256ELi8ELi32ELb1ELi0ELNS0_23SharedExpertScoringFuncE0EEEvPKT_PKbPfiPiS9_iiiiii,"axG",@progbits,_ZN4vllm3moe17topkGatingSoftmaxIDF16_Li16ELi256ELi8ELi32ELb1ELi0ELNS0_23SharedExpertScoringFuncE0EEEvPKT_PKbPfiPiS9_iiiiii,comdat
	.protected	_ZN4vllm3moe17topkGatingSoftmaxIDF16_Li16ELi256ELi8ELi32ELb1ELi0ELNS0_23SharedExpertScoringFuncE0EEEvPKT_PKbPfiPiS9_iiiiii ; -- Begin function _ZN4vllm3moe17topkGatingSoftmaxIDF16_Li16ELi256ELi8ELi32ELb1ELi0ELNS0_23SharedExpertScoringFuncE0EEEvPKT_PKbPfiPiS9_iiiiii
	.globl	_ZN4vllm3moe17topkGatingSoftmaxIDF16_Li16ELi256ELi8ELi32ELb1ELi0ELNS0_23SharedExpertScoringFuncE0EEEvPKT_PKbPfiPiS9_iiiiii
	.p2align	8
	.type	_ZN4vllm3moe17topkGatingSoftmaxIDF16_Li16ELi256ELi8ELi32ELb1ELi0ELNS0_23SharedExpertScoringFuncE0EEEvPKT_PKbPfiPiS9_iiiiii,@function
_ZN4vllm3moe17topkGatingSoftmaxIDF16_Li16ELi256ELi8ELi32ELb1ELi0ELNS0_23SharedExpertScoringFuncE0EEEvPKT_PKbPfiPiS9_iiiiii: ; @_ZN4vllm3moe17topkGatingSoftmaxIDF16_Li16ELi256ELi8ELi32ELb1ELi0ELNS0_23SharedExpertScoringFuncE0EEEvPKT_PKbPfiPiS9_iiiiii
; %bb.0:
	s_load_b32 s16, s[0:1], 0x18
	v_bfe_u32 v1, v0, 10, 10
	v_and_b32_e32 v0, 0x3ff, v0
	s_lshl_b32 s18, s15, 4
	s_mov_b32 s2, exec_lo
	s_delay_alu instid0(VALU_DEP_2) | instskip(NEXT) | instid1(VALU_DEP_2)
	v_lshlrev_b32_e32 v42, 1, v1
	v_lshrrev_b32_e32 v43, 4, v0
	s_delay_alu instid0(VALU_DEP_1) | instskip(SKIP_1) | instid1(VALU_DEP_1)
	v_add3_u32 v7, s18, v42, v43
	s_waitcnt lgkmcnt(0)
	v_cmpx_gt_i32_e64 s16, v7
	s_cbranch_execz .LBB186_20
; %bb.1:
	s_clause 0x1
	s_load_b128 s[4:7], s[0:1], 0x0
	s_load_b64 s[12:13], s[0:1], 0x10
	s_waitcnt lgkmcnt(0)
	s_cmp_eq_u64 s[6:7], 0
	s_cbranch_scc1 .LBB186_3
; %bb.2:
	v_ashrrev_i32_e32 v2, 31, v7
	v_add_co_u32 v1, vcc_lo, s6, v7
	s_delay_alu instid0(VALU_DEP_2) | instskip(SKIP_3) | instid1(VALU_DEP_1)
	v_add_co_ci_u32_e32 v2, vcc_lo, s7, v2, vcc_lo
	global_load_u8 v1, v[1:2], off
	s_waitcnt vmcnt(0)
	v_and_b32_e32 v1, 1, v1
	v_cmp_eq_u32_e32 vcc_lo, 1, v1
	s_xor_b32 s2, vcc_lo, -1
	s_delay_alu instid0(SALU_CYCLE_1)
	s_or_not1_b32 s17, s2, exec_lo
	s_branch .LBB186_4
.LBB186_3:
	s_mov_b32 s17, -1
.LBB186_4:
	s_load_b64 s[14:15], s[0:1], 0x40
	v_and_b32_e32 v8, 15, v0
	s_delay_alu instid0(VALU_DEP_1) | instskip(NEXT) | instid1(VALU_DEP_1)
	v_dual_mov_b32 v6, 0 :: v_dual_lshlrev_b32 v9, 4, v8
	v_or_b32_e32 v10, 1, v9
	v_or_b32_e32 v14, 2, v9
	s_waitcnt lgkmcnt(0)
	v_mul_lo_u32 v1, v7, s15
	s_delay_alu instid0(VALU_DEP_1) | instskip(NEXT) | instid1(VALU_DEP_1)
	v_ashrrev_i32_e32 v2, 31, v1
	v_lshlrev_b64 v[0:1], 1, v[1:2]
	v_lshlrev_b32_e32 v2, 5, v8
	s_delay_alu instid0(VALU_DEP_2) | instskip(NEXT) | instid1(VALU_DEP_3)
	v_add_co_u32 v0, vcc_lo, s4, v0
	v_add_co_ci_u32_e32 v1, vcc_lo, s5, v1, vcc_lo
	s_load_b128 s[4:7], s[0:1], 0x30
	s_delay_alu instid0(VALU_DEP_2) | instskip(NEXT) | instid1(VALU_DEP_2)
	v_add_co_u32 v4, vcc_lo, v0, v2
	v_add_co_ci_u32_e32 v5, vcc_lo, 0, v1, vcc_lo
	s_clause 0x1
	global_load_b128 v[0:3], v[4:5], off
	global_load_b128 v[35:38], v[4:5], off offset:16
	s_waitcnt vmcnt(1)
	v_lshrrev_b32_e32 v4, 16, v0
	v_cvt_f32_f16_e32 v11, v0
	v_cvt_f32_f16_e32 v13, v1
	;; [unrolled: 1-line block ×3, first 2 shown]
	v_lshrrev_b32_e32 v1, 16, v1
	v_cvt_f32_f16_e32 v12, v4
	v_cmp_lt_f16_e32 vcc_lo, v0, v4
	v_lshrrev_b32_e32 v2, 16, v2
	v_cvt_f32_f16_e32 v21, v3
	v_cvt_f32_f16_e32 v15, v1
	s_waitcnt vmcnt(0)
	v_cvt_f32_f16_e32 v25, v35
	v_cndmask_b32_e32 v4, v11, v12, vcc_lo
	v_cndmask_b32_e32 v0, v9, v10, vcc_lo
	v_cvt_f32_f16_e32 v19, v2
	v_lshrrev_b32_e32 v2, 16, v3
	v_cvt_f32_f16_e32 v29, v36
	v_cmp_lt_f32_e32 vcc_lo, v4, v13
	v_cvt_f32_f16_e32 v33, v37
	s_delay_alu instid0(VALU_DEP_4)
	v_cvt_f32_f16_e32 v23, v2
	v_lshrrev_b32_e32 v2, 16, v35
	v_cndmask_b32_e32 v1, v4, v13, vcc_lo
	v_cndmask_b32_e32 v0, v0, v14, vcc_lo
	v_or_b32_e32 v16, 3, v9
	v_or_b32_e32 v18, 4, v9
	;; [unrolled: 1-line block ×3, first 2 shown]
	v_cmp_lt_f32_e32 vcc_lo, v1, v15
	v_or_b32_e32 v22, 6, v9
	v_or_b32_e32 v24, 7, v9
	v_cvt_f32_f16_e32 v27, v2
	v_or_b32_e32 v26, 8, v9
	v_dual_cndmask_b32 v1, v1, v15 :: v_dual_cndmask_b32 v0, v0, v16
	v_or_b32_e32 v28, 9, v9
	v_lshrrev_b32_e32 v2, 16, v36
	v_or_b32_e32 v30, 10, v9
	s_delay_alu instid0(VALU_DEP_4)
	v_cmp_lt_f32_e32 vcc_lo, v1, v17
	v_or_b32_e32 v32, 11, v9
	v_or_b32_e32 v34, 12, v9
	v_cvt_f32_f16_e32 v31, v2
	v_lshrrev_b32_e32 v2, 16, v37
	v_dual_cndmask_b32 v1, v1, v17 :: v_dual_cndmask_b32 v0, v0, v18
	v_cvt_f32_f16_e32 v37, v38
	v_or_b32_e32 v36, 13, v9
	s_delay_alu instid0(VALU_DEP_4) | instskip(NEXT) | instid1(VALU_DEP_4)
	v_cvt_f32_f16_e32 v35, v2
	v_cmp_lt_f32_e32 vcc_lo, v1, v19
	v_lshrrev_b32_e32 v2, 16, v38
	v_or_b32_e32 v38, 14, v9
	v_or_b32_e32 v40, 15, v9
	v_dual_cndmask_b32 v1, v1, v19 :: v_dual_cndmask_b32 v0, v0, v20
	s_delay_alu instid0(VALU_DEP_4) | instskip(NEXT) | instid1(VALU_DEP_2)
	v_cvt_f32_f16_e32 v39, v2
	v_cmp_lt_f32_e32 vcc_lo, v1, v21
	s_delay_alu instid0(VALU_DEP_3) | instskip(NEXT) | instid1(VALU_DEP_1)
	v_dual_cndmask_b32 v1, v1, v21 :: v_dual_cndmask_b32 v0, v0, v22
	v_cmp_lt_f32_e32 vcc_lo, v1, v23
	s_delay_alu instid0(VALU_DEP_2) | instskip(NEXT) | instid1(VALU_DEP_1)
	v_dual_cndmask_b32 v1, v1, v23 :: v_dual_cndmask_b32 v0, v0, v24
	v_cmp_lt_f32_e32 vcc_lo, v1, v25
	s_delay_alu instid0(VALU_DEP_2) | instskip(NEXT) | instid1(VALU_DEP_1)
	;; [unrolled: 3-line block ×9, first 2 shown]
	v_dual_cndmask_b32 v0, v0, v40 :: v_dual_cndmask_b32 v1, v1, v39
	v_mov_b32_dpp v2, v0 quad_perm:[1,0,3,2] row_mask:0xf bank_mask:0xf
	s_delay_alu instid0(VALU_DEP_2) | instskip(NEXT) | instid1(VALU_DEP_2)
	v_mov_b32_dpp v3, v1 quad_perm:[1,0,3,2] row_mask:0xf bank_mask:0xf
	v_cmp_lt_i32_e32 vcc_lo, v2, v0
	s_delay_alu instid0(VALU_DEP_2) | instskip(SKIP_1) | instid1(VALU_DEP_2)
	v_cmp_eq_f32_e64 s2, v1, v3
	v_cmp_lt_f32_e64 s3, v1, v3
	s_and_b32 s2, s2, vcc_lo
	s_delay_alu instid0(VALU_DEP_1) | instid1(SALU_CYCLE_1)
	s_or_b32 vcc_lo, s3, s2
	v_dual_cndmask_b32 v1, v1, v3 :: v_dual_cndmask_b32 v0, v0, v2
	s_delay_alu instid0(VALU_DEP_1) | instskip(NEXT) | instid1(VALU_DEP_2)
	v_mov_b32_dpp v2, v1 quad_perm:[2,3,0,1] row_mask:0xf bank_mask:0xf
	v_mov_b32_dpp v3, v0 quad_perm:[2,3,0,1] row_mask:0xf bank_mask:0xf
	s_delay_alu instid0(VALU_DEP_2) | instskip(NEXT) | instid1(VALU_DEP_2)
	v_cmp_eq_f32_e32 vcc_lo, v1, v2
	v_cmp_lt_i32_e64 s2, v3, v0
	v_cmp_lt_f32_e64 s3, v1, v2
	s_delay_alu instid0(VALU_DEP_2)
	s_and_b32 s2, vcc_lo, s2
	s_delay_alu instid0(VALU_DEP_1) | instid1(SALU_CYCLE_1)
	s_or_b32 vcc_lo, s3, s2
	v_dual_cndmask_b32 v1, v1, v2 :: v_dual_cndmask_b32 v0, v0, v3
	s_delay_alu instid0(VALU_DEP_1) | instskip(NEXT) | instid1(VALU_DEP_2)
	v_mov_b32_dpp v2, v1 row_half_mirror row_mask:0xf bank_mask:0xf
	v_mov_b32_dpp v3, v0 row_half_mirror row_mask:0xf bank_mask:0xf
	s_delay_alu instid0(VALU_DEP_2) | instskip(NEXT) | instid1(VALU_DEP_2)
	v_cmp_eq_f32_e32 vcc_lo, v1, v2
	v_cmp_lt_i32_e64 s2, v3, v0
	v_cmp_lt_f32_e64 s3, v1, v2
	s_delay_alu instid0(VALU_DEP_2)
	s_and_b32 s2, vcc_lo, s2
	s_delay_alu instid0(VALU_DEP_1) | instid1(SALU_CYCLE_1)
	s_or_b32 vcc_lo, s3, s2
	s_waitcnt lgkmcnt(0)
	s_cmp_gt_i32 s4, 0
	v_cndmask_b32_e32 v2, v1, v2, vcc_lo
	v_cndmask_b32_e32 v0, v0, v3, vcc_lo
	v_cmp_eq_u32_e32 vcc_lo, 0, v8
	s_cselect_b32 s3, -1, 0
	s_cmp_lt_i32 s4, 1
	v_mov_b32_dpp v4, v2 row_mirror row_mask:0xf bank_mask:0xf
	v_mov_b32_dpp v41, v0 row_mirror row_mask:0xf bank_mask:0xf
	s_cbranch_scc1 .LBB186_16
; %bb.5:
	s_load_b128 s[8:11], s[0:1], 0x20
	s_delay_alu instid0(VALU_DEP_2) | instskip(NEXT) | instid1(VALU_DEP_2)
	v_cmp_eq_f32_e64 s0, v2, v4
	v_cmp_lt_i32_e64 s1, v41, v0
	v_cmp_lt_f32_e64 s2, v2, v4
	v_mul_lo_u32 v1, v7, s7
	v_mul_lo_u32 v3, v7, s14
	v_mul_lo_u32 v5, v7, s4
	s_and_b32 s0, s0, s1
	v_mov_b32_e32 v6, 0
	s_or_b32 s0, s2, s0
	s_delay_alu instid0(SALU_CYCLE_1)
	v_cndmask_b32_e64 v0, v0, v41, s0
	v_cndmask_b32_e64 v41, v2, v4, s0
	s_and_saveexec_b32 s2, vcc_lo
	s_cbranch_execz .LBB186_7
; %bb.6:
	s_delay_alu instid0(VALU_DEP_1)
	v_sub_f32_e32 v50, v41, v41
	v_cmp_le_i32_e64 s0, s5, v0
	v_cmp_gt_i32_e64 s1, s6, v0
	v_subrev_nc_u32_e32 v51, s5, v0
	v_ashrrev_i32_e32 v6, 31, v5
	v_mul_f32_e32 v2, 0x3fb8aa3b, v50
	s_delay_alu instid0(VALU_DEP_4) | instskip(NEXT) | instid1(SALU_CYCLE_1)
	s_and_b32 s0, s0, s1
	s_and_b32 s0, s17, s0
	s_delay_alu instid0(VALU_DEP_1) | instskip(SKIP_2) | instid1(VALU_DEP_3)
	v_rndne_f32_e32 v46, v2
	v_fma_f32 v4, 0x3fb8aa3b, v50, -v2
	v_lshlrev_b64 v[48:49], 2, v[5:6]
	v_sub_f32_e32 v2, v2, v46
	s_delay_alu instid0(VALU_DEP_3) | instskip(NEXT) | instid1(VALU_DEP_1)
	v_fmamk_f32 v4, v50, 0x32a5705f, v4
	v_add_f32_e32 v4, v2, v4
	v_ashrrev_i32_e32 v2, 31, v1
	s_delay_alu instid0(VALU_DEP_2) | instskip(NEXT) | instid1(VALU_DEP_1)
	v_exp_f32_e32 v52, v4
	v_lshlrev_b64 v[44:45], 2, v[1:2]
	v_ashrrev_i32_e32 v4, 31, v3
	v_cvt_i32_f32_e32 v2, v46
	s_delay_alu instid0(VALU_DEP_2) | instskip(SKIP_2) | instid1(VALU_DEP_1)
	v_lshlrev_b64 v[46:47], 2, v[3:4]
	v_cndmask_b32_e64 v4, 0x100, v51, s0
	v_add_co_u32 v44, s0, s12, v44
	v_add_co_ci_u32_e64 v45, s0, s13, v45, s0
	s_delay_alu instid0(TRANS32_DEP_1) | instskip(SKIP_1) | instid1(VALU_DEP_1)
	v_ldexp_f32 v2, v52, v2
	v_cmp_ngt_f32_e64 s0, 0xc2ce8ed0, v50
	v_cndmask_b32_e64 v2, 0, v2, s0
	s_waitcnt lgkmcnt(0)
	v_add_co_u32 v46, s0, s8, v46
	s_delay_alu instid0(VALU_DEP_1) | instskip(SKIP_1) | instid1(VALU_DEP_1)
	v_add_co_ci_u32_e64 v47, s0, s9, v47, s0
	v_cmp_nlt_f32_e64 s0, 0x42b17218, v50
	v_cndmask_b32_e64 v6, 0x7f800000, v2, s0
	v_add_co_u32 v48, s0, s10, v48
	s_delay_alu instid0(VALU_DEP_1)
	v_add_co_ci_u32_e64 v49, s0, s11, v49, s0
	global_store_b32 v[46:47], v4, off
	global_store_b32 v[44:45], v6, off
	;; [unrolled: 1-line block ×3, first 2 shown]
.LBB186_7:
	s_or_b32 exec_lo, exec_lo, s2
	v_ashrrev_i32_e32 v4, 31, v0
	s_mov_b32 s1, exec_lo
	s_delay_alu instid0(VALU_DEP_1) | instskip(NEXT) | instid1(VALU_DEP_1)
	v_lshrrev_b32_e32 v2, 28, v4
	v_add_nc_u32_e32 v2, v0, v2
	s_delay_alu instid0(VALU_DEP_1) | instskip(NEXT) | instid1(VALU_DEP_1)
	v_ashrrev_i32_e32 v2, 4, v2
	v_lshrrev_b32_e32 v44, 28, v2
	s_delay_alu instid0(VALU_DEP_1) | instskip(NEXT) | instid1(VALU_DEP_1)
	v_add_nc_u32_e32 v44, v2, v44
	v_and_b32_e32 v44, -16, v44
	s_delay_alu instid0(VALU_DEP_1) | instskip(NEXT) | instid1(VALU_DEP_1)
	v_sub_nc_u32_e32 v44, v2, v44
	v_cmpx_eq_u32_e64 v8, v44
	s_cbranch_execz .LBB186_9
; %bb.8:
	v_lshrrev_b32_e32 v4, 24, v4
	v_lshlrev_b32_e32 v2, 4, v2
	s_delay_alu instid0(VALU_DEP_2) | instskip(NEXT) | instid1(VALU_DEP_2)
	v_add_nc_u32_e32 v4, v0, v4
	v_sub_nc_u32_e32 v0, v0, v2
	s_delay_alu instid0(VALU_DEP_2) | instskip(NEXT) | instid1(VALU_DEP_1)
	v_ashrrev_i32_e32 v2, 8, v4
	v_lshl_add_u32 v0, v2, 4, v0
	s_delay_alu instid0(VALU_DEP_1) | instskip(NEXT) | instid1(VALU_DEP_1)
	v_cmp_ne_u32_e64 s0, 15, v0
	v_cndmask_b32_e64 v39, 0xff800000, v39, s0
	v_cmp_ne_u32_e64 s0, 14, v0
	s_delay_alu instid0(VALU_DEP_1) | instskip(SKIP_1) | instid1(VALU_DEP_1)
	v_cndmask_b32_e64 v37, 0xff800000, v37, s0
	v_cmp_ne_u32_e64 s0, 13, v0
	v_cndmask_b32_e64 v35, 0xff800000, v35, s0
	v_cmp_ne_u32_e64 s0, 12, v0
	s_delay_alu instid0(VALU_DEP_1) | instskip(SKIP_1) | instid1(VALU_DEP_1)
	v_cndmask_b32_e64 v33, 0xff800000, v33, s0
	v_cmp_ne_u32_e64 s0, 11, v0
	v_cndmask_b32_e64 v31, 0xff800000, v31, s0
	v_cmp_ne_u32_e64 s0, 10, v0
	s_delay_alu instid0(VALU_DEP_1) | instskip(SKIP_1) | instid1(VALU_DEP_1)
	v_cndmask_b32_e64 v29, 0xff800000, v29, s0
	v_cmp_ne_u32_e64 s0, 9, v0
	v_cndmask_b32_e64 v27, 0xff800000, v27, s0
	v_cmp_ne_u32_e64 s0, 8, v0
	s_delay_alu instid0(VALU_DEP_1) | instskip(SKIP_1) | instid1(VALU_DEP_1)
	v_cndmask_b32_e64 v25, 0xff800000, v25, s0
	v_cmp_ne_u32_e64 s0, 7, v0
	v_cndmask_b32_e64 v23, 0xff800000, v23, s0
	v_cmp_ne_u32_e64 s0, 6, v0
	s_delay_alu instid0(VALU_DEP_1) | instskip(SKIP_1) | instid1(VALU_DEP_1)
	v_cndmask_b32_e64 v21, 0xff800000, v21, s0
	v_cmp_ne_u32_e64 s0, 5, v0
	v_cndmask_b32_e64 v19, 0xff800000, v19, s0
	v_cmp_ne_u32_e64 s0, 4, v0
	s_delay_alu instid0(VALU_DEP_1) | instskip(SKIP_1) | instid1(VALU_DEP_1)
	v_cndmask_b32_e64 v17, 0xff800000, v17, s0
	v_cmp_ne_u32_e64 s0, 3, v0
	v_cndmask_b32_e64 v15, 0xff800000, v15, s0
	v_cmp_ne_u32_e64 s0, 2, v0
	s_delay_alu instid0(VALU_DEP_1) | instskip(SKIP_1) | instid1(VALU_DEP_1)
	v_cndmask_b32_e64 v13, 0xff800000, v13, s0
	v_cmp_ne_u32_e64 s0, 1, v0
	v_cndmask_b32_e64 v12, 0xff800000, v12, s0
	v_cmp_ne_u32_e64 s0, 0, v0
	s_delay_alu instid0(VALU_DEP_1)
	v_cndmask_b32_e64 v11, 0xff800000, v11, s0
.LBB186_9:
	s_or_b32 exec_lo, exec_lo, s1
	s_cmp_eq_u32 s4, 1
	s_cbranch_scc1 .LBB186_16
; %bb.10:
	s_add_i32 s18, s18, s16
	v_add_nc_u32_e32 v0, 1, v5
	v_add3_u32 v42, s18, v43, v42
	v_add_nc_u32_e32 v2, 1, v3
	v_add_nc_u32_e32 v4, 1, v1
	s_add_i32 s14, s4, -1
	s_branch .LBB186_12
.LBB186_11:                             ;   in Loop: Header=BB186_12 Depth=1
	s_or_b32 exec_lo, exec_lo, s1
	v_add_nc_u32_e32 v42, s16, v42
	v_add_nc_u32_e32 v0, 1, v0
	;; [unrolled: 1-line block ×4, first 2 shown]
	s_add_i32 s14, s14, -1
	s_delay_alu instid0(SALU_CYCLE_1)
	s_cmp_eq_u32 s14, 0
	s_cbranch_scc1 .LBB186_16
.LBB186_12:                             ; =>This Inner Loop Header: Depth=1
	v_cmp_gt_f32_e64 s0, v12, v11
	s_delay_alu instid0(VALU_DEP_1) | instskip(SKIP_1) | instid1(VALU_DEP_2)
	v_cndmask_b32_e64 v3, v11, v12, s0
	v_cndmask_b32_e64 v1, v9, v10, s0
	v_cmp_gt_f32_e64 s0, v13, v3
	s_delay_alu instid0(VALU_DEP_1) | instskip(NEXT) | instid1(VALU_DEP_3)
	v_cndmask_b32_e64 v3, v3, v13, s0
	v_cndmask_b32_e64 v1, v1, v14, s0
	s_delay_alu instid0(VALU_DEP_2) | instskip(NEXT) | instid1(VALU_DEP_1)
	v_cmp_gt_f32_e64 s0, v15, v3
	v_cndmask_b32_e64 v3, v3, v15, s0
	s_delay_alu instid0(VALU_DEP_3) | instskip(NEXT) | instid1(VALU_DEP_2)
	v_cndmask_b32_e64 v1, v1, v16, s0
	v_cmp_gt_f32_e64 s0, v17, v3
	s_delay_alu instid0(VALU_DEP_1) | instskip(NEXT) | instid1(VALU_DEP_3)
	v_cndmask_b32_e64 v3, v3, v17, s0
	v_cndmask_b32_e64 v1, v1, v18, s0
	s_delay_alu instid0(VALU_DEP_2) | instskip(NEXT) | instid1(VALU_DEP_1)
	v_cmp_gt_f32_e64 s0, v19, v3
	v_cndmask_b32_e64 v3, v3, v19, s0
	s_delay_alu instid0(VALU_DEP_3) | instskip(NEXT) | instid1(VALU_DEP_2)
	;; [unrolled: 9-line block ×6, first 2 shown]
	v_cndmask_b32_e64 v1, v1, v36, s0
	v_cmp_gt_f32_e64 s0, v37, v3
	s_delay_alu instid0(VALU_DEP_1) | instskip(NEXT) | instid1(VALU_DEP_3)
	v_cndmask_b32_e64 v3, v3, v37, s0
	v_cndmask_b32_e64 v1, v1, v38, s0
	s_delay_alu instid0(VALU_DEP_2) | instskip(NEXT) | instid1(VALU_DEP_1)
	v_cmp_gt_f32_e64 s0, v39, v3
	v_cndmask_b32_e64 v1, v1, v40, s0
	v_cndmask_b32_e64 v3, v3, v39, s0
	s_delay_alu instid0(VALU_DEP_2) | instskip(NEXT) | instid1(VALU_DEP_2)
	v_mov_b32_dpp v5, v1 quad_perm:[1,0,3,2] row_mask:0xf bank_mask:0xf
	v_mov_b32_dpp v43, v3 quad_perm:[1,0,3,2] row_mask:0xf bank_mask:0xf
	s_delay_alu instid0(VALU_DEP_2) | instskip(NEXT) | instid1(VALU_DEP_2)
	v_cmp_lt_i32_e64 s0, v5, v1
	v_cmp_eq_f32_e64 s1, v3, v43
	v_cmp_lt_f32_e64 s2, v3, v43
	s_delay_alu instid0(VALU_DEP_2)
	s_and_b32 s0, s1, s0
	s_delay_alu instid0(VALU_DEP_1) | instid1(SALU_CYCLE_1)
	s_or_b32 s0, s2, s0
	s_delay_alu instid0(SALU_CYCLE_1) | instskip(SKIP_1) | instid1(VALU_DEP_2)
	v_cndmask_b32_e64 v3, v3, v43, s0
	v_cndmask_b32_e64 v1, v1, v5, s0
	v_mov_b32_dpp v5, v3 quad_perm:[2,3,0,1] row_mask:0xf bank_mask:0xf
	s_delay_alu instid0(VALU_DEP_2) | instskip(NEXT) | instid1(VALU_DEP_2)
	v_mov_b32_dpp v43, v1 quad_perm:[2,3,0,1] row_mask:0xf bank_mask:0xf
	v_cmp_eq_f32_e64 s0, v3, v5
	s_delay_alu instid0(VALU_DEP_2) | instskip(SKIP_1) | instid1(VALU_DEP_2)
	v_cmp_lt_i32_e64 s1, v43, v1
	v_cmp_lt_f32_e64 s2, v3, v5
	s_and_b32 s0, s0, s1
	s_delay_alu instid0(VALU_DEP_1) | instid1(SALU_CYCLE_1)
	s_or_b32 s0, s2, s0
	s_delay_alu instid0(SALU_CYCLE_1) | instskip(SKIP_1) | instid1(VALU_DEP_2)
	v_cndmask_b32_e64 v3, v3, v5, s0
	v_cndmask_b32_e64 v5, v1, v43, s0
	v_mov_b32_dpp v1, v3 row_half_mirror row_mask:0xf bank_mask:0xf
	s_delay_alu instid0(VALU_DEP_2) | instskip(NEXT) | instid1(VALU_DEP_2)
	v_mov_b32_dpp v43, v5 row_half_mirror row_mask:0xf bank_mask:0xf
	v_cmp_eq_f32_e64 s0, v3, v1
	s_delay_alu instid0(VALU_DEP_2) | instskip(SKIP_1) | instid1(VALU_DEP_2)
	v_cmp_lt_i32_e64 s1, v43, v5
	v_cmp_lt_f32_e64 s2, v3, v1
	s_and_b32 s0, s0, s1
	s_delay_alu instid0(VALU_DEP_1) | instid1(SALU_CYCLE_1)
	s_or_b32 s0, s2, s0
	s_delay_alu instid0(SALU_CYCLE_1) | instskip(SKIP_1) | instid1(VALU_DEP_2)
	v_cndmask_b32_e64 v1, v3, v1, s0
	v_cndmask_b32_e64 v5, v5, v43, s0
	v_mov_b32_dpp v3, v1 row_mirror row_mask:0xf bank_mask:0xf
	s_delay_alu instid0(VALU_DEP_2) | instskip(NEXT) | instid1(VALU_DEP_2)
	v_mov_b32_dpp v43, v5 row_mirror row_mask:0xf bank_mask:0xf
	v_cmp_eq_f32_e64 s0, v1, v3
	s_delay_alu instid0(VALU_DEP_2) | instskip(SKIP_1) | instid1(VALU_DEP_2)
	v_cmp_lt_i32_e64 s1, v43, v5
	v_cmp_lt_f32_e64 s2, v1, v3
	s_and_b32 s0, s0, s1
	s_delay_alu instid0(VALU_DEP_1) | instid1(SALU_CYCLE_1)
	s_or_b32 s0, s2, s0
	s_delay_alu instid0(SALU_CYCLE_1)
	v_cndmask_b32_e64 v43, v5, v43, s0
	s_and_saveexec_b32 s2, vcc_lo
	s_cbranch_execz .LBB186_14
; %bb.13:                               ;   in Loop: Header=BB186_12 Depth=1
	v_cndmask_b32_e64 v1, v1, v3, s0
	s_delay_alu instid0(VALU_DEP_2) | instskip(SKIP_4) | instid1(VALU_DEP_4)
	v_cmp_le_i32_e64 s0, s5, v43
	v_cmp_gt_i32_e64 s1, s6, v43
	v_ashrrev_i32_e32 v5, 31, v4
	v_subrev_nc_u32_e32 v51, s5, v43
	v_sub_f32_e32 v50, v1, v41
	s_and_b32 s0, s0, s1
	s_delay_alu instid0(SALU_CYCLE_1) | instskip(NEXT) | instid1(VALU_DEP_1)
	s_and_b32 s0, s17, s0
	v_mul_f32_e32 v1, 0x3fb8aa3b, v50
	s_delay_alu instid0(VALU_DEP_1) | instskip(SKIP_1) | instid1(VALU_DEP_2)
	v_fma_f32 v3, 0x3fb8aa3b, v50, -v1
	v_rndne_f32_e32 v44, v1
	v_fmac_f32_e32 v3, 0x32a5705f, v50
	s_delay_alu instid0(VALU_DEP_2) | instskip(SKIP_2) | instid1(VALU_DEP_3)
	v_sub_f32_e32 v1, v1, v44
	v_cvt_i32_f32_e32 v49, v44
	v_lshlrev_b64 v[44:45], 2, v[4:5]
	v_add_f32_e32 v1, v1, v3
	v_ashrrev_i32_e32 v3, 31, v2
	s_delay_alu instid0(VALU_DEP_2) | instskip(SKIP_1) | instid1(VALU_DEP_2)
	v_exp_f32_e32 v48, v1
	v_ashrrev_i32_e32 v1, 31, v0
	v_lshlrev_b64 v[46:47], 2, v[2:3]
	s_waitcnt_depctr 0xfff
	v_ldexp_f32 v3, v48, v49
	v_lshlrev_b64 v[48:49], 2, v[0:1]
	v_cndmask_b32_e64 v1, 0x100, v51, s0
	v_cmp_ngt_f32_e64 s0, 0xc2ce8ed0, v50
	s_delay_alu instid0(VALU_DEP_1) | instskip(SKIP_1) | instid1(VALU_DEP_1)
	v_cndmask_b32_e64 v3, 0, v3, s0
	v_add_co_u32 v44, s0, s12, v44
	v_add_co_ci_u32_e64 v45, s0, s13, v45, s0
	v_cmp_nlt_f32_e64 s0, 0x42b17218, v50
	s_delay_alu instid0(VALU_DEP_1) | instskip(SKIP_2) | instid1(VALU_DEP_1)
	v_cndmask_b32_e64 v3, 0x7f800000, v3, s0
	s_waitcnt lgkmcnt(0)
	v_add_co_u32 v46, s0, s8, v46
	v_add_co_ci_u32_e64 v47, s0, s9, v47, s0
	s_delay_alu instid0(VALU_DEP_3) | instskip(SKIP_1) | instid1(VALU_DEP_1)
	v_add_f32_e32 v6, v6, v3
	v_add_co_u32 v48, s0, s10, v48
	v_add_co_ci_u32_e64 v49, s0, s11, v49, s0
	global_store_b32 v[44:45], v3, off
	global_store_b32 v[46:47], v1, off
	;; [unrolled: 1-line block ×3, first 2 shown]
.LBB186_14:                             ;   in Loop: Header=BB186_12 Depth=1
	s_or_b32 exec_lo, exec_lo, s2
	s_delay_alu instid0(VALU_DEP_1) | instskip(SKIP_1) | instid1(VALU_DEP_1)
	v_ashrrev_i32_e32 v3, 31, v43
	s_mov_b32 s1, exec_lo
	v_lshrrev_b32_e32 v1, 28, v3
	s_delay_alu instid0(VALU_DEP_1) | instskip(NEXT) | instid1(VALU_DEP_1)
	v_add_nc_u32_e32 v1, v43, v1
	v_ashrrev_i32_e32 v1, 4, v1
	s_delay_alu instid0(VALU_DEP_1) | instskip(NEXT) | instid1(VALU_DEP_1)
	v_lshrrev_b32_e32 v5, 28, v1
	v_add_nc_u32_e32 v5, v1, v5
	s_delay_alu instid0(VALU_DEP_1) | instskip(NEXT) | instid1(VALU_DEP_1)
	v_and_b32_e32 v5, -16, v5
	v_sub_nc_u32_e32 v5, v1, v5
	s_delay_alu instid0(VALU_DEP_1)
	v_cmpx_eq_u32_e64 v8, v5
	s_cbranch_execz .LBB186_11
; %bb.15:                               ;   in Loop: Header=BB186_12 Depth=1
	v_lshrrev_b32_e32 v3, 24, v3
	v_lshlrev_b32_e32 v1, 4, v1
	s_delay_alu instid0(VALU_DEP_2) | instskip(NEXT) | instid1(VALU_DEP_2)
	v_add_nc_u32_e32 v3, v43, v3
	v_sub_nc_u32_e32 v1, v43, v1
	s_delay_alu instid0(VALU_DEP_2) | instskip(NEXT) | instid1(VALU_DEP_1)
	v_ashrrev_i32_e32 v3, 8, v3
	v_lshl_add_u32 v1, v3, 4, v1
	s_delay_alu instid0(VALU_DEP_1) | instskip(NEXT) | instid1(VALU_DEP_1)
	v_cmp_ne_u32_e64 s0, 15, v1
	v_cndmask_b32_e64 v39, 0xff800000, v39, s0
	v_cmp_ne_u32_e64 s0, 14, v1
	s_delay_alu instid0(VALU_DEP_1) | instskip(SKIP_1) | instid1(VALU_DEP_1)
	v_cndmask_b32_e64 v37, 0xff800000, v37, s0
	v_cmp_ne_u32_e64 s0, 13, v1
	v_cndmask_b32_e64 v35, 0xff800000, v35, s0
	v_cmp_ne_u32_e64 s0, 12, v1
	s_delay_alu instid0(VALU_DEP_1) | instskip(SKIP_1) | instid1(VALU_DEP_1)
	v_cndmask_b32_e64 v33, 0xff800000, v33, s0
	;; [unrolled: 5-line block ×7, first 2 shown]
	v_cmp_ne_u32_e64 s0, 1, v1
	v_cndmask_b32_e64 v12, 0xff800000, v12, s0
	v_cmp_ne_u32_e64 s0, 0, v1
	s_delay_alu instid0(VALU_DEP_1)
	v_cndmask_b32_e64 v11, 0xff800000, v11, s0
	s_branch .LBB186_11
.LBB186_16:
	v_cmp_eq_u32_e32 vcc_lo, 0, v8
	v_cmp_neq_f32_e64 s0, 0, v6
	s_delay_alu instid0(VALU_DEP_1) | instskip(NEXT) | instid1(SALU_CYCLE_1)
	s_and_b32 s0, vcc_lo, s0
	s_and_b32 exec_lo, exec_lo, s0
	s_cbranch_execz .LBB186_20
; %bb.17:
	s_and_not1_b32 vcc_lo, exec_lo, s3
	s_cbranch_vccnz .LBB186_20
; %bb.18:
	v_div_scale_f32 v1, null, v6, v6, 1.0
	v_div_scale_f32 v3, vcc_lo, 1.0, v6, 1.0
	s_delay_alu instid0(VALU_DEP_2) | instskip(SKIP_2) | instid1(VALU_DEP_1)
	v_rcp_f32_e32 v2, v1
	s_waitcnt_depctr 0xfff
	v_fma_f32 v0, -v1, v2, 1.0
	v_fmac_f32_e32 v2, v0, v2
	v_mul_lo_u32 v0, v7, s7
	s_delay_alu instid0(VALU_DEP_2) | instskip(NEXT) | instid1(VALU_DEP_1)
	v_mul_f32_e32 v4, v3, v2
	v_fma_f32 v5, -v1, v4, v3
	s_delay_alu instid0(VALU_DEP_1) | instskip(NEXT) | instid1(VALU_DEP_1)
	v_fmac_f32_e32 v4, v5, v2
	v_fma_f32 v3, -v1, v4, v3
	v_ashrrev_i32_e32 v1, 31, v0
	s_delay_alu instid0(VALU_DEP_2) | instskip(NEXT) | instid1(VALU_DEP_2)
	v_div_fmas_f32 v2, v3, v2, v4
	v_lshlrev_b64 v[0:1], 2, v[0:1]
	s_delay_alu instid0(VALU_DEP_2) | instskip(NEXT) | instid1(VALU_DEP_2)
	v_div_fixup_f32 v2, v2, v6, 1.0
	v_add_co_u32 v0, vcc_lo, s12, v0
	s_delay_alu instid0(VALU_DEP_3)
	v_add_co_ci_u32_e32 v1, vcc_lo, s13, v1, vcc_lo
.LBB186_19:                             ; =>This Inner Loop Header: Depth=1
	global_load_b32 v3, v[0:1], off
	s_add_i32 s4, s4, -1
	s_delay_alu instid0(SALU_CYCLE_1)
	s_cmp_lg_u32 s4, 0
	s_waitcnt vmcnt(0)
	v_mul_f32_e32 v3, v2, v3
	global_store_b32 v[0:1], v3, off
	v_add_co_u32 v0, vcc_lo, v0, 4
	v_add_co_ci_u32_e32 v1, vcc_lo, 0, v1, vcc_lo
	s_cbranch_scc1 .LBB186_19
.LBB186_20:
	s_nop 0
	s_sendmsg sendmsg(MSG_DEALLOC_VGPRS)
	s_endpgm
	.section	.rodata,"a",@progbits
	.p2align	6, 0x0
	.amdhsa_kernel _ZN4vllm3moe17topkGatingSoftmaxIDF16_Li16ELi256ELi8ELi32ELb1ELi0ELNS0_23SharedExpertScoringFuncE0EEEvPKT_PKbPfiPiS9_iiiiii
		.amdhsa_group_segment_fixed_size 0
		.amdhsa_private_segment_fixed_size 0
		.amdhsa_kernarg_size 72
		.amdhsa_user_sgpr_count 15
		.amdhsa_user_sgpr_dispatch_ptr 0
		.amdhsa_user_sgpr_queue_ptr 0
		.amdhsa_user_sgpr_kernarg_segment_ptr 1
		.amdhsa_user_sgpr_dispatch_id 0
		.amdhsa_user_sgpr_private_segment_size 0
		.amdhsa_wavefront_size32 1
		.amdhsa_uses_dynamic_stack 0
		.amdhsa_enable_private_segment 0
		.amdhsa_system_sgpr_workgroup_id_x 1
		.amdhsa_system_sgpr_workgroup_id_y 0
		.amdhsa_system_sgpr_workgroup_id_z 0
		.amdhsa_system_sgpr_workgroup_info 0
		.amdhsa_system_vgpr_workitem_id 1
		.amdhsa_next_free_vgpr 53
		.amdhsa_next_free_sgpr 19
		.amdhsa_reserve_vcc 1
		.amdhsa_float_round_mode_32 0
		.amdhsa_float_round_mode_16_64 0
		.amdhsa_float_denorm_mode_32 3
		.amdhsa_float_denorm_mode_16_64 3
		.amdhsa_dx10_clamp 1
		.amdhsa_ieee_mode 1
		.amdhsa_fp16_overflow 0
		.amdhsa_workgroup_processor_mode 1
		.amdhsa_memory_ordered 1
		.amdhsa_forward_progress 0
		.amdhsa_shared_vgpr_count 0
		.amdhsa_exception_fp_ieee_invalid_op 0
		.amdhsa_exception_fp_denorm_src 0
		.amdhsa_exception_fp_ieee_div_zero 0
		.amdhsa_exception_fp_ieee_overflow 0
		.amdhsa_exception_fp_ieee_underflow 0
		.amdhsa_exception_fp_ieee_inexact 0
		.amdhsa_exception_int_div_zero 0
	.end_amdhsa_kernel
	.section	.text._ZN4vllm3moe17topkGatingSoftmaxIDF16_Li16ELi256ELi8ELi32ELb1ELi0ELNS0_23SharedExpertScoringFuncE0EEEvPKT_PKbPfiPiS9_iiiiii,"axG",@progbits,_ZN4vllm3moe17topkGatingSoftmaxIDF16_Li16ELi256ELi8ELi32ELb1ELi0ELNS0_23SharedExpertScoringFuncE0EEEvPKT_PKbPfiPiS9_iiiiii,comdat
.Lfunc_end186:
	.size	_ZN4vllm3moe17topkGatingSoftmaxIDF16_Li16ELi256ELi8ELi32ELb1ELi0ELNS0_23SharedExpertScoringFuncE0EEEvPKT_PKbPfiPiS9_iiiiii, .Lfunc_end186-_ZN4vllm3moe17topkGatingSoftmaxIDF16_Li16ELi256ELi8ELi32ELb1ELi0ELNS0_23SharedExpertScoringFuncE0EEEvPKT_PKbPfiPiS9_iiiiii
                                        ; -- End function
	.section	.AMDGPU.csdata,"",@progbits
; Kernel info:
; codeLenInByte = 3624
; NumSgprs: 21
; NumVgprs: 53
; ScratchSize: 0
; MemoryBound: 0
; FloatMode: 240
; IeeeMode: 1
; LDSByteSize: 0 bytes/workgroup (compile time only)
; SGPRBlocks: 2
; VGPRBlocks: 6
; NumSGPRsForWavesPerEU: 21
; NumVGPRsForWavesPerEU: 53
; Occupancy: 16
; WaveLimiterHint : 0
; COMPUTE_PGM_RSRC2:SCRATCH_EN: 0
; COMPUTE_PGM_RSRC2:USER_SGPR: 15
; COMPUTE_PGM_RSRC2:TRAP_HANDLER: 0
; COMPUTE_PGM_RSRC2:TGID_X_EN: 1
; COMPUTE_PGM_RSRC2:TGID_Y_EN: 0
; COMPUTE_PGM_RSRC2:TGID_Z_EN: 0
; COMPUTE_PGM_RSRC2:TIDIG_COMP_CNT: 1
	.section	.text._ZN4vllm3moe17topkGatingSoftmaxIDF16_Li16ELi256ELi8ELi32ELb0ELi0ELNS0_23SharedExpertScoringFuncE0EEEvPKT_PKbPfiPiS9_iiiiii,"axG",@progbits,_ZN4vllm3moe17topkGatingSoftmaxIDF16_Li16ELi256ELi8ELi32ELb0ELi0ELNS0_23SharedExpertScoringFuncE0EEEvPKT_PKbPfiPiS9_iiiiii,comdat
	.protected	_ZN4vllm3moe17topkGatingSoftmaxIDF16_Li16ELi256ELi8ELi32ELb0ELi0ELNS0_23SharedExpertScoringFuncE0EEEvPKT_PKbPfiPiS9_iiiiii ; -- Begin function _ZN4vllm3moe17topkGatingSoftmaxIDF16_Li16ELi256ELi8ELi32ELb0ELi0ELNS0_23SharedExpertScoringFuncE0EEEvPKT_PKbPfiPiS9_iiiiii
	.globl	_ZN4vllm3moe17topkGatingSoftmaxIDF16_Li16ELi256ELi8ELi32ELb0ELi0ELNS0_23SharedExpertScoringFuncE0EEEvPKT_PKbPfiPiS9_iiiiii
	.p2align	8
	.type	_ZN4vllm3moe17topkGatingSoftmaxIDF16_Li16ELi256ELi8ELi32ELb0ELi0ELNS0_23SharedExpertScoringFuncE0EEEvPKT_PKbPfiPiS9_iiiiii,@function
_ZN4vllm3moe17topkGatingSoftmaxIDF16_Li16ELi256ELi8ELi32ELb0ELi0ELNS0_23SharedExpertScoringFuncE0EEEvPKT_PKbPfiPiS9_iiiiii: ; @_ZN4vllm3moe17topkGatingSoftmaxIDF16_Li16ELi256ELi8ELi32ELb0ELi0ELNS0_23SharedExpertScoringFuncE0EEEvPKT_PKbPfiPiS9_iiiiii
; %bb.0:
	s_load_b32 s16, s[0:1], 0x18
	v_bfe_u32 v1, v0, 10, 10
	v_and_b32_e32 v0, 0x3ff, v0
	s_lshl_b32 s18, s15, 4
	s_mov_b32 s2, exec_lo
	s_delay_alu instid0(VALU_DEP_2) | instskip(NEXT) | instid1(VALU_DEP_2)
	v_lshlrev_b32_e32 v42, 1, v1
	v_lshrrev_b32_e32 v43, 4, v0
	s_delay_alu instid0(VALU_DEP_1) | instskip(SKIP_1) | instid1(VALU_DEP_1)
	v_add3_u32 v7, s18, v42, v43
	s_waitcnt lgkmcnt(0)
	v_cmpx_gt_i32_e64 s16, v7
	s_cbranch_execz .LBB187_21
; %bb.1:
	s_clause 0x1
	s_load_b128 s[4:7], s[0:1], 0x0
	s_load_b64 s[12:13], s[0:1], 0x10
	s_waitcnt lgkmcnt(0)
	s_cmp_eq_u64 s[6:7], 0
	s_cbranch_scc1 .LBB187_3
; %bb.2:
	v_ashrrev_i32_e32 v2, 31, v7
	v_add_co_u32 v1, vcc_lo, s6, v7
	s_delay_alu instid0(VALU_DEP_2) | instskip(SKIP_3) | instid1(VALU_DEP_1)
	v_add_co_ci_u32_e32 v2, vcc_lo, s7, v2, vcc_lo
	global_load_u8 v1, v[1:2], off
	s_waitcnt vmcnt(0)
	v_and_b32_e32 v1, 1, v1
	v_cmp_eq_u32_e32 vcc_lo, 1, v1
	s_xor_b32 s2, vcc_lo, -1
	s_delay_alu instid0(SALU_CYCLE_1)
	s_or_not1_b32 s17, s2, exec_lo
	s_branch .LBB187_4
.LBB187_3:
	s_mov_b32 s17, -1
.LBB187_4:
	s_load_b64 s[14:15], s[0:1], 0x40
	v_and_b32_e32 v8, 15, v0
	v_mov_b32_e32 v6, 0
	s_waitcnt lgkmcnt(0)
	v_mul_lo_u32 v1, v7, s15
	s_delay_alu instid0(VALU_DEP_1) | instskip(NEXT) | instid1(VALU_DEP_1)
	v_ashrrev_i32_e32 v2, 31, v1
	v_lshlrev_b64 v[0:1], 1, v[1:2]
	v_lshlrev_b32_e32 v2, 5, v8
	s_delay_alu instid0(VALU_DEP_2) | instskip(NEXT) | instid1(VALU_DEP_3)
	v_add_co_u32 v0, vcc_lo, s4, v0
	v_add_co_ci_u32_e32 v1, vcc_lo, s5, v1, vcc_lo
	s_load_b128 s[4:7], s[0:1], 0x30
	s_delay_alu instid0(VALU_DEP_2) | instskip(NEXT) | instid1(VALU_DEP_2)
	v_add_co_u32 v4, vcc_lo, v0, v2
	v_add_co_ci_u32_e32 v5, vcc_lo, 0, v1, vcc_lo
	s_clause 0x1
	global_load_b128 v[0:3], v[4:5], off
	global_load_b128 v[37:40], v[4:5], off offset:16
	s_waitcnt vmcnt(1)
	v_lshrrev_b32_e32 v4, 16, v0
	v_cvt_f32_f16_e32 v26, v0
	v_cvt_f32_f16_e32 v21, v2
	v_lshlrev_b32_e32 v24, 4, v8
	v_cvt_f32_f16_e32 v23, v1
	v_cvt_f32_f16_e32 v25, v4
	v_cmp_lt_f16_e32 vcc_lo, v0, v4
	v_lshrrev_b32_e32 v2, 16, v2
	v_or_b32_e32 v27, 1, v24
	v_cvt_f32_f16_e32 v19, v3
	v_lshrrev_b32_e32 v1, 16, v1
	v_cndmask_b32_e32 v4, v26, v25, vcc_lo
	v_cvt_f32_f16_e32 v20, v2
	v_cndmask_b32_e32 v0, v24, v27, vcc_lo
	v_or_b32_e32 v28, 2, v24
	v_cvt_f32_f16_e32 v22, v1
	v_cmp_lt_f32_e32 vcc_lo, v4, v23
	v_lshrrev_b32_e32 v2, 16, v3
	v_or_b32_e32 v29, 3, v24
	s_waitcnt vmcnt(0)
	v_cvt_f32_f16_e32 v17, v37
	v_cvt_f32_f16_e32 v15, v38
	v_cndmask_b32_e32 v1, v4, v23, vcc_lo
	v_cvt_f32_f16_e32 v18, v2
	v_cndmask_b32_e32 v0, v0, v28, vcc_lo
	v_lshrrev_b32_e32 v2, 16, v37
	v_cvt_f32_f16_e32 v12, v39
	v_cmp_lt_f32_e32 vcc_lo, v1, v22
	v_cvt_f32_f16_e32 v10, v40
	s_delay_alu instid0(VALU_DEP_4) | instskip(SKIP_2) | instid1(VALU_DEP_2)
	v_cvt_f32_f16_e32 v16, v2
	v_lshrrev_b32_e32 v2, 16, v38
	v_dual_cndmask_b32 v1, v1, v22 :: v_dual_cndmask_b32 v0, v0, v29
	v_cvt_f32_f16_e32 v14, v2
	s_delay_alu instid0(VALU_DEP_2)
	v_cmp_lt_f32_e32 vcc_lo, v1, v21
	v_lshrrev_b32_e32 v2, 16, v39
	v_cndmask_b32_e32 v1, v1, v21, vcc_lo
	v_or_b32_e32 v30, 4, v24
	v_or_b32_e32 v31, 5, v24
	;; [unrolled: 1-line block ×5, first 2 shown]
	v_cndmask_b32_e32 v0, v0, v30, vcc_lo
	v_cmp_lt_f32_e32 vcc_lo, v1, v20
	v_cvt_f32_f16_e32 v11, v2
	v_or_b32_e32 v35, 9, v24
	v_or_b32_e32 v36, 10, v24
	v_lshrrev_b32_e32 v2, 16, v40
	v_dual_cndmask_b32 v1, v1, v20 :: v_dual_cndmask_b32 v0, v0, v31
	v_or_b32_e32 v37, 11, v24
	v_or_b32_e32 v38, 12, v24
	s_delay_alu instid0(VALU_DEP_4) | instskip(NEXT) | instid1(VALU_DEP_4)
	v_cvt_f32_f16_e32 v9, v2
	v_cmp_lt_f32_e32 vcc_lo, v1, v19
	v_or_b32_e32 v39, 13, v24
	v_or_b32_e32 v40, 14, v24
	;; [unrolled: 1-line block ×3, first 2 shown]
	v_dual_cndmask_b32 v1, v1, v19 :: v_dual_cndmask_b32 v0, v0, v32
	s_delay_alu instid0(VALU_DEP_1) | instskip(NEXT) | instid1(VALU_DEP_2)
	v_cmp_lt_f32_e32 vcc_lo, v1, v18
	v_dual_cndmask_b32 v1, v1, v18 :: v_dual_cndmask_b32 v0, v0, v33
	s_delay_alu instid0(VALU_DEP_1) | instskip(NEXT) | instid1(VALU_DEP_2)
	v_cmp_lt_f32_e32 vcc_lo, v1, v17
	;; [unrolled: 3-line block ×6, first 2 shown]
	v_dual_cndmask_b32 v1, v1, v12 :: v_dual_cndmask_b32 v0, v0, v38
	s_delay_alu instid0(VALU_DEP_1) | instskip(SKIP_1) | instid1(VALU_DEP_3)
	v_cmp_lt_f32_e32 vcc_lo, v1, v11
	v_cndmask_b32_e32 v1, v1, v11, vcc_lo
	v_cndmask_b32_e32 v0, v0, v39, vcc_lo
	s_delay_alu instid0(VALU_DEP_2) | instskip(NEXT) | instid1(VALU_DEP_2)
	v_cmp_lt_f32_e32 vcc_lo, v1, v10
	v_dual_cndmask_b32 v1, v1, v10 :: v_dual_cndmask_b32 v0, v0, v40
	s_delay_alu instid0(VALU_DEP_1) | instskip(NEXT) | instid1(VALU_DEP_2)
	v_cmp_lt_f32_e32 vcc_lo, v1, v9
	v_cndmask_b32_e32 v0, v0, v41, vcc_lo
	v_cndmask_b32_e32 v1, v1, v9, vcc_lo
	s_delay_alu instid0(VALU_DEP_2) | instskip(NEXT) | instid1(VALU_DEP_2)
	v_mov_b32_dpp v2, v0 quad_perm:[1,0,3,2] row_mask:0xf bank_mask:0xf
	v_mov_b32_dpp v3, v1 quad_perm:[1,0,3,2] row_mask:0xf bank_mask:0xf
	s_delay_alu instid0(VALU_DEP_2) | instskip(NEXT) | instid1(VALU_DEP_2)
	v_cmp_lt_i32_e32 vcc_lo, v2, v0
	v_cmp_eq_f32_e64 s2, v1, v3
	v_cmp_lt_f32_e64 s3, v1, v3
	s_delay_alu instid0(VALU_DEP_2)
	s_and_b32 s2, s2, vcc_lo
	s_delay_alu instid0(VALU_DEP_1) | instid1(SALU_CYCLE_1)
	s_or_b32 vcc_lo, s3, s2
	v_dual_cndmask_b32 v1, v1, v3 :: v_dual_cndmask_b32 v0, v0, v2
	s_delay_alu instid0(VALU_DEP_1) | instskip(NEXT) | instid1(VALU_DEP_2)
	v_mov_b32_dpp v2, v1 quad_perm:[2,3,0,1] row_mask:0xf bank_mask:0xf
	v_mov_b32_dpp v3, v0 quad_perm:[2,3,0,1] row_mask:0xf bank_mask:0xf
	s_delay_alu instid0(VALU_DEP_2) | instskip(NEXT) | instid1(VALU_DEP_2)
	v_cmp_eq_f32_e32 vcc_lo, v1, v2
	v_cmp_lt_i32_e64 s2, v3, v0
	v_cmp_lt_f32_e64 s3, v1, v2
	s_delay_alu instid0(VALU_DEP_2)
	s_and_b32 s2, vcc_lo, s2
	s_delay_alu instid0(VALU_DEP_1) | instid1(SALU_CYCLE_1)
	s_or_b32 vcc_lo, s3, s2
	v_dual_cndmask_b32 v1, v1, v2 :: v_dual_cndmask_b32 v0, v0, v3
	s_delay_alu instid0(VALU_DEP_1) | instskip(NEXT) | instid1(VALU_DEP_2)
	v_mov_b32_dpp v2, v1 row_half_mirror row_mask:0xf bank_mask:0xf
	v_mov_b32_dpp v3, v0 row_half_mirror row_mask:0xf bank_mask:0xf
	s_delay_alu instid0(VALU_DEP_2) | instskip(NEXT) | instid1(VALU_DEP_2)
	v_cmp_eq_f32_e32 vcc_lo, v1, v2
	v_cmp_lt_i32_e64 s2, v3, v0
	v_cmp_lt_f32_e64 s3, v1, v2
	s_delay_alu instid0(VALU_DEP_2)
	s_and_b32 s2, vcc_lo, s2
	s_delay_alu instid0(VALU_DEP_1) | instid1(SALU_CYCLE_1)
	s_or_b32 vcc_lo, s3, s2
	v_dual_cndmask_b32 v1, v1, v2 :: v_dual_cndmask_b32 v0, v0, v3
	s_delay_alu instid0(VALU_DEP_1) | instskip(NEXT) | instid1(VALU_DEP_2)
	v_mov_b32_dpp v3, v1 row_mirror row_mask:0xf bank_mask:0xf
	v_mov_b32_dpp v2, v0 row_mirror row_mask:0xf bank_mask:0xf
	s_delay_alu instid0(VALU_DEP_2) | instskip(NEXT) | instid1(VALU_DEP_2)
	v_cmp_eq_f32_e32 vcc_lo, v1, v3
	v_cmp_lt_i32_e64 s2, v2, v0
	v_cmp_lt_f32_e64 s3, v1, v3
	s_delay_alu instid0(VALU_DEP_2) | instskip(SKIP_1) | instid1(VALU_DEP_2)
	s_and_b32 s2, vcc_lo, s2
	v_cmp_eq_u32_e32 vcc_lo, 0, v8
	s_or_b32 s2, s3, s2
	s_waitcnt lgkmcnt(0)
	s_cmp_gt_i32 s4, 0
	v_cndmask_b32_e64 v13, v1, v3, s2
	s_cselect_b32 s3, -1, 0
	s_cmp_lt_i32 s4, 1
	s_cbranch_scc1 .LBB187_16
; %bb.5:
	s_load_b128 s[8:11], s[0:1], 0x20
	v_mul_lo_u32 v1, v7, s7
	v_mul_lo_u32 v3, v7, s14
	;; [unrolled: 1-line block ×3, first 2 shown]
	v_cndmask_b32_e64 v0, v0, v2, s2
	v_mov_b32_e32 v6, 0
	s_and_saveexec_b32 s2, vcc_lo
	s_cbranch_execz .LBB187_7
; %bb.6:
	v_sub_f32_e32 v50, v13, v13
	v_cmp_le_i32_e64 s0, s5, v0
	v_cmp_gt_i32_e64 s1, s6, v0
	v_subrev_nc_u32_e32 v51, s5, v0
	v_ashrrev_i32_e32 v6, 31, v5
	v_mul_f32_e32 v2, 0x3fb8aa3b, v50
	s_delay_alu instid0(VALU_DEP_4) | instskip(NEXT) | instid1(SALU_CYCLE_1)
	s_and_b32 s0, s0, s1
	s_and_b32 s0, s17, s0
	s_delay_alu instid0(VALU_DEP_1) | instskip(SKIP_2) | instid1(VALU_DEP_3)
	v_rndne_f32_e32 v46, v2
	v_fma_f32 v4, 0x3fb8aa3b, v50, -v2
	v_lshlrev_b64 v[48:49], 2, v[5:6]
	v_sub_f32_e32 v2, v2, v46
	s_delay_alu instid0(VALU_DEP_3) | instskip(NEXT) | instid1(VALU_DEP_1)
	v_fmamk_f32 v4, v50, 0x32a5705f, v4
	v_add_f32_e32 v4, v2, v4
	v_ashrrev_i32_e32 v2, 31, v1
	s_delay_alu instid0(VALU_DEP_2) | instskip(NEXT) | instid1(VALU_DEP_1)
	v_exp_f32_e32 v52, v4
	v_lshlrev_b64 v[44:45], 2, v[1:2]
	v_ashrrev_i32_e32 v4, 31, v3
	v_cvt_i32_f32_e32 v2, v46
	s_delay_alu instid0(VALU_DEP_2) | instskip(SKIP_2) | instid1(VALU_DEP_1)
	v_lshlrev_b64 v[46:47], 2, v[3:4]
	v_cndmask_b32_e64 v4, 0x100, v51, s0
	v_add_co_u32 v44, s0, s12, v44
	v_add_co_ci_u32_e64 v45, s0, s13, v45, s0
	s_delay_alu instid0(TRANS32_DEP_1) | instskip(SKIP_1) | instid1(VALU_DEP_1)
	v_ldexp_f32 v2, v52, v2
	v_cmp_ngt_f32_e64 s0, 0xc2ce8ed0, v50
	v_cndmask_b32_e64 v2, 0, v2, s0
	s_waitcnt lgkmcnt(0)
	v_add_co_u32 v46, s0, s8, v46
	s_delay_alu instid0(VALU_DEP_1) | instskip(SKIP_1) | instid1(VALU_DEP_1)
	v_add_co_ci_u32_e64 v47, s0, s9, v47, s0
	v_cmp_nlt_f32_e64 s0, 0x42b17218, v50
	v_cndmask_b32_e64 v6, 0x7f800000, v2, s0
	v_add_co_u32 v48, s0, s10, v48
	s_delay_alu instid0(VALU_DEP_1)
	v_add_co_ci_u32_e64 v49, s0, s11, v49, s0
	global_store_b32 v[46:47], v4, off
	global_store_b32 v[44:45], v6, off
	;; [unrolled: 1-line block ×3, first 2 shown]
.LBB187_7:
	s_or_b32 exec_lo, exec_lo, s2
	v_ashrrev_i32_e32 v4, 31, v0
	s_mov_b32 s1, exec_lo
	s_delay_alu instid0(VALU_DEP_1) | instskip(NEXT) | instid1(VALU_DEP_1)
	v_lshrrev_b32_e32 v2, 28, v4
	v_add_nc_u32_e32 v2, v0, v2
	s_delay_alu instid0(VALU_DEP_1) | instskip(NEXT) | instid1(VALU_DEP_1)
	v_ashrrev_i32_e32 v2, 4, v2
	v_lshrrev_b32_e32 v44, 28, v2
	s_delay_alu instid0(VALU_DEP_1) | instskip(NEXT) | instid1(VALU_DEP_1)
	v_add_nc_u32_e32 v44, v2, v44
	v_and_b32_e32 v44, -16, v44
	s_delay_alu instid0(VALU_DEP_1) | instskip(NEXT) | instid1(VALU_DEP_1)
	v_sub_nc_u32_e32 v44, v2, v44
	v_cmpx_eq_u32_e64 v8, v44
	s_cbranch_execz .LBB187_9
; %bb.8:
	v_lshrrev_b32_e32 v4, 24, v4
	v_lshlrev_b32_e32 v2, 4, v2
	s_delay_alu instid0(VALU_DEP_2) | instskip(NEXT) | instid1(VALU_DEP_2)
	v_add_nc_u32_e32 v4, v0, v4
	v_sub_nc_u32_e32 v0, v0, v2
	s_delay_alu instid0(VALU_DEP_2) | instskip(NEXT) | instid1(VALU_DEP_1)
	v_ashrrev_i32_e32 v2, 8, v4
	v_lshl_add_u32 v0, v2, 4, v0
	s_delay_alu instid0(VALU_DEP_1) | instskip(NEXT) | instid1(VALU_DEP_1)
	v_cmp_ne_u32_e64 s0, 15, v0
	v_cndmask_b32_e64 v9, 0xff800000, v9, s0
	v_cmp_ne_u32_e64 s0, 14, v0
	s_delay_alu instid0(VALU_DEP_1) | instskip(SKIP_1) | instid1(VALU_DEP_1)
	v_cndmask_b32_e64 v10, 0xff800000, v10, s0
	v_cmp_ne_u32_e64 s0, 13, v0
	v_cndmask_b32_e64 v11, 0xff800000, v11, s0
	v_cmp_ne_u32_e64 s0, 12, v0
	s_delay_alu instid0(VALU_DEP_1) | instskip(SKIP_1) | instid1(VALU_DEP_1)
	v_cndmask_b32_e64 v12, 0xff800000, v12, s0
	;; [unrolled: 5-line block ×7, first 2 shown]
	v_cmp_ne_u32_e64 s0, 1, v0
	v_cndmask_b32_e64 v25, 0xff800000, v25, s0
	v_cmp_ne_u32_e64 s0, 0, v0
	s_delay_alu instid0(VALU_DEP_1)
	v_cndmask_b32_e64 v26, 0xff800000, v26, s0
.LBB187_9:
	s_or_b32 exec_lo, exec_lo, s1
	s_cmp_eq_u32 s4, 1
	s_cbranch_scc1 .LBB187_16
; %bb.10:
	s_add_i32 s18, s18, s16
	v_add_nc_u32_e32 v0, 1, v5
	v_add3_u32 v42, s18, v43, v42
	v_add_nc_u32_e32 v2, 1, v3
	v_add_nc_u32_e32 v4, 1, v1
	s_add_i32 s14, s4, -1
	s_branch .LBB187_12
.LBB187_11:                             ;   in Loop: Header=BB187_12 Depth=1
	s_or_b32 exec_lo, exec_lo, s1
	v_add_nc_u32_e32 v42, s16, v42
	v_add_nc_u32_e32 v0, 1, v0
	;; [unrolled: 1-line block ×4, first 2 shown]
	s_add_i32 s14, s14, -1
	s_delay_alu instid0(SALU_CYCLE_1)
	s_cmp_eq_u32 s14, 0
	s_cbranch_scc1 .LBB187_16
.LBB187_12:                             ; =>This Inner Loop Header: Depth=1
	v_cmp_gt_f32_e64 s0, v25, v26
	s_delay_alu instid0(VALU_DEP_1) | instskip(SKIP_1) | instid1(VALU_DEP_2)
	v_cndmask_b32_e64 v3, v26, v25, s0
	v_cndmask_b32_e64 v1, v24, v27, s0
	v_cmp_gt_f32_e64 s0, v23, v3
	s_delay_alu instid0(VALU_DEP_1) | instskip(NEXT) | instid1(VALU_DEP_3)
	v_cndmask_b32_e64 v3, v3, v23, s0
	v_cndmask_b32_e64 v1, v1, v28, s0
	s_delay_alu instid0(VALU_DEP_2) | instskip(NEXT) | instid1(VALU_DEP_1)
	v_cmp_gt_f32_e64 s0, v22, v3
	v_cndmask_b32_e64 v3, v3, v22, s0
	s_delay_alu instid0(VALU_DEP_3) | instskip(NEXT) | instid1(VALU_DEP_2)
	v_cndmask_b32_e64 v1, v1, v29, s0
	v_cmp_gt_f32_e64 s0, v21, v3
	s_delay_alu instid0(VALU_DEP_1) | instskip(NEXT) | instid1(VALU_DEP_3)
	v_cndmask_b32_e64 v3, v3, v21, s0
	v_cndmask_b32_e64 v1, v1, v30, s0
	s_delay_alu instid0(VALU_DEP_2) | instskip(NEXT) | instid1(VALU_DEP_1)
	v_cmp_gt_f32_e64 s0, v20, v3
	v_cndmask_b32_e64 v3, v3, v20, s0
	s_delay_alu instid0(VALU_DEP_3) | instskip(NEXT) | instid1(VALU_DEP_2)
	;; [unrolled: 9-line block ×6, first 2 shown]
	v_cndmask_b32_e64 v1, v1, v39, s0
	v_cmp_gt_f32_e64 s0, v10, v3
	s_delay_alu instid0(VALU_DEP_1) | instskip(NEXT) | instid1(VALU_DEP_3)
	v_cndmask_b32_e64 v3, v3, v10, s0
	v_cndmask_b32_e64 v1, v1, v40, s0
	s_delay_alu instid0(VALU_DEP_2) | instskip(NEXT) | instid1(VALU_DEP_1)
	v_cmp_gt_f32_e64 s0, v9, v3
	v_cndmask_b32_e64 v1, v1, v41, s0
	v_cndmask_b32_e64 v3, v3, v9, s0
	s_delay_alu instid0(VALU_DEP_2) | instskip(NEXT) | instid1(VALU_DEP_2)
	v_mov_b32_dpp v5, v1 quad_perm:[1,0,3,2] row_mask:0xf bank_mask:0xf
	v_mov_b32_dpp v43, v3 quad_perm:[1,0,3,2] row_mask:0xf bank_mask:0xf
	s_delay_alu instid0(VALU_DEP_2) | instskip(NEXT) | instid1(VALU_DEP_2)
	v_cmp_lt_i32_e64 s0, v5, v1
	v_cmp_eq_f32_e64 s1, v3, v43
	v_cmp_lt_f32_e64 s2, v3, v43
	s_delay_alu instid0(VALU_DEP_2)
	s_and_b32 s0, s1, s0
	s_delay_alu instid0(VALU_DEP_1) | instid1(SALU_CYCLE_1)
	s_or_b32 s0, s2, s0
	s_delay_alu instid0(SALU_CYCLE_1) | instskip(SKIP_1) | instid1(VALU_DEP_2)
	v_cndmask_b32_e64 v3, v3, v43, s0
	v_cndmask_b32_e64 v1, v1, v5, s0
	v_mov_b32_dpp v5, v3 quad_perm:[2,3,0,1] row_mask:0xf bank_mask:0xf
	s_delay_alu instid0(VALU_DEP_2) | instskip(NEXT) | instid1(VALU_DEP_2)
	v_mov_b32_dpp v43, v1 quad_perm:[2,3,0,1] row_mask:0xf bank_mask:0xf
	v_cmp_eq_f32_e64 s0, v3, v5
	s_delay_alu instid0(VALU_DEP_2) | instskip(SKIP_1) | instid1(VALU_DEP_2)
	v_cmp_lt_i32_e64 s1, v43, v1
	v_cmp_lt_f32_e64 s2, v3, v5
	s_and_b32 s0, s0, s1
	s_delay_alu instid0(VALU_DEP_1) | instid1(SALU_CYCLE_1)
	s_or_b32 s0, s2, s0
	s_delay_alu instid0(SALU_CYCLE_1) | instskip(SKIP_1) | instid1(VALU_DEP_2)
	v_cndmask_b32_e64 v3, v3, v5, s0
	v_cndmask_b32_e64 v5, v1, v43, s0
	v_mov_b32_dpp v1, v3 row_half_mirror row_mask:0xf bank_mask:0xf
	s_delay_alu instid0(VALU_DEP_2) | instskip(NEXT) | instid1(VALU_DEP_2)
	v_mov_b32_dpp v43, v5 row_half_mirror row_mask:0xf bank_mask:0xf
	v_cmp_eq_f32_e64 s0, v3, v1
	s_delay_alu instid0(VALU_DEP_2) | instskip(SKIP_1) | instid1(VALU_DEP_2)
	v_cmp_lt_i32_e64 s1, v43, v5
	v_cmp_lt_f32_e64 s2, v3, v1
	s_and_b32 s0, s0, s1
	s_delay_alu instid0(VALU_DEP_1) | instid1(SALU_CYCLE_1)
	s_or_b32 s0, s2, s0
	s_delay_alu instid0(SALU_CYCLE_1) | instskip(SKIP_1) | instid1(VALU_DEP_2)
	v_cndmask_b32_e64 v1, v3, v1, s0
	v_cndmask_b32_e64 v5, v5, v43, s0
	v_mov_b32_dpp v3, v1 row_mirror row_mask:0xf bank_mask:0xf
	s_delay_alu instid0(VALU_DEP_2) | instskip(NEXT) | instid1(VALU_DEP_2)
	v_mov_b32_dpp v43, v5 row_mirror row_mask:0xf bank_mask:0xf
	v_cmp_eq_f32_e64 s0, v1, v3
	s_delay_alu instid0(VALU_DEP_2) | instskip(SKIP_1) | instid1(VALU_DEP_2)
	v_cmp_lt_i32_e64 s1, v43, v5
	v_cmp_lt_f32_e64 s2, v1, v3
	s_and_b32 s0, s0, s1
	s_delay_alu instid0(VALU_DEP_1) | instid1(SALU_CYCLE_1)
	s_or_b32 s0, s2, s0
	s_delay_alu instid0(SALU_CYCLE_1)
	v_cndmask_b32_e64 v43, v5, v43, s0
	s_and_saveexec_b32 s2, vcc_lo
	s_cbranch_execz .LBB187_14
; %bb.13:                               ;   in Loop: Header=BB187_12 Depth=1
	v_cndmask_b32_e64 v1, v1, v3, s0
	s_delay_alu instid0(VALU_DEP_2) | instskip(SKIP_4) | instid1(VALU_DEP_4)
	v_cmp_le_i32_e64 s0, s5, v43
	v_cmp_gt_i32_e64 s1, s6, v43
	v_ashrrev_i32_e32 v5, 31, v4
	v_subrev_nc_u32_e32 v51, s5, v43
	v_sub_f32_e32 v50, v1, v13
	s_and_b32 s0, s0, s1
	s_delay_alu instid0(SALU_CYCLE_1) | instskip(NEXT) | instid1(VALU_DEP_1)
	s_and_b32 s0, s17, s0
	v_mul_f32_e32 v1, 0x3fb8aa3b, v50
	s_delay_alu instid0(VALU_DEP_1) | instskip(SKIP_1) | instid1(VALU_DEP_2)
	v_fma_f32 v3, 0x3fb8aa3b, v50, -v1
	v_rndne_f32_e32 v44, v1
	v_fmac_f32_e32 v3, 0x32a5705f, v50
	s_delay_alu instid0(VALU_DEP_2) | instskip(SKIP_2) | instid1(VALU_DEP_3)
	v_sub_f32_e32 v1, v1, v44
	v_cvt_i32_f32_e32 v49, v44
	v_lshlrev_b64 v[44:45], 2, v[4:5]
	v_add_f32_e32 v1, v1, v3
	v_ashrrev_i32_e32 v3, 31, v2
	s_delay_alu instid0(VALU_DEP_2) | instskip(SKIP_1) | instid1(VALU_DEP_2)
	v_exp_f32_e32 v48, v1
	v_ashrrev_i32_e32 v1, 31, v0
	v_lshlrev_b64 v[46:47], 2, v[2:3]
	s_waitcnt_depctr 0xfff
	v_ldexp_f32 v3, v48, v49
	v_lshlrev_b64 v[48:49], 2, v[0:1]
	v_cndmask_b32_e64 v1, 0x100, v51, s0
	v_cmp_ngt_f32_e64 s0, 0xc2ce8ed0, v50
	s_delay_alu instid0(VALU_DEP_1) | instskip(SKIP_1) | instid1(VALU_DEP_1)
	v_cndmask_b32_e64 v3, 0, v3, s0
	v_add_co_u32 v44, s0, s12, v44
	v_add_co_ci_u32_e64 v45, s0, s13, v45, s0
	v_cmp_nlt_f32_e64 s0, 0x42b17218, v50
	s_delay_alu instid0(VALU_DEP_1) | instskip(SKIP_2) | instid1(VALU_DEP_1)
	v_cndmask_b32_e64 v3, 0x7f800000, v3, s0
	s_waitcnt lgkmcnt(0)
	v_add_co_u32 v46, s0, s8, v46
	v_add_co_ci_u32_e64 v47, s0, s9, v47, s0
	s_delay_alu instid0(VALU_DEP_3) | instskip(SKIP_1) | instid1(VALU_DEP_1)
	v_add_f32_e32 v6, v6, v3
	v_add_co_u32 v48, s0, s10, v48
	v_add_co_ci_u32_e64 v49, s0, s11, v49, s0
	global_store_b32 v[44:45], v3, off
	global_store_b32 v[46:47], v1, off
	;; [unrolled: 1-line block ×3, first 2 shown]
.LBB187_14:                             ;   in Loop: Header=BB187_12 Depth=1
	s_or_b32 exec_lo, exec_lo, s2
	s_delay_alu instid0(VALU_DEP_1) | instskip(SKIP_1) | instid1(VALU_DEP_1)
	v_ashrrev_i32_e32 v3, 31, v43
	s_mov_b32 s1, exec_lo
	v_lshrrev_b32_e32 v1, 28, v3
	s_delay_alu instid0(VALU_DEP_1) | instskip(NEXT) | instid1(VALU_DEP_1)
	v_add_nc_u32_e32 v1, v43, v1
	v_ashrrev_i32_e32 v1, 4, v1
	s_delay_alu instid0(VALU_DEP_1) | instskip(NEXT) | instid1(VALU_DEP_1)
	v_lshrrev_b32_e32 v5, 28, v1
	v_add_nc_u32_e32 v5, v1, v5
	s_delay_alu instid0(VALU_DEP_1) | instskip(NEXT) | instid1(VALU_DEP_1)
	v_and_b32_e32 v5, -16, v5
	v_sub_nc_u32_e32 v5, v1, v5
	s_delay_alu instid0(VALU_DEP_1)
	v_cmpx_eq_u32_e64 v8, v5
	s_cbranch_execz .LBB187_11
; %bb.15:                               ;   in Loop: Header=BB187_12 Depth=1
	v_lshrrev_b32_e32 v3, 24, v3
	v_lshlrev_b32_e32 v1, 4, v1
	s_delay_alu instid0(VALU_DEP_2) | instskip(NEXT) | instid1(VALU_DEP_2)
	v_add_nc_u32_e32 v3, v43, v3
	v_sub_nc_u32_e32 v1, v43, v1
	s_delay_alu instid0(VALU_DEP_2) | instskip(NEXT) | instid1(VALU_DEP_1)
	v_ashrrev_i32_e32 v3, 8, v3
	v_lshl_add_u32 v1, v3, 4, v1
	s_delay_alu instid0(VALU_DEP_1) | instskip(NEXT) | instid1(VALU_DEP_1)
	v_cmp_ne_u32_e64 s0, 15, v1
	v_cndmask_b32_e64 v9, 0xff800000, v9, s0
	v_cmp_ne_u32_e64 s0, 14, v1
	s_delay_alu instid0(VALU_DEP_1) | instskip(SKIP_1) | instid1(VALU_DEP_1)
	v_cndmask_b32_e64 v10, 0xff800000, v10, s0
	v_cmp_ne_u32_e64 s0, 13, v1
	v_cndmask_b32_e64 v11, 0xff800000, v11, s0
	v_cmp_ne_u32_e64 s0, 12, v1
	s_delay_alu instid0(VALU_DEP_1) | instskip(SKIP_1) | instid1(VALU_DEP_1)
	v_cndmask_b32_e64 v12, 0xff800000, v12, s0
	;; [unrolled: 5-line block ×7, first 2 shown]
	v_cmp_ne_u32_e64 s0, 1, v1
	v_cndmask_b32_e64 v25, 0xff800000, v25, s0
	v_cmp_ne_u32_e64 s0, 0, v1
	s_delay_alu instid0(VALU_DEP_1)
	v_cndmask_b32_e64 v26, 0xff800000, v26, s0
	s_branch .LBB187_11
.LBB187_16:
	s_delay_alu instid0(VALU_DEP_1)
	v_sub_f32_e32 v5, v22, v13
	v_sub_f32_e32 v18, v18, v13
	;; [unrolled: 1-line block ×5, first 2 shown]
	v_mul_f32_e32 v27, 0x3fb8aa3b, v5
	v_sub_f32_e32 v19, v19, v13
	v_sub_f32_e32 v11, v11, v13
	;; [unrolled: 1-line block ×3, first 2 shown]
	s_delay_alu instid0(VALU_DEP_4) | instskip(SKIP_1) | instid1(VALU_DEP_1)
	v_rndne_f32_e32 v30, v27
	v_sub_f32_e32 v0, v26, v13
	v_dual_sub_f32 v1, v25, v13 :: v_dual_mul_f32 v2, 0x3fb8aa3b, v0
	s_delay_alu instid0(VALU_DEP_1) | instskip(NEXT) | instid1(VALU_DEP_2)
	v_mul_f32_e32 v4, 0x3fb8aa3b, v1
	v_fma_f32 v22, 0x3fb8aa3b, v0, -v2
	v_sub_f32_e32 v3, v23, v13
	v_rndne_f32_e32 v23, v2
	v_sub_f32_e32 v21, v21, v13
	v_fma_f32 v24, 0x3fb8aa3b, v1, -v4
	v_rndne_f32_e32 v25, v4
	v_fmac_f32_e32 v22, 0x32a5705f, v0
	v_sub_f32_e32 v2, v2, v23
	v_mul_f32_e32 v26, 0x3fb8aa3b, v3
	v_fmac_f32_e32 v24, 0x32a5705f, v1
	v_sub_f32_e32 v4, v4, v25
	v_cvt_i32_f32_e32 v23, v23
	v_add_f32_e32 v2, v2, v22
	v_fma_f32 v29, 0x3fb8aa3b, v5, -v27
	v_cvt_i32_f32_e32 v25, v25
	v_add_f32_e32 v4, v4, v24
	v_fma_f32 v22, 0x3fb8aa3b, v3, -v26
	v_exp_f32_e32 v2, v2
	v_fmac_f32_e32 v29, 0x32a5705f, v5
	v_rndne_f32_e32 v24, v26
	v_exp_f32_e32 v4, v4
	v_mul_f32_e32 v28, 0x3fb8aa3b, v21
	s_delay_alu instid0(VALU_DEP_2) | instskip(SKIP_1) | instid1(TRANS32_DEP_2)
	v_sub_f32_e32 v26, v26, v24
	v_cvt_i32_f32_e32 v24, v24
	v_ldexp_f32 v2, v2, v23
	v_sub_f32_e32 v23, v27, v30
	v_cmp_ngt_f32_e32 vcc_lo, 0xc2ce8ed0, v0
	s_delay_alu instid0(TRANS32_DEP_1) | instskip(NEXT) | instid1(VALU_DEP_3)
	v_ldexp_f32 v4, v4, v25
	v_dual_fmac_f32 v22, 0x32a5705f, v3 :: v_dual_add_f32 v23, v23, v29
	v_cndmask_b32_e32 v2, 0, v2, vcc_lo
	v_cmp_ngt_f32_e32 vcc_lo, 0xc2ce8ed0, v1
	s_delay_alu instid0(VALU_DEP_3)
	v_exp_f32_e32 v23, v23
	v_cndmask_b32_e32 v4, 0, v4, vcc_lo
	v_cmp_nlt_f32_e32 vcc_lo, 0x42b17218, v0
	v_cndmask_b32_e32 v0, 0x7f800000, v2, vcc_lo
	v_cmp_nlt_f32_e32 vcc_lo, 0x42b17218, v1
	v_add_f32_e32 v22, v26, v22
	v_fma_f32 v2, 0x3fb8aa3b, v21, -v28
	v_cndmask_b32_e32 v1, 0x7f800000, v4, vcc_lo
	s_delay_alu instid0(VALU_DEP_3) | instskip(SKIP_1) | instid1(VALU_DEP_3)
	v_exp_f32_e32 v22, v22
	v_cmp_ngt_f32_e32 vcc_lo, 0xc2ce8ed0, v3
	v_fmac_f32_e32 v2, 0x32a5705f, v21
	s_delay_alu instid0(VALU_DEP_3) | instskip(SKIP_3) | instid1(VALU_DEP_2)
	v_add_f32_e32 v0, v0, v1
	s_waitcnt_depctr 0xfff
	v_ldexp_f32 v4, v22, v24
	v_rndne_f32_e32 v22, v28
	v_cndmask_b32_e32 v1, 0, v4, vcc_lo
	v_cvt_i32_f32_e32 v4, v30
	v_cmp_nlt_f32_e32 vcc_lo, 0x42b17218, v3
	s_delay_alu instid0(VALU_DEP_2) | instskip(NEXT) | instid1(VALU_DEP_4)
	v_ldexp_f32 v3, v23, v4
	v_cndmask_b32_e32 v1, 0x7f800000, v1, vcc_lo
	v_cmp_ngt_f32_e32 vcc_lo, 0xc2ce8ed0, v5
	v_mul_f32_e32 v4, 0x3fb8aa3b, v20
	s_delay_alu instid0(VALU_DEP_3) | instskip(SKIP_2) | instid1(VALU_DEP_4)
	v_dual_add_f32 v0, v0, v1 :: v_dual_cndmask_b32 v1, 0, v3
	v_cmp_nlt_f32_e32 vcc_lo, 0x42b17218, v5
	v_sub_f32_e32 v24, v28, v22
	v_fma_f32 v3, 0x3fb8aa3b, v20, -v4
	v_rndne_f32_e32 v23, v4
	v_cvt_i32_f32_e32 v5, v22
	s_delay_alu instid0(VALU_DEP_4) | instskip(NEXT) | instid1(VALU_DEP_3)
	v_dual_cndmask_b32 v1, 0x7f800000, v1 :: v_dual_add_f32 v2, v24, v2
	v_dual_fmac_f32 v3, 0x32a5705f, v20 :: v_dual_sub_f32 v4, v4, v23
	v_mul_f32_e32 v22, 0x3fb8aa3b, v19
	s_delay_alu instid0(VALU_DEP_3) | instskip(NEXT) | instid1(VALU_DEP_4)
	v_add_f32_e32 v0, v0, v1
	v_exp_f32_e32 v2, v2
	v_cmp_ngt_f32_e32 vcc_lo, 0xc2ce8ed0, v21
	s_waitcnt_depctr 0xfff
	v_ldexp_f32 v1, v2, v5
	v_add_f32_e32 v2, v4, v3
	v_fma_f32 v3, 0x3fb8aa3b, v19, -v22
	v_rndne_f32_e32 v4, v22
	s_delay_alu instid0(VALU_DEP_4) | instskip(NEXT) | instid1(VALU_DEP_4)
	v_cndmask_b32_e32 v1, 0, v1, vcc_lo
	v_exp_f32_e32 v2, v2
	s_delay_alu instid0(VALU_DEP_3) | instskip(NEXT) | instid1(VALU_DEP_3)
	v_fmac_f32_e32 v3, 0x32a5705f, v19
	v_sub_f32_e32 v5, v22, v4
	v_cmp_nlt_f32_e32 vcc_lo, 0x42b17218, v21
	v_cvt_i32_f32_e32 v21, v23
	v_cvt_i32_f32_e32 v4, v4
	s_delay_alu instid0(VALU_DEP_4) | instskip(SKIP_3) | instid1(VALU_DEP_3)
	v_add_f32_e32 v3, v5, v3
	v_cndmask_b32_e32 v1, 0x7f800000, v1, vcc_lo
	v_mul_f32_e32 v5, 0x3fb8aa3b, v18
	v_cmp_ngt_f32_e32 vcc_lo, 0xc2ce8ed0, v20
	v_add_f32_e32 v0, v0, v1
	v_ldexp_f32 v1, v2, v21
	v_exp_f32_e32 v2, v3
	v_fma_f32 v3, 0x3fb8aa3b, v18, -v5
	v_rndne_f32_e32 v21, v5
	s_delay_alu instid0(VALU_DEP_3) | instskip(SKIP_1) | instid1(VALU_DEP_4)
	v_cndmask_b32_e32 v1, 0, v1, vcc_lo
	v_cmp_nlt_f32_e32 vcc_lo, 0x42b17218, v20
	v_fmac_f32_e32 v3, 0x32a5705f, v18
	s_delay_alu instid0(VALU_DEP_4) | instskip(NEXT) | instid1(VALU_DEP_4)
	v_sub_f32_e32 v5, v5, v21
	v_cndmask_b32_e32 v1, 0x7f800000, v1, vcc_lo
	s_delay_alu instid0(TRANS32_DEP_1) | instskip(NEXT) | instid1(VALU_DEP_3)
	v_ldexp_f32 v2, v2, v4
	v_add_f32_e32 v3, v5, v3
	v_cmp_ngt_f32_e32 vcc_lo, 0xc2ce8ed0, v19
	v_sub_f32_e32 v5, v16, v13
	v_cvt_i32_f32_e32 v16, v21
	v_mul_f32_e32 v21, 0x3fb8aa3b, v14
	v_sub_f32_e32 v15, v15, v13
	v_dual_add_f32 v0, v0, v1 :: v_dual_cndmask_b32 v1, 0, v2
	v_exp_f32_e32 v2, v3
	v_cmp_nlt_f32_e32 vcc_lo, 0x42b17218, v19
	v_mul_f32_e32 v20, 0x3fb8aa3b, v5
	s_delay_alu instid0(VALU_DEP_3) | instskip(NEXT) | instid1(VALU_DEP_1)
	v_cndmask_b32_e32 v1, 0x7f800000, v1, vcc_lo
	v_add_f32_e32 v0, v0, v1
	s_waitcnt_depctr 0xfff
	v_ldexp_f32 v1, v2, v16
	v_rndne_f32_e32 v16, v20
	v_sub_f32_e32 v4, v17, v13
	s_delay_alu instid0(VALU_DEP_1) | instskip(NEXT) | instid1(VALU_DEP_1)
	v_mul_f32_e32 v3, 0x3fb8aa3b, v4
	v_fma_f32 v17, 0x3fb8aa3b, v4, -v3
	v_rndne_f32_e32 v19, v3
	s_delay_alu instid0(VALU_DEP_1) | instskip(SKIP_3) | instid1(VALU_DEP_4)
	v_dual_fmac_f32 v17, 0x32a5705f, v4 :: v_dual_sub_f32 v2, v3, v19
	v_cmp_ngt_f32_e32 vcc_lo, 0xc2ce8ed0, v18
	v_fma_f32 v3, 0x3fb8aa3b, v5, -v20
	v_cvt_i32_f32_e32 v19, v19
	v_add_f32_e32 v2, v2, v17
	v_cndmask_b32_e32 v1, 0, v1, vcc_lo
	v_cmp_nlt_f32_e32 vcc_lo, 0x42b17218, v18
	v_dual_sub_f32 v17, v20, v16 :: v_dual_mul_f32 v20, 0x3fb8aa3b, v15
	s_delay_alu instid0(VALU_DEP_4) | instskip(NEXT) | instid1(VALU_DEP_3)
	v_exp_f32_e32 v2, v2
	v_cndmask_b32_e32 v1, 0x7f800000, v1, vcc_lo
	v_cmp_ngt_f32_e32 vcc_lo, 0xc2ce8ed0, v4
	s_delay_alu instid0(VALU_DEP_3) | instskip(NEXT) | instid1(VALU_DEP_3)
	v_rndne_f32_e32 v18, v20
	v_add_f32_e32 v0, v0, v1
	s_waitcnt_depctr 0xfff
	v_ldexp_f32 v1, v2, v19
	v_cvt_i32_f32_e32 v2, v16
	v_rndne_f32_e32 v19, v21
	s_delay_alu instid0(VALU_DEP_3) | instskip(SKIP_2) | instid1(VALU_DEP_3)
	v_cndmask_b32_e32 v1, 0, v1, vcc_lo
	v_cmp_nlt_f32_e32 vcc_lo, 0x42b17218, v4
	v_cvt_i32_f32_e32 v4, v18
	v_cndmask_b32_e32 v1, 0x7f800000, v1, vcc_lo
	v_cmp_ngt_f32_e32 vcc_lo, 0xc2ce8ed0, v5
	v_fmac_f32_e32 v3, 0x32a5705f, v5
	s_delay_alu instid0(VALU_DEP_1) | instskip(SKIP_2) | instid1(VALU_DEP_3)
	v_dual_add_f32 v0, v0, v1 :: v_dual_add_f32 v3, v17, v3
	v_fma_f32 v17, 0x3fb8aa3b, v15, -v20
	v_sub_f32_e32 v20, v20, v18
	v_exp_f32_e32 v3, v3
	s_delay_alu instid0(VALU_DEP_2) | instskip(NEXT) | instid1(VALU_DEP_1)
	v_fmac_f32_e32 v17, 0x32a5705f, v15
	v_add_f32_e32 v16, v20, v17
	s_waitcnt_depctr 0xfff
	v_ldexp_f32 v2, v3, v2
	v_exp_f32_e32 v3, v16
	v_sub_f32_e32 v16, v21, v19
	s_delay_alu instid0(VALU_DEP_2)
	v_cndmask_b32_e32 v2, 0, v2, vcc_lo
	v_cmp_nlt_f32_e32 vcc_lo, 0x42b17218, v5
	s_waitcnt_depctr 0xfff
	v_ldexp_f32 v1, v3, v4
	v_cndmask_b32_e32 v2, 0x7f800000, v2, vcc_lo
	v_cmp_ngt_f32_e32 vcc_lo, 0xc2ce8ed0, v15
	v_sub_f32_e32 v4, v12, v13
	v_mul_f32_e32 v12, 0x3fb8aa3b, v11
	s_delay_alu instid0(VALU_DEP_4) | instskip(SKIP_1) | instid1(VALU_DEP_4)
	v_dual_add_f32 v0, v0, v2 :: v_dual_cndmask_b32 v1, 0, v1
	v_cmp_nlt_f32_e32 vcc_lo, 0x42b17218, v15
	v_mul_f32_e32 v5, 0x3fb8aa3b, v4
	v_cvt_i32_f32_e32 v2, v19
	s_delay_alu instid0(VALU_DEP_4) | instskip(NEXT) | instid1(VALU_DEP_1)
	v_cndmask_b32_e32 v1, 0x7f800000, v1, vcc_lo
	v_add_f32_e32 v0, v0, v1
	s_delay_alu instid0(VALU_DEP_4) | instskip(NEXT) | instid1(VALU_DEP_1)
	v_fma_f32 v1, 0x3fb8aa3b, v4, -v5
	v_fmac_f32_e32 v1, 0x32a5705f, v4
	v_fma_f32 v17, 0x3fb8aa3b, v14, -v21
	v_cmp_ngt_f32_e32 vcc_lo, 0xc2ce8ed0, v14
	s_delay_alu instid0(VALU_DEP_2) | instskip(NEXT) | instid1(VALU_DEP_1)
	v_fmac_f32_e32 v17, 0x32a5705f, v14
	v_add_f32_e32 v16, v16, v17
	s_delay_alu instid0(VALU_DEP_1) | instskip(SKIP_1) | instid1(VALU_DEP_1)
	v_exp_f32_e32 v3, v16
	v_mul_f32_e32 v16, 0x3fb8aa3b, v9
	v_rndne_f32_e32 v17, v16
	s_waitcnt_depctr 0xfff
	v_ldexp_f32 v2, v3, v2
	v_rndne_f32_e32 v3, v5
	s_delay_alu instid0(VALU_DEP_1) | instskip(SKIP_3) | instid1(VALU_DEP_4)
	v_dual_cndmask_b32 v2, 0, v2 :: v_dual_sub_f32 v5, v5, v3
	v_cmp_nlt_f32_e32 vcc_lo, 0x42b17218, v14
	v_mul_f32_e32 v14, 0x3fb8aa3b, v10
	v_cvt_i32_f32_e32 v3, v3
	v_dual_add_f32 v1, v5, v1 :: v_dual_cndmask_b32 v2, 0x7f800000, v2
	v_rndne_f32_e32 v5, v12
	s_delay_alu instid0(VALU_DEP_4) | instskip(SKIP_1) | instid1(VALU_DEP_4)
	v_fma_f32 v13, 0x3fb8aa3b, v10, -v14
	v_rndne_f32_e32 v15, v14
	v_exp_f32_e32 v1, v1
	v_add_f32_e32 v0, v0, v2
	v_fma_f32 v2, 0x3fb8aa3b, v11, -v12
	v_dual_sub_f32 v12, v12, v5 :: v_dual_fmac_f32 v13, 0x32a5705f, v10
	v_cmp_ngt_f32_e32 vcc_lo, 0xc2ce8ed0, v4
	v_cvt_i32_f32_e32 v5, v5
	s_delay_alu instid0(VALU_DEP_4) | instskip(NEXT) | instid1(TRANS32_DEP_1)
	v_fmac_f32_e32 v2, 0x32a5705f, v11
	v_ldexp_f32 v1, v1, v3
	s_delay_alu instid0(VALU_DEP_2) | instskip(SKIP_2) | instid1(VALU_DEP_4)
	v_add_f32_e32 v2, v12, v2
	v_sub_f32_e32 v12, v14, v15
	v_fma_f32 v14, 0x3fb8aa3b, v9, -v16
	v_cndmask_b32_e32 v1, 0, v1, vcc_lo
	v_cmp_nlt_f32_e32 vcc_lo, 0x42b17218, v4
	v_exp_f32_e32 v2, v2
	v_add_f32_e32 v3, v12, v13
	v_fmac_f32_e32 v14, 0x32a5705f, v9
	v_sub_f32_e32 v12, v16, v17
	v_cndmask_b32_e32 v1, 0x7f800000, v1, vcc_lo
	v_cvt_i32_f32_e32 v4, v15
	v_exp_f32_e32 v3, v3
	v_cmp_ngt_f32_e32 vcc_lo, 0xc2ce8ed0, v11
	v_add_f32_e32 v12, v12, v14
	v_add_f32_e32 v0, v0, v1
	v_ldexp_f32 v2, v2, v5
	s_delay_alu instid0(VALU_DEP_3)
	v_exp_f32_e32 v5, v12
	s_waitcnt_depctr 0xfff
	v_ldexp_f32 v1, v3, v4
	v_cndmask_b32_e32 v2, 0, v2, vcc_lo
	v_cmp_nlt_f32_e32 vcc_lo, 0x42b17218, v11
	v_cvt_i32_f32_e32 v3, v17
	s_delay_alu instid0(VALU_DEP_3) | instskip(SKIP_1) | instid1(VALU_DEP_3)
	v_cndmask_b32_e32 v2, 0x7f800000, v2, vcc_lo
	v_cmp_ngt_f32_e32 vcc_lo, 0xc2ce8ed0, v10
	v_ldexp_f32 v3, v5, v3
	v_cndmask_b32_e32 v1, 0, v1, vcc_lo
	v_cmp_nlt_f32_e32 vcc_lo, 0x42b17218, v10
	s_delay_alu instid0(VALU_DEP_2) | instskip(SKIP_1) | instid1(VALU_DEP_2)
	v_dual_add_f32 v0, v0, v2 :: v_dual_cndmask_b32 v1, 0x7f800000, v1
	v_cmp_ngt_f32_e32 vcc_lo, 0xc2ce8ed0, v9
	v_add_f32_e32 v0, v0, v1
	v_cndmask_b32_e32 v2, 0, v3, vcc_lo
	v_cmp_nlt_f32_e32 vcc_lo, 0x42b17218, v9
	s_delay_alu instid0(VALU_DEP_2) | instskip(SKIP_1) | instid1(VALU_DEP_2)
	v_cndmask_b32_e32 v1, 0x7f800000, v2, vcc_lo
	v_cmp_eq_u32_e32 vcc_lo, 0, v8
	v_add_f32_e32 v0, v0, v1
	s_delay_alu instid0(VALU_DEP_1) | instskip(NEXT) | instid1(VALU_DEP_1)
	v_mov_b32_dpp v1, v0 quad_perm:[1,0,3,2] row_mask:0xf bank_mask:0xf
	v_add_f32_e32 v0, v0, v1
	s_delay_alu instid0(VALU_DEP_1) | instskip(NEXT) | instid1(VALU_DEP_1)
	v_mov_b32_dpp v1, v0 quad_perm:[2,3,0,1] row_mask:0xf bank_mask:0xf
	v_add_f32_e32 v0, v0, v1
	s_delay_alu instid0(VALU_DEP_1) | instskip(NEXT) | instid1(VALU_DEP_1)
	v_mov_b32_dpp v1, v0 row_half_mirror row_mask:0xf bank_mask:0xf
	v_add_f32_e32 v0, v0, v1
	s_delay_alu instid0(VALU_DEP_1)
	v_mov_b32_dpp v1, v0 row_mirror row_mask:0xf bank_mask:0xf
	s_and_b32 exec_lo, exec_lo, vcc_lo
	s_cbranch_execz .LBB187_21
; %bb.17:
	s_delay_alu instid0(VALU_DEP_1) | instskip(NEXT) | instid1(VALU_DEP_1)
	v_add_f32_e32 v0, v0, v1
	v_add_f32_e32 v0, v6, v0
	s_delay_alu instid0(VALU_DEP_1)
	v_cmp_neq_f32_e32 vcc_lo, 0, v0
	s_and_b32 exec_lo, exec_lo, vcc_lo
	s_cbranch_execz .LBB187_21
; %bb.18:
	s_and_not1_b32 vcc_lo, exec_lo, s3
	s_cbranch_vccnz .LBB187_21
; %bb.19:
	v_div_scale_f32 v2, null, v0, v0, 1.0
	v_div_scale_f32 v4, vcc_lo, 1.0, v0, 1.0
	s_delay_alu instid0(VALU_DEP_2) | instskip(SKIP_2) | instid1(VALU_DEP_1)
	v_rcp_f32_e32 v3, v2
	s_waitcnt_depctr 0xfff
	v_fma_f32 v1, -v2, v3, 1.0
	v_fmac_f32_e32 v3, v1, v3
	v_mul_lo_u32 v1, v7, s7
	s_delay_alu instid0(VALU_DEP_2) | instskip(NEXT) | instid1(VALU_DEP_1)
	v_mul_f32_e32 v5, v4, v3
	v_fma_f32 v6, -v2, v5, v4
	s_delay_alu instid0(VALU_DEP_1) | instskip(NEXT) | instid1(VALU_DEP_1)
	v_fmac_f32_e32 v5, v6, v3
	v_fma_f32 v4, -v2, v5, v4
	v_ashrrev_i32_e32 v2, 31, v1
	s_delay_alu instid0(VALU_DEP_2) | instskip(NEXT) | instid1(VALU_DEP_2)
	v_div_fmas_f32 v5, v4, v3, v5
	v_lshlrev_b64 v[3:4], 2, v[1:2]
	s_delay_alu instid0(VALU_DEP_2) | instskip(NEXT) | instid1(VALU_DEP_2)
	v_div_fixup_f32 v2, v5, v0, 1.0
	v_add_co_u32 v0, vcc_lo, s12, v3
	s_delay_alu instid0(VALU_DEP_3)
	v_add_co_ci_u32_e32 v1, vcc_lo, s13, v4, vcc_lo
.LBB187_20:                             ; =>This Inner Loop Header: Depth=1
	global_load_b32 v3, v[0:1], off
	s_add_i32 s4, s4, -1
	s_delay_alu instid0(SALU_CYCLE_1)
	s_cmp_lg_u32 s4, 0
	s_waitcnt vmcnt(0)
	v_mul_f32_e32 v3, v2, v3
	global_store_b32 v[0:1], v3, off
	v_add_co_u32 v0, vcc_lo, v0, 4
	v_add_co_ci_u32_e32 v1, vcc_lo, 0, v1, vcc_lo
	s_cbranch_scc1 .LBB187_20
.LBB187_21:
	s_nop 0
	s_sendmsg sendmsg(MSG_DEALLOC_VGPRS)
	s_endpgm
	.section	.rodata,"a",@progbits
	.p2align	6, 0x0
	.amdhsa_kernel _ZN4vllm3moe17topkGatingSoftmaxIDF16_Li16ELi256ELi8ELi32ELb0ELi0ELNS0_23SharedExpertScoringFuncE0EEEvPKT_PKbPfiPiS9_iiiiii
		.amdhsa_group_segment_fixed_size 0
		.amdhsa_private_segment_fixed_size 0
		.amdhsa_kernarg_size 72
		.amdhsa_user_sgpr_count 15
		.amdhsa_user_sgpr_dispatch_ptr 0
		.amdhsa_user_sgpr_queue_ptr 0
		.amdhsa_user_sgpr_kernarg_segment_ptr 1
		.amdhsa_user_sgpr_dispatch_id 0
		.amdhsa_user_sgpr_private_segment_size 0
		.amdhsa_wavefront_size32 1
		.amdhsa_uses_dynamic_stack 0
		.amdhsa_enable_private_segment 0
		.amdhsa_system_sgpr_workgroup_id_x 1
		.amdhsa_system_sgpr_workgroup_id_y 0
		.amdhsa_system_sgpr_workgroup_id_z 0
		.amdhsa_system_sgpr_workgroup_info 0
		.amdhsa_system_vgpr_workitem_id 1
		.amdhsa_next_free_vgpr 53
		.amdhsa_next_free_sgpr 19
		.amdhsa_reserve_vcc 1
		.amdhsa_float_round_mode_32 0
		.amdhsa_float_round_mode_16_64 0
		.amdhsa_float_denorm_mode_32 3
		.amdhsa_float_denorm_mode_16_64 3
		.amdhsa_dx10_clamp 1
		.amdhsa_ieee_mode 1
		.amdhsa_fp16_overflow 0
		.amdhsa_workgroup_processor_mode 1
		.amdhsa_memory_ordered 1
		.amdhsa_forward_progress 0
		.amdhsa_shared_vgpr_count 0
		.amdhsa_exception_fp_ieee_invalid_op 0
		.amdhsa_exception_fp_denorm_src 0
		.amdhsa_exception_fp_ieee_div_zero 0
		.amdhsa_exception_fp_ieee_overflow 0
		.amdhsa_exception_fp_ieee_underflow 0
		.amdhsa_exception_fp_ieee_inexact 0
		.amdhsa_exception_int_div_zero 0
	.end_amdhsa_kernel
	.section	.text._ZN4vllm3moe17topkGatingSoftmaxIDF16_Li16ELi256ELi8ELi32ELb0ELi0ELNS0_23SharedExpertScoringFuncE0EEEvPKT_PKbPfiPiS9_iiiiii,"axG",@progbits,_ZN4vllm3moe17topkGatingSoftmaxIDF16_Li16ELi256ELi8ELi32ELb0ELi0ELNS0_23SharedExpertScoringFuncE0EEEvPKT_PKbPfiPiS9_iiiiii,comdat
.Lfunc_end187:
	.size	_ZN4vllm3moe17topkGatingSoftmaxIDF16_Li16ELi256ELi8ELi32ELb0ELi0ELNS0_23SharedExpertScoringFuncE0EEEvPKT_PKbPfiPiS9_iiiiii, .Lfunc_end187-_ZN4vllm3moe17topkGatingSoftmaxIDF16_Li16ELi256ELi8ELi32ELb0ELi0ELNS0_23SharedExpertScoringFuncE0EEEvPKT_PKbPfiPiS9_iiiiii
                                        ; -- End function
	.section	.AMDGPU.csdata,"",@progbits
; Kernel info:
; codeLenInByte = 5344
; NumSgprs: 21
; NumVgprs: 53
; ScratchSize: 0
; MemoryBound: 0
; FloatMode: 240
; IeeeMode: 1
; LDSByteSize: 0 bytes/workgroup (compile time only)
; SGPRBlocks: 2
; VGPRBlocks: 6
; NumSGPRsForWavesPerEU: 21
; NumVGPRsForWavesPerEU: 53
; Occupancy: 16
; WaveLimiterHint : 0
; COMPUTE_PGM_RSRC2:SCRATCH_EN: 0
; COMPUTE_PGM_RSRC2:USER_SGPR: 15
; COMPUTE_PGM_RSRC2:TRAP_HANDLER: 0
; COMPUTE_PGM_RSRC2:TGID_X_EN: 1
; COMPUTE_PGM_RSRC2:TGID_Y_EN: 0
; COMPUTE_PGM_RSRC2:TGID_Z_EN: 0
; COMPUTE_PGM_RSRC2:TIDIG_COMP_CNT: 1
	.section	.text._ZN4vllm3moe17topkGatingSoftmaxIDF16_Li16ELi256ELi8ELi32ELb1ELi1ELNS0_23SharedExpertScoringFuncE1EEEvPKT_PKbPfiPiS9_iiiiii,"axG",@progbits,_ZN4vllm3moe17topkGatingSoftmaxIDF16_Li16ELi256ELi8ELi32ELb1ELi1ELNS0_23SharedExpertScoringFuncE1EEEvPKT_PKbPfiPiS9_iiiiii,comdat
	.protected	_ZN4vllm3moe17topkGatingSoftmaxIDF16_Li16ELi256ELi8ELi32ELb1ELi1ELNS0_23SharedExpertScoringFuncE1EEEvPKT_PKbPfiPiS9_iiiiii ; -- Begin function _ZN4vllm3moe17topkGatingSoftmaxIDF16_Li16ELi256ELi8ELi32ELb1ELi1ELNS0_23SharedExpertScoringFuncE1EEEvPKT_PKbPfiPiS9_iiiiii
	.globl	_ZN4vllm3moe17topkGatingSoftmaxIDF16_Li16ELi256ELi8ELi32ELb1ELi1ELNS0_23SharedExpertScoringFuncE1EEEvPKT_PKbPfiPiS9_iiiiii
	.p2align	8
	.type	_ZN4vllm3moe17topkGatingSoftmaxIDF16_Li16ELi256ELi8ELi32ELb1ELi1ELNS0_23SharedExpertScoringFuncE1EEEvPKT_PKbPfiPiS9_iiiiii,@function
_ZN4vllm3moe17topkGatingSoftmaxIDF16_Li16ELi256ELi8ELi32ELb1ELi1ELNS0_23SharedExpertScoringFuncE1EEEvPKT_PKbPfiPiS9_iiiiii: ; @_ZN4vllm3moe17topkGatingSoftmaxIDF16_Li16ELi256ELi8ELi32ELb1ELi1ELNS0_23SharedExpertScoringFuncE1EEEvPKT_PKbPfiPiS9_iiiiii
; %bb.0:
	s_load_b32 s16, s[0:1], 0x18
	v_bfe_u32 v1, v0, 10, 10
	v_and_b32_e32 v0, 0x3ff, v0
	s_lshl_b32 s18, s15, 4
	s_mov_b32 s2, exec_lo
	s_delay_alu instid0(VALU_DEP_2) | instskip(NEXT) | instid1(VALU_DEP_2)
	v_lshlrev_b32_e32 v42, 1, v1
	v_lshrrev_b32_e32 v43, 4, v0
	s_delay_alu instid0(VALU_DEP_1) | instskip(SKIP_1) | instid1(VALU_DEP_1)
	v_add3_u32 v10, s18, v42, v43
	s_waitcnt lgkmcnt(0)
	v_cmpx_gt_i32_e64 s16, v10
	s_cbranch_execz .LBB188_22
; %bb.1:
	s_clause 0x1
	s_load_b128 s[4:7], s[0:1], 0x0
	s_load_b64 s[12:13], s[0:1], 0x10
	s_waitcnt lgkmcnt(0)
	s_cmp_eq_u64 s[6:7], 0
	s_cbranch_scc1 .LBB188_3
; %bb.2:
	v_ashrrev_i32_e32 v2, 31, v10
	v_add_co_u32 v1, vcc_lo, s6, v10
	s_delay_alu instid0(VALU_DEP_2) | instskip(SKIP_3) | instid1(VALU_DEP_1)
	v_add_co_ci_u32_e32 v2, vcc_lo, s7, v2, vcc_lo
	global_load_u8 v1, v[1:2], off
	s_waitcnt vmcnt(0)
	v_and_b32_e32 v1, 1, v1
	v_cmp_eq_u32_e32 vcc_lo, 1, v1
	s_xor_b32 s2, vcc_lo, -1
	s_delay_alu instid0(SALU_CYCLE_1)
	s_or_not1_b32 s17, s2, exec_lo
	s_branch .LBB188_4
.LBB188_3:
	s_mov_b32 s17, -1
.LBB188_4:
	s_clause 0x1
	s_load_b64 s[14:15], s[0:1], 0x40
	s_load_b128 s[8:11], s[0:1], 0x30
	v_and_b32_e32 v11, 15, v0
	s_delay_alu instid0(VALU_DEP_1) | instskip(SKIP_3) | instid1(VALU_DEP_1)
	v_dual_mov_b32 v13, 0 :: v_dual_lshlrev_b32 v12, 4, v11
	v_cmp_eq_u32_e64 s2, 0, v11
	s_waitcnt lgkmcnt(0)
	v_mul_lo_u32 v1, v10, s15
	v_ashrrev_i32_e32 v2, 31, v1
	s_delay_alu instid0(VALU_DEP_1) | instskip(SKIP_1) | instid1(VALU_DEP_2)
	v_lshlrev_b64 v[0:1], 1, v[1:2]
	v_lshlrev_b32_e32 v2, 5, v11
	v_add_co_u32 v8, vcc_lo, s4, v0
	s_delay_alu instid0(VALU_DEP_3) | instskip(NEXT) | instid1(VALU_DEP_2)
	v_add_co_ci_u32_e32 v9, vcc_lo, s5, v1, vcc_lo
	v_add_co_u32 v4, vcc_lo, v8, v2
	s_delay_alu instid0(VALU_DEP_2)
	v_add_co_ci_u32_e32 v5, vcc_lo, 0, v9, vcc_lo
	s_clause 0x1
	global_load_b128 v[0:3], v[4:5], off offset:16
	global_load_b128 v[4:7], v[4:5], off
	s_and_saveexec_b32 s3, s2
	s_cbranch_execz .LBB188_6
; %bb.5:
	global_load_u16 v8, v[8:9], off offset:512
	s_mov_b32 s4, 0x3fb8aa3b
	s_waitcnt vmcnt(0)
	v_cvt_f32_f16_e64 v9, -v8
	s_delay_alu instid0(VALU_DEP_1) | instskip(SKIP_1) | instid1(VALU_DEP_2)
	v_mul_f32_e32 v14, 0x3fb8aa3b, v9
	v_cmp_ngt_f32_e32 vcc_lo, 0xc2ce8ed0, v9
	v_rndne_f32_e32 v15, v14
	v_fma_mix_f32 v16, -v8, s4, -v14 op_sel_hi:[1,0,0]
	s_mov_b32 s4, 0x32a5705f
	s_delay_alu instid0(VALU_DEP_2) | instskip(NEXT) | instid1(VALU_DEP_2)
	v_sub_f32_e32 v14, v14, v15
	v_fma_mix_f32 v8, -v8, s4, v16 op_sel_hi:[1,0,0]
	s_delay_alu instid0(VALU_DEP_1) | instskip(SKIP_1) | instid1(VALU_DEP_2)
	v_add_f32_e32 v8, v14, v8
	v_cvt_i32_f32_e32 v14, v15
	v_exp_f32_e32 v8, v8
	s_waitcnt_depctr 0xfff
	v_ldexp_f32 v8, v8, v14
	s_delay_alu instid0(VALU_DEP_1) | instskip(SKIP_1) | instid1(VALU_DEP_2)
	v_cndmask_b32_e32 v8, 0, v8, vcc_lo
	v_cmp_nlt_f32_e32 vcc_lo, 0x42b17218, v9
	v_cndmask_b32_e32 v8, 0x7f800000, v8, vcc_lo
	s_delay_alu instid0(VALU_DEP_1) | instskip(NEXT) | instid1(VALU_DEP_1)
	v_add_f32_e32 v14, 1.0, v8
	v_div_scale_f32 v15, null, v14, v14, 1.0
	v_div_scale_f32 v17, vcc_lo, 1.0, v14, 1.0
	s_delay_alu instid0(VALU_DEP_2) | instskip(SKIP_2) | instid1(VALU_DEP_1)
	v_rcp_f32_e32 v16, v15
	s_waitcnt_depctr 0xfff
	v_fma_f32 v8, -v15, v16, 1.0
	v_fmac_f32_e32 v16, v8, v16
	v_mad_u64_u32 v[8:9], null, v10, s11, s[8:9]
	s_delay_alu instid0(VALU_DEP_2) | instskip(NEXT) | instid1(VALU_DEP_2)
	v_mul_f32_e32 v18, v17, v16
	v_ashrrev_i32_e32 v9, 31, v8
	s_delay_alu instid0(VALU_DEP_2) | instskip(NEXT) | instid1(VALU_DEP_2)
	v_fma_f32 v19, -v15, v18, v17
	v_lshlrev_b64 v[8:9], 2, v[8:9]
	s_delay_alu instid0(VALU_DEP_2) | instskip(NEXT) | instid1(VALU_DEP_1)
	v_fmac_f32_e32 v18, v19, v16
	v_fma_f32 v15, -v15, v18, v17
	s_delay_alu instid0(VALU_DEP_1) | instskip(NEXT) | instid1(VALU_DEP_4)
	v_div_fmas_f32 v15, v15, v16, v18
	v_add_co_u32 v8, vcc_lo, s12, v8
	v_add_co_ci_u32_e32 v9, vcc_lo, s13, v9, vcc_lo
	s_delay_alu instid0(VALU_DEP_3)
	v_div_fixup_f32 v14, v15, v14, 1.0
	global_store_b32 v[8:9], v14, off
.LBB188_6:
	s_or_b32 exec_lo, exec_lo, s3
	s_waitcnt vmcnt(0)
	v_lshrrev_b32_e32 v15, 16, v4
	v_cvt_f32_f16_e32 v8, v4
	v_or_b32_e32 v9, 1, v12
	v_or_b32_e32 v16, 2, v12
	v_cvt_f32_f16_e32 v19, v6
	v_cvt_f32_f16_e32 v14, v15
	v_cmp_lt_f16_e32 vcc_lo, v4, v15
	v_cvt_f32_f16_e32 v15, v5
	v_lshrrev_b32_e32 v5, 16, v5
	v_lshrrev_b32_e32 v6, 16, v6
	v_or_b32_e32 v20, 4, v12
	v_cvt_f32_f16_e32 v23, v7
	v_or_b32_e32 v22, 5, v12
	v_cvt_f32_f16_e32 v17, v5
	v_cndmask_b32_e32 v18, v8, v14, vcc_lo
	v_cndmask_b32_e32 v4, v12, v9, vcc_lo
	v_cvt_f32_f16_e32 v21, v6
	v_lshrrev_b32_e32 v6, 16, v7
	v_or_b32_e32 v7, 6, v12
	v_cmp_lt_f32_e32 vcc_lo, v18, v15
	v_cvt_f32_f16_e32 v30, v1
	v_lshrrev_b32_e32 v1, 16, v1
	v_cvt_f32_f16_e32 v24, v6
	v_or_b32_e32 v25, 7, v12
	v_dual_cndmask_b32 v5, v18, v15 :: v_dual_cndmask_b32 v4, v4, v16
	v_or_b32_e32 v18, 3, v12
	v_cvt_f32_f16_e32 v32, v1
	v_cvt_f32_f16_e32 v26, v0
	s_delay_alu instid0(VALU_DEP_4)
	v_cmp_lt_f32_e32 vcc_lo, v5, v17
	v_lshrrev_b32_e32 v0, 16, v0
	v_or_b32_e32 v27, 8, v12
	v_cvt_f32_f16_e32 v34, v2
	v_lshrrev_b32_e32 v2, 16, v2
	v_dual_cndmask_b32 v5, v5, v17 :: v_dual_cndmask_b32 v4, v4, v18
	v_cvt_f32_f16_e32 v28, v0
	v_or_b32_e32 v29, 9, v12
	s_delay_alu instid0(VALU_DEP_4) | instskip(NEXT) | instid1(VALU_DEP_4)
	v_cvt_f32_f16_e32 v36, v2
	v_cmp_lt_f32_e32 vcc_lo, v5, v19
	v_cvt_f32_f16_e32 v38, v3
	v_or_b32_e32 v31, 10, v12
	v_lshrrev_b32_e32 v2, 16, v3
	v_or_b32_e32 v33, 11, v12
	v_dual_cndmask_b32 v5, v5, v19 :: v_dual_cndmask_b32 v4, v4, v20
	v_or_b32_e32 v35, 12, v12
	s_delay_alu instid0(VALU_DEP_4) | instskip(SKIP_1) | instid1(VALU_DEP_4)
	v_cvt_f32_f16_e32 v40, v2
	v_or_b32_e32 v37, 13, v12
	v_cmp_lt_f32_e32 vcc_lo, v5, v21
	v_or_b32_e32 v39, 14, v12
	v_or_b32_e32 v41, 15, v12
	v_dual_cndmask_b32 v5, v5, v21 :: v_dual_cndmask_b32 v4, v4, v22
	s_delay_alu instid0(VALU_DEP_1) | instskip(SKIP_1) | instid1(VALU_DEP_3)
	v_cmp_lt_f32_e32 vcc_lo, v5, v23
	v_cndmask_b32_e32 v5, v5, v23, vcc_lo
	v_cndmask_b32_e32 v4, v4, v7, vcc_lo
	s_delay_alu instid0(VALU_DEP_2) | instskip(NEXT) | instid1(VALU_DEP_2)
	v_cmp_lt_f32_e32 vcc_lo, v5, v24
	v_dual_cndmask_b32 v5, v5, v24 :: v_dual_cndmask_b32 v4, v4, v25
	s_delay_alu instid0(VALU_DEP_1) | instskip(NEXT) | instid1(VALU_DEP_2)
	v_cmp_lt_f32_e32 vcc_lo, v5, v26
	v_cndmask_b32_e32 v0, v4, v27, vcc_lo
	v_cndmask_b32_e32 v4, v5, v26, vcc_lo
	s_delay_alu instid0(VALU_DEP_1) | instskip(SKIP_1) | instid1(VALU_DEP_4)
	v_cmp_lt_f32_e32 vcc_lo, v4, v28
	v_cndmask_b32_e32 v4, v4, v28, vcc_lo
	v_cndmask_b32_e32 v0, v0, v29, vcc_lo
	s_delay_alu instid0(VALU_DEP_2) | instskip(SKIP_1) | instid1(VALU_DEP_3)
	v_cmp_lt_f32_e32 vcc_lo, v4, v30
	v_cndmask_b32_e32 v1, v4, v30, vcc_lo
	v_cndmask_b32_e32 v0, v0, v31, vcc_lo
	s_delay_alu instid0(VALU_DEP_2) | instskip(NEXT) | instid1(VALU_DEP_2)
	v_cmp_lt_f32_e32 vcc_lo, v1, v32
	v_dual_cndmask_b32 v1, v1, v32 :: v_dual_cndmask_b32 v0, v0, v33
	s_delay_alu instid0(VALU_DEP_1) | instskip(NEXT) | instid1(VALU_DEP_2)
	v_cmp_lt_f32_e32 vcc_lo, v1, v34
	v_dual_cndmask_b32 v1, v1, v34 :: v_dual_cndmask_b32 v0, v0, v35
	s_delay_alu instid0(VALU_DEP_1) | instskip(NEXT) | instid1(VALU_DEP_2)
	;; [unrolled: 3-line block ×5, first 2 shown]
	v_mov_b32_dpp v2, v0 quad_perm:[1,0,3,2] row_mask:0xf bank_mask:0xf
	v_mov_b32_dpp v3, v1 quad_perm:[1,0,3,2] row_mask:0xf bank_mask:0xf
	s_delay_alu instid0(VALU_DEP_2) | instskip(NEXT) | instid1(VALU_DEP_2)
	v_cmp_lt_i32_e32 vcc_lo, v2, v0
	v_cmp_eq_f32_e64 s3, v1, v3
	v_cmp_lt_f32_e64 s4, v1, v3
	s_delay_alu instid0(VALU_DEP_2)
	s_and_b32 s3, s3, vcc_lo
	s_delay_alu instid0(VALU_DEP_1) | instid1(SALU_CYCLE_1)
	s_or_b32 vcc_lo, s4, s3
	v_dual_cndmask_b32 v1, v1, v3 :: v_dual_cndmask_b32 v0, v0, v2
	s_delay_alu instid0(VALU_DEP_1) | instskip(NEXT) | instid1(VALU_DEP_2)
	v_mov_b32_dpp v2, v1 quad_perm:[2,3,0,1] row_mask:0xf bank_mask:0xf
	v_mov_b32_dpp v3, v0 quad_perm:[2,3,0,1] row_mask:0xf bank_mask:0xf
	s_delay_alu instid0(VALU_DEP_2) | instskip(NEXT) | instid1(VALU_DEP_2)
	v_cmp_eq_f32_e32 vcc_lo, v1, v2
	v_cmp_lt_i32_e64 s3, v3, v0
	v_cmp_lt_f32_e64 s4, v1, v2
	s_delay_alu instid0(VALU_DEP_2)
	s_and_b32 s3, vcc_lo, s3
	s_delay_alu instid0(VALU_DEP_1) | instid1(SALU_CYCLE_1)
	s_or_b32 vcc_lo, s4, s3
	v_dual_cndmask_b32 v1, v1, v2 :: v_dual_cndmask_b32 v0, v0, v3
	s_delay_alu instid0(VALU_DEP_1) | instskip(NEXT) | instid1(VALU_DEP_2)
	v_mov_b32_dpp v2, v1 row_half_mirror row_mask:0xf bank_mask:0xf
	v_mov_b32_dpp v3, v0 row_half_mirror row_mask:0xf bank_mask:0xf
	s_delay_alu instid0(VALU_DEP_2) | instskip(NEXT) | instid1(VALU_DEP_2)
	v_cmp_eq_f32_e32 vcc_lo, v1, v2
	v_cmp_lt_i32_e64 s3, v3, v0
	v_cmp_lt_f32_e64 s4, v1, v2
	s_delay_alu instid0(VALU_DEP_2)
	s_and_b32 s3, vcc_lo, s3
	s_delay_alu instid0(VALU_DEP_1) | instid1(SALU_CYCLE_1)
	s_or_b32 vcc_lo, s4, s3
	s_cmp_gt_i32 s8, 0
	v_cndmask_b32_e32 v2, v1, v2, vcc_lo
	v_cndmask_b32_e32 v0, v0, v3, vcc_lo
	s_cselect_b32 s3, -1, 0
	s_delay_alu instid0(SALU_CYCLE_1) | instskip(NEXT) | instid1(VALU_DEP_2)
	s_and_b32 vcc_lo, exec_lo, s3
	v_mov_b32_dpp v4, v2 row_mirror row_mask:0xf bank_mask:0xf
	s_delay_alu instid0(VALU_DEP_2)
	v_mov_b32_dpp v6, v0 row_mirror row_mask:0xf bank_mask:0xf
	s_cbranch_vccz .LBB188_18
; %bb.7:
	s_load_b128 s[4:7], s[0:1], 0x20
	s_delay_alu instid0(VALU_DEP_2) | instskip(NEXT) | instid1(VALU_DEP_2)
	v_cmp_eq_f32_e32 vcc_lo, v2, v4
	v_cmp_lt_i32_e64 s0, v6, v0
	v_cmp_lt_f32_e64 s1, v2, v4
	v_mul_lo_u32 v1, v10, s11
	v_mul_lo_u32 v3, v10, s14
	;; [unrolled: 1-line block ×3, first 2 shown]
	s_and_b32 s0, vcc_lo, s0
	v_mov_b32_e32 v13, 0
	s_or_b32 vcc_lo, s1, s0
	v_cndmask_b32_e32 v0, v0, v6, vcc_lo
	v_cndmask_b32_e32 v44, v2, v4, vcc_lo
	s_and_saveexec_b32 s1, s2
	s_cbranch_execz .LBB188_9
; %bb.8:
	s_delay_alu instid0(VALU_DEP_1)
	v_sub_f32_e32 v13, v44, v44
	v_cmp_le_i32_e32 vcc_lo, s9, v0
	v_cmp_gt_i32_e64 s0, s10, v0
	v_subrev_nc_u32_e32 v51, s9, v0
	v_ashrrev_i32_e32 v6, 31, v5
	v_mul_f32_e32 v2, 0x3fb8aa3b, v13
	s_delay_alu instid0(VALU_DEP_4) | instskip(NEXT) | instid1(SALU_CYCLE_1)
	s_and_b32 s0, vcc_lo, s0
	s_and_b32 vcc_lo, s17, s0
	s_delay_alu instid0(VALU_DEP_1) | instskip(SKIP_2) | instid1(VALU_DEP_3)
	v_rndne_f32_e32 v47, v2
	v_fma_f32 v4, 0x3fb8aa3b, v13, -v2
	v_lshlrev_b64 v[49:50], 2, v[5:6]
	v_sub_f32_e32 v2, v2, v47
	s_delay_alu instid0(VALU_DEP_3) | instskip(NEXT) | instid1(VALU_DEP_1)
	v_fmamk_f32 v4, v13, 0x32a5705f, v4
	v_add_f32_e32 v4, v2, v4
	v_ashrrev_i32_e32 v2, 31, v1
	s_delay_alu instid0(VALU_DEP_2) | instskip(NEXT) | instid1(VALU_DEP_1)
	v_exp_f32_e32 v52, v4
	v_lshlrev_b64 v[45:46], 2, v[1:2]
	v_ashrrev_i32_e32 v4, 31, v3
	v_cvt_i32_f32_e32 v2, v47
	s_delay_alu instid0(VALU_DEP_2) | instskip(SKIP_3) | instid1(TRANS32_DEP_1)
	v_lshlrev_b64 v[47:48], 2, v[3:4]
	v_cndmask_b32_e32 v4, 0x100, v51, vcc_lo
	v_add_co_u32 v45, vcc_lo, s12, v45
	v_add_co_ci_u32_e32 v46, vcc_lo, s13, v46, vcc_lo
	v_ldexp_f32 v2, v52, v2
	v_cmp_ngt_f32_e32 vcc_lo, 0xc2ce8ed0, v13
	s_delay_alu instid0(VALU_DEP_2)
	v_cndmask_b32_e32 v2, 0, v2, vcc_lo
	s_waitcnt lgkmcnt(0)
	v_add_co_u32 v47, vcc_lo, s4, v47
	v_add_co_ci_u32_e32 v48, vcc_lo, s5, v48, vcc_lo
	v_cmp_nlt_f32_e32 vcc_lo, 0x42b17218, v13
	v_cndmask_b32_e32 v13, 0x7f800000, v2, vcc_lo
	v_add_co_u32 v49, vcc_lo, s6, v49
	v_add_co_ci_u32_e32 v50, vcc_lo, s7, v50, vcc_lo
	global_store_b32 v[47:48], v4, off
	global_store_b32 v[45:46], v13, off
	;; [unrolled: 1-line block ×3, first 2 shown]
.LBB188_9:
	s_or_b32 exec_lo, exec_lo, s1
	v_ashrrev_i32_e32 v4, 31, v0
	s_mov_b32 s0, exec_lo
	s_delay_alu instid0(VALU_DEP_1) | instskip(NEXT) | instid1(VALU_DEP_1)
	v_lshrrev_b32_e32 v2, 28, v4
	v_add_nc_u32_e32 v2, v0, v2
	s_delay_alu instid0(VALU_DEP_1) | instskip(NEXT) | instid1(VALU_DEP_1)
	v_ashrrev_i32_e32 v2, 4, v2
	v_lshrrev_b32_e32 v6, 28, v2
	s_delay_alu instid0(VALU_DEP_1) | instskip(NEXT) | instid1(VALU_DEP_1)
	v_add_nc_u32_e32 v6, v2, v6
	v_and_b32_e32 v6, -16, v6
	s_delay_alu instid0(VALU_DEP_1) | instskip(NEXT) | instid1(VALU_DEP_1)
	v_sub_nc_u32_e32 v6, v2, v6
	v_cmpx_eq_u32_e64 v11, v6
	s_cbranch_execz .LBB188_11
; %bb.10:
	v_lshrrev_b32_e32 v4, 24, v4
	v_lshlrev_b32_e32 v2, 4, v2
	s_delay_alu instid0(VALU_DEP_2) | instskip(NEXT) | instid1(VALU_DEP_2)
	v_add_nc_u32_e32 v4, v0, v4
	v_sub_nc_u32_e32 v0, v0, v2
	s_delay_alu instid0(VALU_DEP_2) | instskip(NEXT) | instid1(VALU_DEP_1)
	v_ashrrev_i32_e32 v2, 8, v4
	v_lshl_add_u32 v0, v2, 4, v0
	s_delay_alu instid0(VALU_DEP_1)
	v_cmp_ne_u32_e32 vcc_lo, 15, v0
	v_cndmask_b32_e32 v40, 0xff800000, v40, vcc_lo
	v_cmp_ne_u32_e32 vcc_lo, 14, v0
	v_cndmask_b32_e32 v38, 0xff800000, v38, vcc_lo
	;; [unrolled: 2-line block ×16, first 2 shown]
.LBB188_11:
	s_or_b32 exec_lo, exec_lo, s0
	s_cmp_eq_u32 s8, 1
	s_cbranch_scc1 .LBB188_18
; %bb.12:
	s_add_i32 s18, s18, s16
	v_add_nc_u32_e32 v0, 1, v5
	v_add3_u32 v6, s18, v43, v42
	v_add_nc_u32_e32 v2, 1, v3
	v_add_nc_u32_e32 v4, 1, v1
	s_add_i32 s14, s8, -1
	s_branch .LBB188_14
.LBB188_13:                             ;   in Loop: Header=BB188_14 Depth=1
	s_or_b32 exec_lo, exec_lo, s0
	v_add_nc_u32_e32 v6, s16, v6
	v_add_nc_u32_e32 v0, 1, v0
	;; [unrolled: 1-line block ×4, first 2 shown]
	s_add_i32 s14, s14, -1
	s_delay_alu instid0(SALU_CYCLE_1)
	s_cmp_eq_u32 s14, 0
	s_cbranch_scc1 .LBB188_18
.LBB188_14:                             ; =>This Inner Loop Header: Depth=1
	v_cmp_gt_f32_e32 vcc_lo, v14, v8
	v_cndmask_b32_e32 v3, v8, v14, vcc_lo
	v_cndmask_b32_e32 v1, v12, v9, vcc_lo
	s_delay_alu instid0(VALU_DEP_2) | instskip(SKIP_1) | instid1(VALU_DEP_3)
	v_cmp_gt_f32_e32 vcc_lo, v15, v3
	v_cndmask_b32_e32 v3, v3, v15, vcc_lo
	v_cndmask_b32_e32 v1, v1, v16, vcc_lo
	s_delay_alu instid0(VALU_DEP_2) | instskip(SKIP_1) | instid1(VALU_DEP_3)
	;; [unrolled: 4-line block ×13, first 2 shown]
	v_cmp_gt_f32_e32 vcc_lo, v38, v3
	v_cndmask_b32_e32 v3, v3, v38, vcc_lo
	v_cndmask_b32_e32 v1, v1, v39, vcc_lo
	s_delay_alu instid0(VALU_DEP_2) | instskip(NEXT) | instid1(VALU_DEP_2)
	v_cmp_gt_f32_e32 vcc_lo, v40, v3
	v_cndmask_b32_e32 v1, v1, v41, vcc_lo
	v_cndmask_b32_e32 v3, v3, v40, vcc_lo
	s_delay_alu instid0(VALU_DEP_2) | instskip(NEXT) | instid1(VALU_DEP_2)
	v_mov_b32_dpp v5, v1 quad_perm:[1,0,3,2] row_mask:0xf bank_mask:0xf
	v_mov_b32_dpp v42, v3 quad_perm:[1,0,3,2] row_mask:0xf bank_mask:0xf
	s_delay_alu instid0(VALU_DEP_2) | instskip(NEXT) | instid1(VALU_DEP_2)
	v_cmp_lt_i32_e32 vcc_lo, v5, v1
	v_cmp_eq_f32_e64 s0, v3, v42
	v_cmp_lt_f32_e64 s1, v3, v42
	s_delay_alu instid0(VALU_DEP_2)
	s_and_b32 s0, s0, vcc_lo
	s_delay_alu instid0(VALU_DEP_1) | instid1(SALU_CYCLE_1)
	s_or_b32 vcc_lo, s1, s0
	v_cndmask_b32_e32 v3, v3, v42, vcc_lo
	v_cndmask_b32_e32 v1, v1, v5, vcc_lo
	s_delay_alu instid0(VALU_DEP_2) | instskip(NEXT) | instid1(VALU_DEP_2)
	v_mov_b32_dpp v5, v3 quad_perm:[2,3,0,1] row_mask:0xf bank_mask:0xf
	v_mov_b32_dpp v42, v1 quad_perm:[2,3,0,1] row_mask:0xf bank_mask:0xf
	s_delay_alu instid0(VALU_DEP_2) | instskip(NEXT) | instid1(VALU_DEP_2)
	v_cmp_eq_f32_e32 vcc_lo, v3, v5
	v_cmp_lt_i32_e64 s0, v42, v1
	v_cmp_lt_f32_e64 s1, v3, v5
	s_delay_alu instid0(VALU_DEP_2)
	s_and_b32 s0, vcc_lo, s0
	s_delay_alu instid0(VALU_DEP_1) | instid1(SALU_CYCLE_1)
	s_or_b32 vcc_lo, s1, s0
	v_cndmask_b32_e32 v3, v3, v5, vcc_lo
	v_cndmask_b32_e32 v5, v1, v42, vcc_lo
	s_delay_alu instid0(VALU_DEP_2) | instskip(NEXT) | instid1(VALU_DEP_2)
	v_mov_b32_dpp v1, v3 row_half_mirror row_mask:0xf bank_mask:0xf
	v_mov_b32_dpp v42, v5 row_half_mirror row_mask:0xf bank_mask:0xf
	s_delay_alu instid0(VALU_DEP_2) | instskip(NEXT) | instid1(VALU_DEP_2)
	v_cmp_eq_f32_e32 vcc_lo, v3, v1
	v_cmp_lt_i32_e64 s0, v42, v5
	v_cmp_lt_f32_e64 s1, v3, v1
	s_delay_alu instid0(VALU_DEP_2)
	s_and_b32 s0, vcc_lo, s0
	s_delay_alu instid0(VALU_DEP_1) | instid1(SALU_CYCLE_1)
	s_or_b32 vcc_lo, s1, s0
	v_cndmask_b32_e32 v1, v3, v1, vcc_lo
	v_cndmask_b32_e32 v5, v5, v42, vcc_lo
	s_delay_alu instid0(VALU_DEP_2) | instskip(NEXT) | instid1(VALU_DEP_2)
	v_mov_b32_dpp v3, v1 row_mirror row_mask:0xf bank_mask:0xf
	v_mov_b32_dpp v42, v5 row_mirror row_mask:0xf bank_mask:0xf
	s_delay_alu instid0(VALU_DEP_2) | instskip(NEXT) | instid1(VALU_DEP_2)
	v_cmp_eq_f32_e32 vcc_lo, v1, v3
	v_cmp_lt_i32_e64 s0, v42, v5
	v_cmp_lt_f32_e64 s1, v1, v3
	s_delay_alu instid0(VALU_DEP_2)
	s_and_b32 s0, vcc_lo, s0
	s_delay_alu instid0(VALU_DEP_1) | instid1(SALU_CYCLE_1)
	s_or_b32 vcc_lo, s1, s0
	v_cndmask_b32_e32 v42, v5, v42, vcc_lo
	s_and_saveexec_b32 s1, s2
	s_cbranch_execz .LBB188_16
; %bb.15:                               ;   in Loop: Header=BB188_14 Depth=1
	v_cndmask_b32_e32 v1, v1, v3, vcc_lo
	s_delay_alu instid0(VALU_DEP_2) | instskip(SKIP_4) | instid1(VALU_DEP_4)
	v_cmp_le_i32_e32 vcc_lo, s9, v42
	v_cmp_gt_i32_e64 s0, s10, v42
	v_ashrrev_i32_e32 v5, 31, v4
	v_subrev_nc_u32_e32 v51, s9, v42
	v_sub_f32_e32 v43, v1, v44
	s_and_b32 s0, vcc_lo, s0
	s_delay_alu instid0(SALU_CYCLE_1) | instskip(NEXT) | instid1(VALU_DEP_1)
	s_and_b32 vcc_lo, s17, s0
	v_mul_f32_e32 v1, 0x3fb8aa3b, v43
	s_delay_alu instid0(VALU_DEP_1) | instskip(SKIP_1) | instid1(VALU_DEP_2)
	v_fma_f32 v3, 0x3fb8aa3b, v43, -v1
	v_rndne_f32_e32 v45, v1
	v_fmac_f32_e32 v3, 0x32a5705f, v43
	s_delay_alu instid0(VALU_DEP_2) | instskip(SKIP_2) | instid1(VALU_DEP_3)
	v_sub_f32_e32 v1, v1, v45
	v_cvt_i32_f32_e32 v50, v45
	v_lshlrev_b64 v[45:46], 2, v[4:5]
	v_add_f32_e32 v1, v1, v3
	v_ashrrev_i32_e32 v3, 31, v2
	s_delay_alu instid0(VALU_DEP_2) | instskip(SKIP_1) | instid1(VALU_DEP_2)
	v_exp_f32_e32 v49, v1
	v_ashrrev_i32_e32 v1, 31, v0
	v_lshlrev_b64 v[47:48], 2, v[2:3]
	s_waitcnt_depctr 0xfff
	v_ldexp_f32 v3, v49, v50
	v_lshlrev_b64 v[49:50], 2, v[0:1]
	v_cndmask_b32_e32 v1, 0x100, v51, vcc_lo
	v_cmp_ngt_f32_e32 vcc_lo, 0xc2ce8ed0, v43
	s_delay_alu instid0(VALU_DEP_4) | instskip(SKIP_3) | instid1(VALU_DEP_4)
	v_cndmask_b32_e32 v3, 0, v3, vcc_lo
	v_add_co_u32 v45, vcc_lo, s12, v45
	v_add_co_ci_u32_e32 v46, vcc_lo, s13, v46, vcc_lo
	v_cmp_nlt_f32_e32 vcc_lo, 0x42b17218, v43
	v_cndmask_b32_e32 v3, 0x7f800000, v3, vcc_lo
	s_waitcnt lgkmcnt(0)
	v_add_co_u32 v47, vcc_lo, s4, v47
	v_add_co_ci_u32_e32 v48, vcc_lo, s5, v48, vcc_lo
	v_add_co_u32 v49, vcc_lo, s6, v49
	v_add_f32_e32 v13, v13, v3
	v_add_co_ci_u32_e32 v50, vcc_lo, s7, v50, vcc_lo
	global_store_b32 v[45:46], v3, off
	global_store_b32 v[47:48], v1, off
	;; [unrolled: 1-line block ×3, first 2 shown]
.LBB188_16:                             ;   in Loop: Header=BB188_14 Depth=1
	s_or_b32 exec_lo, exec_lo, s1
	s_delay_alu instid0(VALU_DEP_1) | instskip(SKIP_1) | instid1(VALU_DEP_1)
	v_ashrrev_i32_e32 v3, 31, v42
	s_mov_b32 s0, exec_lo
	v_lshrrev_b32_e32 v1, 28, v3
	s_delay_alu instid0(VALU_DEP_1) | instskip(NEXT) | instid1(VALU_DEP_1)
	v_add_nc_u32_e32 v1, v42, v1
	v_ashrrev_i32_e32 v1, 4, v1
	s_delay_alu instid0(VALU_DEP_1) | instskip(NEXT) | instid1(VALU_DEP_1)
	v_lshrrev_b32_e32 v5, 28, v1
	v_add_nc_u32_e32 v5, v1, v5
	s_delay_alu instid0(VALU_DEP_1) | instskip(NEXT) | instid1(VALU_DEP_1)
	v_and_b32_e32 v5, -16, v5
	v_sub_nc_u32_e32 v5, v1, v5
	s_delay_alu instid0(VALU_DEP_1)
	v_cmpx_eq_u32_e64 v11, v5
	s_cbranch_execz .LBB188_13
; %bb.17:                               ;   in Loop: Header=BB188_14 Depth=1
	v_lshrrev_b32_e32 v3, 24, v3
	v_lshlrev_b32_e32 v1, 4, v1
	s_delay_alu instid0(VALU_DEP_2) | instskip(NEXT) | instid1(VALU_DEP_2)
	v_add_nc_u32_e32 v3, v42, v3
	v_sub_nc_u32_e32 v1, v42, v1
	s_delay_alu instid0(VALU_DEP_2) | instskip(NEXT) | instid1(VALU_DEP_1)
	v_ashrrev_i32_e32 v3, 8, v3
	v_lshl_add_u32 v1, v3, 4, v1
	s_delay_alu instid0(VALU_DEP_1)
	v_cmp_ne_u32_e32 vcc_lo, 15, v1
	v_cndmask_b32_e32 v40, 0xff800000, v40, vcc_lo
	v_cmp_ne_u32_e32 vcc_lo, 14, v1
	v_cndmask_b32_e32 v38, 0xff800000, v38, vcc_lo
	;; [unrolled: 2-line block ×16, first 2 shown]
	s_branch .LBB188_13
.LBB188_18:
	v_cmp_neq_f32_e32 vcc_lo, 0, v13
	s_and_b32 s0, s2, vcc_lo
	s_delay_alu instid0(SALU_CYCLE_1)
	s_and_b32 exec_lo, exec_lo, s0
	s_cbranch_execz .LBB188_22
; %bb.19:
	s_and_not1_b32 vcc_lo, exec_lo, s3
	s_cbranch_vccnz .LBB188_22
; %bb.20:
	v_div_scale_f32 v1, null, v13, v13, 1.0
	v_div_scale_f32 v3, vcc_lo, 1.0, v13, 1.0
	s_delay_alu instid0(VALU_DEP_2) | instskip(SKIP_2) | instid1(VALU_DEP_1)
	v_rcp_f32_e32 v2, v1
	s_waitcnt_depctr 0xfff
	v_fma_f32 v0, -v1, v2, 1.0
	v_fmac_f32_e32 v2, v0, v2
	v_mul_lo_u32 v0, v10, s11
	s_delay_alu instid0(VALU_DEP_2) | instskip(NEXT) | instid1(VALU_DEP_1)
	v_mul_f32_e32 v4, v3, v2
	v_fma_f32 v5, -v1, v4, v3
	s_delay_alu instid0(VALU_DEP_1) | instskip(NEXT) | instid1(VALU_DEP_1)
	v_fmac_f32_e32 v4, v5, v2
	v_fma_f32 v3, -v1, v4, v3
	v_ashrrev_i32_e32 v1, 31, v0
	s_delay_alu instid0(VALU_DEP_2) | instskip(NEXT) | instid1(VALU_DEP_2)
	v_div_fmas_f32 v2, v3, v2, v4
	v_lshlrev_b64 v[0:1], 2, v[0:1]
	s_delay_alu instid0(VALU_DEP_2) | instskip(NEXT) | instid1(VALU_DEP_2)
	v_div_fixup_f32 v2, v2, v13, 1.0
	v_add_co_u32 v0, vcc_lo, s12, v0
	s_delay_alu instid0(VALU_DEP_3)
	v_add_co_ci_u32_e32 v1, vcc_lo, s13, v1, vcc_lo
.LBB188_21:                             ; =>This Inner Loop Header: Depth=1
	global_load_b32 v3, v[0:1], off
	s_add_i32 s8, s8, -1
	s_delay_alu instid0(SALU_CYCLE_1)
	s_cmp_lg_u32 s8, 0
	s_waitcnt vmcnt(0)
	v_mul_f32_e32 v3, v2, v3
	global_store_b32 v[0:1], v3, off
	v_add_co_u32 v0, vcc_lo, v0, 4
	v_add_co_ci_u32_e32 v1, vcc_lo, 0, v1, vcc_lo
	s_cbranch_scc1 .LBB188_21
.LBB188_22:
	s_nop 0
	s_sendmsg sendmsg(MSG_DEALLOC_VGPRS)
	s_endpgm
	.section	.rodata,"a",@progbits
	.p2align	6, 0x0
	.amdhsa_kernel _ZN4vllm3moe17topkGatingSoftmaxIDF16_Li16ELi256ELi8ELi32ELb1ELi1ELNS0_23SharedExpertScoringFuncE1EEEvPKT_PKbPfiPiS9_iiiiii
		.amdhsa_group_segment_fixed_size 0
		.amdhsa_private_segment_fixed_size 0
		.amdhsa_kernarg_size 72
		.amdhsa_user_sgpr_count 15
		.amdhsa_user_sgpr_dispatch_ptr 0
		.amdhsa_user_sgpr_queue_ptr 0
		.amdhsa_user_sgpr_kernarg_segment_ptr 1
		.amdhsa_user_sgpr_dispatch_id 0
		.amdhsa_user_sgpr_private_segment_size 0
		.amdhsa_wavefront_size32 1
		.amdhsa_uses_dynamic_stack 0
		.amdhsa_enable_private_segment 0
		.amdhsa_system_sgpr_workgroup_id_x 1
		.amdhsa_system_sgpr_workgroup_id_y 0
		.amdhsa_system_sgpr_workgroup_id_z 0
		.amdhsa_system_sgpr_workgroup_info 0
		.amdhsa_system_vgpr_workitem_id 1
		.amdhsa_next_free_vgpr 53
		.amdhsa_next_free_sgpr 19
		.amdhsa_reserve_vcc 1
		.amdhsa_float_round_mode_32 0
		.amdhsa_float_round_mode_16_64 0
		.amdhsa_float_denorm_mode_32 3
		.amdhsa_float_denorm_mode_16_64 3
		.amdhsa_dx10_clamp 1
		.amdhsa_ieee_mode 1
		.amdhsa_fp16_overflow 0
		.amdhsa_workgroup_processor_mode 1
		.amdhsa_memory_ordered 1
		.amdhsa_forward_progress 0
		.amdhsa_shared_vgpr_count 0
		.amdhsa_exception_fp_ieee_invalid_op 0
		.amdhsa_exception_fp_denorm_src 0
		.amdhsa_exception_fp_ieee_div_zero 0
		.amdhsa_exception_fp_ieee_overflow 0
		.amdhsa_exception_fp_ieee_underflow 0
		.amdhsa_exception_fp_ieee_inexact 0
		.amdhsa_exception_int_div_zero 0
	.end_amdhsa_kernel
	.section	.text._ZN4vllm3moe17topkGatingSoftmaxIDF16_Li16ELi256ELi8ELi32ELb1ELi1ELNS0_23SharedExpertScoringFuncE1EEEvPKT_PKbPfiPiS9_iiiiii,"axG",@progbits,_ZN4vllm3moe17topkGatingSoftmaxIDF16_Li16ELi256ELi8ELi32ELb1ELi1ELNS0_23SharedExpertScoringFuncE1EEEvPKT_PKbPfiPiS9_iiiiii,comdat
.Lfunc_end188:
	.size	_ZN4vllm3moe17topkGatingSoftmaxIDF16_Li16ELi256ELi8ELi32ELb1ELi1ELNS0_23SharedExpertScoringFuncE1EEEvPKT_PKbPfiPiS9_iiiiii, .Lfunc_end188-_ZN4vllm3moe17topkGatingSoftmaxIDF16_Li16ELi256ELi8ELi32ELb1ELi1ELNS0_23SharedExpertScoringFuncE1EEEvPKT_PKbPfiPiS9_iiiiii
                                        ; -- End function
	.section	.AMDGPU.csdata,"",@progbits
; Kernel info:
; codeLenInByte = 3236
; NumSgprs: 21
; NumVgprs: 53
; ScratchSize: 0
; MemoryBound: 0
; FloatMode: 240
; IeeeMode: 1
; LDSByteSize: 0 bytes/workgroup (compile time only)
; SGPRBlocks: 2
; VGPRBlocks: 6
; NumSGPRsForWavesPerEU: 21
; NumVGPRsForWavesPerEU: 53
; Occupancy: 16
; WaveLimiterHint : 0
; COMPUTE_PGM_RSRC2:SCRATCH_EN: 0
; COMPUTE_PGM_RSRC2:USER_SGPR: 15
; COMPUTE_PGM_RSRC2:TRAP_HANDLER: 0
; COMPUTE_PGM_RSRC2:TGID_X_EN: 1
; COMPUTE_PGM_RSRC2:TGID_Y_EN: 0
; COMPUTE_PGM_RSRC2:TGID_Z_EN: 0
; COMPUTE_PGM_RSRC2:TIDIG_COMP_CNT: 1
	.section	.text._ZN4vllm3moe17topkGatingSoftmaxIDF16_Li16ELi256ELi8ELi32ELb0ELi1ELNS0_23SharedExpertScoringFuncE1EEEvPKT_PKbPfiPiS9_iiiiii,"axG",@progbits,_ZN4vllm3moe17topkGatingSoftmaxIDF16_Li16ELi256ELi8ELi32ELb0ELi1ELNS0_23SharedExpertScoringFuncE1EEEvPKT_PKbPfiPiS9_iiiiii,comdat
	.protected	_ZN4vllm3moe17topkGatingSoftmaxIDF16_Li16ELi256ELi8ELi32ELb0ELi1ELNS0_23SharedExpertScoringFuncE1EEEvPKT_PKbPfiPiS9_iiiiii ; -- Begin function _ZN4vllm3moe17topkGatingSoftmaxIDF16_Li16ELi256ELi8ELi32ELb0ELi1ELNS0_23SharedExpertScoringFuncE1EEEvPKT_PKbPfiPiS9_iiiiii
	.globl	_ZN4vllm3moe17topkGatingSoftmaxIDF16_Li16ELi256ELi8ELi32ELb0ELi1ELNS0_23SharedExpertScoringFuncE1EEEvPKT_PKbPfiPiS9_iiiiii
	.p2align	8
	.type	_ZN4vllm3moe17topkGatingSoftmaxIDF16_Li16ELi256ELi8ELi32ELb0ELi1ELNS0_23SharedExpertScoringFuncE1EEEvPKT_PKbPfiPiS9_iiiiii,@function
_ZN4vllm3moe17topkGatingSoftmaxIDF16_Li16ELi256ELi8ELi32ELb0ELi1ELNS0_23SharedExpertScoringFuncE1EEEvPKT_PKbPfiPiS9_iiiiii: ; @_ZN4vllm3moe17topkGatingSoftmaxIDF16_Li16ELi256ELi8ELi32ELb0ELi1ELNS0_23SharedExpertScoringFuncE1EEEvPKT_PKbPfiPiS9_iiiiii
; %bb.0:
	s_load_b32 s16, s[0:1], 0x18
	v_bfe_u32 v1, v0, 10, 10
	v_and_b32_e32 v0, 0x3ff, v0
	s_lshl_b32 s18, s15, 4
	s_mov_b32 s2, exec_lo
	s_delay_alu instid0(VALU_DEP_2) | instskip(NEXT) | instid1(VALU_DEP_2)
	v_lshlrev_b32_e32 v43, 1, v1
	v_lshrrev_b32_e32 v44, 4, v0
	s_delay_alu instid0(VALU_DEP_1) | instskip(SKIP_1) | instid1(VALU_DEP_1)
	v_add3_u32 v10, s18, v43, v44
	s_waitcnt lgkmcnt(0)
	v_cmpx_gt_i32_e64 s16, v10
	s_cbranch_execz .LBB189_23
; %bb.1:
	s_clause 0x1
	s_load_b128 s[4:7], s[0:1], 0x0
	s_load_b64 s[12:13], s[0:1], 0x10
	s_waitcnt lgkmcnt(0)
	s_cmp_eq_u64 s[6:7], 0
	s_cbranch_scc1 .LBB189_3
; %bb.2:
	v_ashrrev_i32_e32 v2, 31, v10
	v_add_co_u32 v1, vcc_lo, s6, v10
	s_delay_alu instid0(VALU_DEP_2) | instskip(SKIP_3) | instid1(VALU_DEP_1)
	v_add_co_ci_u32_e32 v2, vcc_lo, s7, v2, vcc_lo
	global_load_u8 v1, v[1:2], off
	s_waitcnt vmcnt(0)
	v_and_b32_e32 v1, 1, v1
	v_cmp_eq_u32_e32 vcc_lo, 1, v1
	s_xor_b32 s2, vcc_lo, -1
	s_delay_alu instid0(SALU_CYCLE_1)
	s_or_not1_b32 s17, s2, exec_lo
	s_branch .LBB189_4
.LBB189_3:
	s_mov_b32 s17, -1
.LBB189_4:
	s_clause 0x1
	s_load_b64 s[14:15], s[0:1], 0x40
	s_load_b128 s[8:11], s[0:1], 0x30
	v_and_b32_e32 v21, 15, v0
	s_delay_alu instid0(VALU_DEP_1) | instskip(SKIP_3) | instid1(VALU_DEP_1)
	v_dual_mov_b32 v11, 0 :: v_dual_lshlrev_b32 v22, 4, v21
	v_cmp_eq_u32_e64 s2, 0, v21
	s_waitcnt lgkmcnt(0)
	v_mul_lo_u32 v1, v10, s15
	v_ashrrev_i32_e32 v2, 31, v1
	s_delay_alu instid0(VALU_DEP_1) | instskip(SKIP_1) | instid1(VALU_DEP_2)
	v_lshlrev_b64 v[0:1], 1, v[1:2]
	v_lshlrev_b32_e32 v2, 5, v21
	v_add_co_u32 v8, vcc_lo, s4, v0
	s_delay_alu instid0(VALU_DEP_3) | instskip(NEXT) | instid1(VALU_DEP_2)
	v_add_co_ci_u32_e32 v9, vcc_lo, s5, v1, vcc_lo
	v_add_co_u32 v4, vcc_lo, v8, v2
	s_delay_alu instid0(VALU_DEP_2)
	v_add_co_ci_u32_e32 v5, vcc_lo, 0, v9, vcc_lo
	s_clause 0x1
	global_load_b128 v[0:3], v[4:5], off offset:16
	global_load_b128 v[4:7], v[4:5], off
	s_and_saveexec_b32 s3, s2
	s_cbranch_execz .LBB189_6
; %bb.5:
	global_load_u16 v8, v[8:9], off offset:512
	s_mov_b32 s4, 0x3fb8aa3b
	s_waitcnt vmcnt(0)
	v_cvt_f32_f16_e64 v9, -v8
	s_delay_alu instid0(VALU_DEP_1) | instskip(SKIP_1) | instid1(VALU_DEP_2)
	v_mul_f32_e32 v12, 0x3fb8aa3b, v9
	v_cmp_ngt_f32_e32 vcc_lo, 0xc2ce8ed0, v9
	v_rndne_f32_e32 v13, v12
	v_fma_mix_f32 v14, -v8, s4, -v12 op_sel_hi:[1,0,0]
	s_mov_b32 s4, 0x32a5705f
	s_delay_alu instid0(VALU_DEP_2) | instskip(NEXT) | instid1(VALU_DEP_2)
	v_sub_f32_e32 v12, v12, v13
	v_fma_mix_f32 v8, -v8, s4, v14 op_sel_hi:[1,0,0]
	s_delay_alu instid0(VALU_DEP_1) | instskip(SKIP_1) | instid1(VALU_DEP_2)
	v_add_f32_e32 v8, v12, v8
	v_cvt_i32_f32_e32 v12, v13
	v_exp_f32_e32 v8, v8
	s_waitcnt_depctr 0xfff
	v_ldexp_f32 v8, v8, v12
	s_delay_alu instid0(VALU_DEP_1) | instskip(SKIP_1) | instid1(VALU_DEP_2)
	v_cndmask_b32_e32 v8, 0, v8, vcc_lo
	v_cmp_nlt_f32_e32 vcc_lo, 0x42b17218, v9
	v_cndmask_b32_e32 v8, 0x7f800000, v8, vcc_lo
	s_delay_alu instid0(VALU_DEP_1) | instskip(NEXT) | instid1(VALU_DEP_1)
	v_add_f32_e32 v12, 1.0, v8
	v_div_scale_f32 v13, null, v12, v12, 1.0
	v_div_scale_f32 v15, vcc_lo, 1.0, v12, 1.0
	s_delay_alu instid0(VALU_DEP_2) | instskip(SKIP_2) | instid1(VALU_DEP_1)
	v_rcp_f32_e32 v14, v13
	s_waitcnt_depctr 0xfff
	v_fma_f32 v8, -v13, v14, 1.0
	v_fmac_f32_e32 v14, v8, v14
	v_mad_u64_u32 v[8:9], null, v10, s11, s[8:9]
	s_delay_alu instid0(VALU_DEP_2) | instskip(NEXT) | instid1(VALU_DEP_2)
	v_mul_f32_e32 v16, v15, v14
	v_ashrrev_i32_e32 v9, 31, v8
	s_delay_alu instid0(VALU_DEP_2) | instskip(NEXT) | instid1(VALU_DEP_2)
	v_fma_f32 v17, -v13, v16, v15
	v_lshlrev_b64 v[8:9], 2, v[8:9]
	s_delay_alu instid0(VALU_DEP_2) | instskip(NEXT) | instid1(VALU_DEP_1)
	v_fmac_f32_e32 v16, v17, v14
	v_fma_f32 v13, -v13, v16, v15
	s_delay_alu instid0(VALU_DEP_1) | instskip(NEXT) | instid1(VALU_DEP_4)
	v_div_fmas_f32 v13, v13, v14, v16
	v_add_co_u32 v8, vcc_lo, s12, v8
	v_add_co_ci_u32_e32 v9, vcc_lo, s13, v9, vcc_lo
	s_delay_alu instid0(VALU_DEP_3)
	v_div_fixup_f32 v12, v13, v12, 1.0
	global_store_b32 v[8:9], v12, off
.LBB189_6:
	s_or_b32 exec_lo, exec_lo, s3
	s_waitcnt vmcnt(0)
	v_lshrrev_b32_e32 v8, 16, v4
	v_cvt_f32_f16_e32 v24, v4
	v_cvt_f32_f16_e32 v26, v5
	v_lshrrev_b32_e32 v5, 16, v5
	v_or_b32_e32 v28, 1, v22
	v_cvt_f32_f16_e32 v27, v8
	v_cmp_lt_f16_e32 vcc_lo, v4, v8
	v_or_b32_e32 v29, 2, v22
	v_cvt_f32_f16_e32 v25, v5
	v_cvt_f32_f16_e32 v23, v6
	v_or_b32_e32 v30, 3, v22
	v_cndmask_b32_e32 v8, v24, v27, vcc_lo
	v_cndmask_b32_e32 v4, v22, v28, vcc_lo
	v_lshrrev_b32_e32 v6, 16, v6
	v_or_b32_e32 v31, 4, v22
	v_or_b32_e32 v32, 5, v22
	v_cmp_lt_f32_e32 vcc_lo, v8, v26
	v_cvt_f32_f16_e32 v19, v7
	v_cvt_f32_f16_e32 v20, v6
	v_lshrrev_b32_e32 v6, 16, v7
	v_or_b32_e32 v33, 6, v22
	v_cndmask_b32_e32 v5, v8, v26, vcc_lo
	v_cndmask_b32_e32 v4, v4, v29, vcc_lo
	v_cvt_f32_f16_e32 v15, v1
	v_cvt_f32_f16_e32 v18, v6
	v_lshrrev_b32_e32 v1, 16, v1
	v_cmp_lt_f32_e32 vcc_lo, v5, v25
	v_or_b32_e32 v34, 7, v22
	v_cvt_f32_f16_e32 v17, v0
	v_lshrrev_b32_e32 v0, 16, v0
	v_cvt_f32_f16_e32 v14, v1
	v_dual_cndmask_b32 v5, v5, v25 :: v_dual_cndmask_b32 v4, v4, v30
	v_or_b32_e32 v35, 8, v22
	v_cvt_f32_f16_e32 v12, v2
	v_lshrrev_b32_e32 v2, 16, v2
	s_delay_alu instid0(VALU_DEP_4)
	v_cmp_lt_f32_e32 vcc_lo, v5, v23
	v_cvt_f32_f16_e32 v16, v0
	v_or_b32_e32 v36, 9, v22
	v_or_b32_e32 v37, 10, v22
	v_cvt_f32_f16_e32 v9, v2
	v_cndmask_b32_e32 v5, v5, v23, vcc_lo
	v_cndmask_b32_e32 v4, v4, v31, vcc_lo
	v_lshrrev_b32_e32 v2, 16, v3
	v_cvt_f32_f16_e32 v8, v3
	v_or_b32_e32 v38, 11, v22
	v_cmp_lt_f32_e32 vcc_lo, v5, v20
	v_or_b32_e32 v39, 12, v22
	v_cvt_f32_f16_e32 v7, v2
	v_or_b32_e32 v40, 13, v22
	v_or_b32_e32 v41, 14, v22
	v_cndmask_b32_e32 v5, v5, v20, vcc_lo
	v_cndmask_b32_e32 v4, v4, v32, vcc_lo
	v_or_b32_e32 v42, 15, v22
	s_delay_alu instid0(VALU_DEP_3) | instskip(NEXT) | instid1(VALU_DEP_3)
	v_cmp_lt_f32_e32 vcc_lo, v5, v19
	v_dual_cndmask_b32 v5, v5, v19 :: v_dual_cndmask_b32 v4, v4, v33
	s_delay_alu instid0(VALU_DEP_1) | instskip(SKIP_1) | instid1(VALU_DEP_3)
	v_cmp_lt_f32_e32 vcc_lo, v5, v18
	v_cndmask_b32_e32 v5, v5, v18, vcc_lo
	v_cndmask_b32_e32 v4, v4, v34, vcc_lo
	s_delay_alu instid0(VALU_DEP_2) | instskip(NEXT) | instid1(VALU_DEP_2)
	v_cmp_lt_f32_e32 vcc_lo, v5, v17
	v_cndmask_b32_e32 v0, v4, v35, vcc_lo
	v_cndmask_b32_e32 v4, v5, v17, vcc_lo
	s_delay_alu instid0(VALU_DEP_1) | instskip(SKIP_1) | instid1(VALU_DEP_4)
	v_cmp_lt_f32_e32 vcc_lo, v4, v16
	v_cndmask_b32_e32 v4, v4, v16, vcc_lo
	v_cndmask_b32_e32 v0, v0, v36, vcc_lo
	s_delay_alu instid0(VALU_DEP_2) | instskip(SKIP_1) | instid1(VALU_DEP_3)
	v_cmp_lt_f32_e32 vcc_lo, v4, v15
	v_cndmask_b32_e32 v1, v4, v15, vcc_lo
	v_cndmask_b32_e32 v0, v0, v37, vcc_lo
	s_delay_alu instid0(VALU_DEP_2) | instskip(SKIP_1) | instid1(VALU_DEP_3)
	v_cmp_lt_f32_e32 vcc_lo, v1, v14
	v_cndmask_b32_e32 v1, v1, v14, vcc_lo
	v_cndmask_b32_e32 v0, v0, v38, vcc_lo
	s_delay_alu instid0(VALU_DEP_2) | instskip(NEXT) | instid1(VALU_DEP_2)
	v_cmp_lt_f32_e32 vcc_lo, v1, v12
	v_dual_cndmask_b32 v1, v1, v12 :: v_dual_cndmask_b32 v0, v0, v39
	s_delay_alu instid0(VALU_DEP_1) | instskip(NEXT) | instid1(VALU_DEP_2)
	v_cmp_lt_f32_e32 vcc_lo, v1, v9
	v_dual_cndmask_b32 v1, v1, v9 :: v_dual_cndmask_b32 v0, v0, v40
	s_delay_alu instid0(VALU_DEP_1) | instskip(NEXT) | instid1(VALU_DEP_2)
	;; [unrolled: 3-line block ×4, first 2 shown]
	v_mov_b32_dpp v3, v0 quad_perm:[1,0,3,2] row_mask:0xf bank_mask:0xf
	v_mov_b32_dpp v2, v1 quad_perm:[1,0,3,2] row_mask:0xf bank_mask:0xf
	s_delay_alu instid0(VALU_DEP_2) | instskip(NEXT) | instid1(VALU_DEP_2)
	v_cmp_lt_i32_e64 s3, v3, v0
	v_cmp_eq_f32_e32 vcc_lo, v1, v2
	v_cmp_lt_f32_e64 s4, v1, v2
	s_delay_alu instid0(VALU_DEP_3)
	s_and_b32 s3, vcc_lo, s3
	s_delay_alu instid0(VALU_DEP_1) | instid1(SALU_CYCLE_1)
	s_or_b32 vcc_lo, s4, s3
	v_dual_cndmask_b32 v1, v1, v2 :: v_dual_cndmask_b32 v0, v0, v3
	s_delay_alu instid0(VALU_DEP_1) | instskip(NEXT) | instid1(VALU_DEP_2)
	v_mov_b32_dpp v2, v1 quad_perm:[2,3,0,1] row_mask:0xf bank_mask:0xf
	v_mov_b32_dpp v3, v0 quad_perm:[2,3,0,1] row_mask:0xf bank_mask:0xf
	s_delay_alu instid0(VALU_DEP_2) | instskip(NEXT) | instid1(VALU_DEP_2)
	v_cmp_eq_f32_e32 vcc_lo, v1, v2
	v_cmp_lt_i32_e64 s3, v3, v0
	v_cmp_lt_f32_e64 s4, v1, v2
	s_delay_alu instid0(VALU_DEP_2)
	s_and_b32 s3, vcc_lo, s3
	s_delay_alu instid0(VALU_DEP_1) | instid1(SALU_CYCLE_1)
	s_or_b32 vcc_lo, s4, s3
	v_dual_cndmask_b32 v1, v1, v2 :: v_dual_cndmask_b32 v0, v0, v3
	s_delay_alu instid0(VALU_DEP_1) | instskip(NEXT) | instid1(VALU_DEP_2)
	v_mov_b32_dpp v2, v1 row_half_mirror row_mask:0xf bank_mask:0xf
	v_mov_b32_dpp v3, v0 row_half_mirror row_mask:0xf bank_mask:0xf
	s_delay_alu instid0(VALU_DEP_2) | instskip(NEXT) | instid1(VALU_DEP_2)
	v_cmp_eq_f32_e32 vcc_lo, v1, v2
	v_cmp_lt_i32_e64 s3, v3, v0
	v_cmp_lt_f32_e64 s4, v1, v2
	s_delay_alu instid0(VALU_DEP_2)
	s_and_b32 s3, vcc_lo, s3
	s_delay_alu instid0(VALU_DEP_1) | instid1(SALU_CYCLE_1)
	s_or_b32 vcc_lo, s4, s3
	v_dual_cndmask_b32 v1, v1, v2 :: v_dual_cndmask_b32 v0, v0, v3
	s_delay_alu instid0(VALU_DEP_1) | instskip(NEXT) | instid1(VALU_DEP_2)
	v_mov_b32_dpp v3, v1 row_mirror row_mask:0xf bank_mask:0xf
	v_mov_b32_dpp v2, v0 row_mirror row_mask:0xf bank_mask:0xf
	s_delay_alu instid0(VALU_DEP_2) | instskip(NEXT) | instid1(VALU_DEP_2)
	v_cmp_eq_f32_e32 vcc_lo, v1, v3
	v_cmp_lt_i32_e64 s3, v2, v0
	v_cmp_lt_f32_e64 s4, v1, v3
	s_delay_alu instid0(VALU_DEP_2)
	s_and_b32 s3, vcc_lo, s3
	s_delay_alu instid0(VALU_DEP_1) | instid1(SALU_CYCLE_1)
	s_or_b32 s3, s4, s3
	s_cmp_gt_i32 s8, 0
	v_cndmask_b32_e64 v13, v1, v3, s3
	s_cselect_b32 s15, -1, 0
	s_delay_alu instid0(SALU_CYCLE_1)
	s_and_b32 vcc_lo, exec_lo, s15
	s_cbranch_vccz .LBB189_18
; %bb.7:
	s_load_b128 s[4:7], s[0:1], 0x20
	v_mul_lo_u32 v1, v10, s11
	v_mul_lo_u32 v3, v10, s14
	v_mul_lo_u32 v5, v10, s8
	v_cndmask_b32_e64 v0, v0, v2, s3
	v_mov_b32_e32 v11, 0
	s_and_saveexec_b32 s1, s2
	s_cbranch_execz .LBB189_9
; %bb.8:
	v_sub_f32_e32 v11, v13, v13
	v_cmp_le_i32_e32 vcc_lo, s9, v0
	v_cmp_gt_i32_e64 s0, s10, v0
	v_subrev_nc_u32_e32 v51, s9, v0
	v_ashrrev_i32_e32 v6, 31, v5
	v_mul_f32_e32 v2, 0x3fb8aa3b, v11
	s_delay_alu instid0(VALU_DEP_4) | instskip(NEXT) | instid1(SALU_CYCLE_1)
	s_and_b32 s0, vcc_lo, s0
	s_and_b32 vcc_lo, s17, s0
	s_delay_alu instid0(VALU_DEP_1) | instskip(SKIP_2) | instid1(VALU_DEP_3)
	v_rndne_f32_e32 v47, v2
	v_fma_f32 v4, 0x3fb8aa3b, v11, -v2
	v_lshlrev_b64 v[49:50], 2, v[5:6]
	v_sub_f32_e32 v2, v2, v47
	s_delay_alu instid0(VALU_DEP_3) | instskip(NEXT) | instid1(VALU_DEP_1)
	v_fmamk_f32 v4, v11, 0x32a5705f, v4
	v_add_f32_e32 v4, v2, v4
	v_ashrrev_i32_e32 v2, 31, v1
	s_delay_alu instid0(VALU_DEP_2) | instskip(NEXT) | instid1(VALU_DEP_1)
	v_exp_f32_e32 v52, v4
	v_lshlrev_b64 v[45:46], 2, v[1:2]
	v_ashrrev_i32_e32 v4, 31, v3
	v_cvt_i32_f32_e32 v2, v47
	s_delay_alu instid0(VALU_DEP_2) | instskip(SKIP_3) | instid1(TRANS32_DEP_1)
	v_lshlrev_b64 v[47:48], 2, v[3:4]
	v_cndmask_b32_e32 v4, 0x100, v51, vcc_lo
	v_add_co_u32 v45, vcc_lo, s12, v45
	v_add_co_ci_u32_e32 v46, vcc_lo, s13, v46, vcc_lo
	v_ldexp_f32 v2, v52, v2
	v_cmp_ngt_f32_e32 vcc_lo, 0xc2ce8ed0, v11
	s_delay_alu instid0(VALU_DEP_2)
	v_cndmask_b32_e32 v2, 0, v2, vcc_lo
	s_waitcnt lgkmcnt(0)
	v_add_co_u32 v47, vcc_lo, s4, v47
	v_add_co_ci_u32_e32 v48, vcc_lo, s5, v48, vcc_lo
	v_cmp_nlt_f32_e32 vcc_lo, 0x42b17218, v11
	v_cndmask_b32_e32 v11, 0x7f800000, v2, vcc_lo
	v_add_co_u32 v49, vcc_lo, s6, v49
	v_add_co_ci_u32_e32 v50, vcc_lo, s7, v50, vcc_lo
	global_store_b32 v[47:48], v4, off
	global_store_b32 v[45:46], v11, off
	;; [unrolled: 1-line block ×3, first 2 shown]
.LBB189_9:
	s_or_b32 exec_lo, exec_lo, s1
	v_ashrrev_i32_e32 v4, 31, v0
	s_mov_b32 s0, exec_lo
	s_delay_alu instid0(VALU_DEP_1) | instskip(NEXT) | instid1(VALU_DEP_1)
	v_lshrrev_b32_e32 v2, 28, v4
	v_add_nc_u32_e32 v2, v0, v2
	s_delay_alu instid0(VALU_DEP_1) | instskip(NEXT) | instid1(VALU_DEP_1)
	v_ashrrev_i32_e32 v2, 4, v2
	v_lshrrev_b32_e32 v6, 28, v2
	s_delay_alu instid0(VALU_DEP_1) | instskip(NEXT) | instid1(VALU_DEP_1)
	v_add_nc_u32_e32 v6, v2, v6
	v_and_b32_e32 v6, -16, v6
	s_delay_alu instid0(VALU_DEP_1) | instskip(NEXT) | instid1(VALU_DEP_1)
	v_sub_nc_u32_e32 v6, v2, v6
	v_cmpx_eq_u32_e64 v21, v6
	s_cbranch_execz .LBB189_11
; %bb.10:
	v_lshrrev_b32_e32 v4, 24, v4
	v_lshlrev_b32_e32 v2, 4, v2
	s_delay_alu instid0(VALU_DEP_2) | instskip(NEXT) | instid1(VALU_DEP_2)
	v_add_nc_u32_e32 v4, v0, v4
	v_sub_nc_u32_e32 v0, v0, v2
	s_delay_alu instid0(VALU_DEP_2) | instskip(NEXT) | instid1(VALU_DEP_1)
	v_ashrrev_i32_e32 v2, 8, v4
	v_lshl_add_u32 v0, v2, 4, v0
	s_delay_alu instid0(VALU_DEP_1)
	v_cmp_ne_u32_e32 vcc_lo, 15, v0
	v_cndmask_b32_e32 v7, 0xff800000, v7, vcc_lo
	v_cmp_ne_u32_e32 vcc_lo, 14, v0
	v_cndmask_b32_e32 v8, 0xff800000, v8, vcc_lo
	;; [unrolled: 2-line block ×16, first 2 shown]
.LBB189_11:
	s_or_b32 exec_lo, exec_lo, s0
	s_cmp_eq_u32 s8, 1
	s_cbranch_scc1 .LBB189_18
; %bb.12:
	s_add_i32 s18, s18, s16
	v_add_nc_u32_e32 v0, 1, v5
	v_add3_u32 v6, s18, v44, v43
	v_add_nc_u32_e32 v2, 1, v3
	v_add_nc_u32_e32 v4, 1, v1
	s_add_i32 s3, s8, -1
	s_branch .LBB189_14
.LBB189_13:                             ;   in Loop: Header=BB189_14 Depth=1
	s_or_b32 exec_lo, exec_lo, s0
	v_add_nc_u32_e32 v6, s16, v6
	v_add_nc_u32_e32 v0, 1, v0
	;; [unrolled: 1-line block ×4, first 2 shown]
	s_add_i32 s3, s3, -1
	s_delay_alu instid0(SALU_CYCLE_1)
	s_cmp_eq_u32 s3, 0
	s_cbranch_scc1 .LBB189_18
.LBB189_14:                             ; =>This Inner Loop Header: Depth=1
	v_cmp_gt_f32_e32 vcc_lo, v27, v24
	v_cndmask_b32_e32 v3, v24, v27, vcc_lo
	v_cndmask_b32_e32 v1, v22, v28, vcc_lo
	s_delay_alu instid0(VALU_DEP_2) | instskip(SKIP_1) | instid1(VALU_DEP_3)
	v_cmp_gt_f32_e32 vcc_lo, v26, v3
	v_cndmask_b32_e32 v3, v3, v26, vcc_lo
	v_cndmask_b32_e32 v1, v1, v29, vcc_lo
	s_delay_alu instid0(VALU_DEP_2) | instskip(SKIP_1) | instid1(VALU_DEP_3)
	;; [unrolled: 4-line block ×13, first 2 shown]
	v_cmp_gt_f32_e32 vcc_lo, v8, v3
	v_cndmask_b32_e32 v3, v3, v8, vcc_lo
	v_cndmask_b32_e32 v1, v1, v41, vcc_lo
	s_delay_alu instid0(VALU_DEP_2) | instskip(NEXT) | instid1(VALU_DEP_2)
	v_cmp_gt_f32_e32 vcc_lo, v7, v3
	v_cndmask_b32_e32 v1, v1, v42, vcc_lo
	v_cndmask_b32_e32 v3, v3, v7, vcc_lo
	s_delay_alu instid0(VALU_DEP_2) | instskip(NEXT) | instid1(VALU_DEP_2)
	v_mov_b32_dpp v5, v1 quad_perm:[1,0,3,2] row_mask:0xf bank_mask:0xf
	v_mov_b32_dpp v43, v3 quad_perm:[1,0,3,2] row_mask:0xf bank_mask:0xf
	s_delay_alu instid0(VALU_DEP_2) | instskip(NEXT) | instid1(VALU_DEP_2)
	v_cmp_lt_i32_e32 vcc_lo, v5, v1
	v_cmp_eq_f32_e64 s0, v3, v43
	v_cmp_lt_f32_e64 s1, v3, v43
	s_delay_alu instid0(VALU_DEP_2)
	s_and_b32 s0, s0, vcc_lo
	s_delay_alu instid0(VALU_DEP_1) | instid1(SALU_CYCLE_1)
	s_or_b32 vcc_lo, s1, s0
	v_cndmask_b32_e32 v3, v3, v43, vcc_lo
	v_cndmask_b32_e32 v1, v1, v5, vcc_lo
	s_delay_alu instid0(VALU_DEP_2) | instskip(NEXT) | instid1(VALU_DEP_2)
	v_mov_b32_dpp v5, v3 quad_perm:[2,3,0,1] row_mask:0xf bank_mask:0xf
	v_mov_b32_dpp v43, v1 quad_perm:[2,3,0,1] row_mask:0xf bank_mask:0xf
	s_delay_alu instid0(VALU_DEP_2) | instskip(NEXT) | instid1(VALU_DEP_2)
	v_cmp_eq_f32_e32 vcc_lo, v3, v5
	v_cmp_lt_i32_e64 s0, v43, v1
	v_cmp_lt_f32_e64 s1, v3, v5
	s_delay_alu instid0(VALU_DEP_2)
	s_and_b32 s0, vcc_lo, s0
	s_delay_alu instid0(VALU_DEP_1) | instid1(SALU_CYCLE_1)
	s_or_b32 vcc_lo, s1, s0
	v_cndmask_b32_e32 v3, v3, v5, vcc_lo
	v_cndmask_b32_e32 v5, v1, v43, vcc_lo
	s_delay_alu instid0(VALU_DEP_2) | instskip(NEXT) | instid1(VALU_DEP_2)
	v_mov_b32_dpp v1, v3 row_half_mirror row_mask:0xf bank_mask:0xf
	v_mov_b32_dpp v43, v5 row_half_mirror row_mask:0xf bank_mask:0xf
	s_delay_alu instid0(VALU_DEP_2) | instskip(NEXT) | instid1(VALU_DEP_2)
	v_cmp_eq_f32_e32 vcc_lo, v3, v1
	v_cmp_lt_i32_e64 s0, v43, v5
	v_cmp_lt_f32_e64 s1, v3, v1
	s_delay_alu instid0(VALU_DEP_2)
	s_and_b32 s0, vcc_lo, s0
	s_delay_alu instid0(VALU_DEP_1) | instid1(SALU_CYCLE_1)
	s_or_b32 vcc_lo, s1, s0
	v_cndmask_b32_e32 v1, v3, v1, vcc_lo
	v_cndmask_b32_e32 v5, v5, v43, vcc_lo
	s_delay_alu instid0(VALU_DEP_2) | instskip(NEXT) | instid1(VALU_DEP_2)
	v_mov_b32_dpp v3, v1 row_mirror row_mask:0xf bank_mask:0xf
	v_mov_b32_dpp v43, v5 row_mirror row_mask:0xf bank_mask:0xf
	s_delay_alu instid0(VALU_DEP_2) | instskip(NEXT) | instid1(VALU_DEP_2)
	v_cmp_eq_f32_e32 vcc_lo, v1, v3
	v_cmp_lt_i32_e64 s0, v43, v5
	v_cmp_lt_f32_e64 s1, v1, v3
	s_delay_alu instid0(VALU_DEP_2)
	s_and_b32 s0, vcc_lo, s0
	s_delay_alu instid0(VALU_DEP_1) | instid1(SALU_CYCLE_1)
	s_or_b32 vcc_lo, s1, s0
	v_cndmask_b32_e32 v43, v5, v43, vcc_lo
	s_and_saveexec_b32 s1, s2
	s_cbranch_execz .LBB189_16
; %bb.15:                               ;   in Loop: Header=BB189_14 Depth=1
	v_cndmask_b32_e32 v1, v1, v3, vcc_lo
	s_delay_alu instid0(VALU_DEP_2) | instskip(SKIP_3) | instid1(VALU_DEP_3)
	v_cmp_le_i32_e32 vcc_lo, s9, v43
	v_cmp_gt_i32_e64 s0, s10, v43
	v_subrev_nc_u32_e32 v51, s9, v43
	v_ashrrev_i32_e32 v5, 31, v4
	s_and_b32 s0, vcc_lo, s0
	s_delay_alu instid0(SALU_CYCLE_1) | instskip(SKIP_1) | instid1(VALU_DEP_1)
	s_and_b32 vcc_lo, s17, s0
	v_sub_f32_e32 v50, v1, v13
	v_mul_f32_e32 v1, 0x3fb8aa3b, v50
	s_delay_alu instid0(VALU_DEP_1) | instskip(SKIP_1) | instid1(VALU_DEP_2)
	v_fma_f32 v3, 0x3fb8aa3b, v50, -v1
	v_rndne_f32_e32 v44, v1
	v_fmac_f32_e32 v3, 0x32a5705f, v50
	s_delay_alu instid0(VALU_DEP_2) | instskip(SKIP_2) | instid1(VALU_DEP_3)
	v_sub_f32_e32 v1, v1, v44
	v_cvt_i32_f32_e32 v49, v44
	v_lshlrev_b64 v[44:45], 2, v[4:5]
	v_add_f32_e32 v1, v1, v3
	v_ashrrev_i32_e32 v3, 31, v2
	s_delay_alu instid0(VALU_DEP_2) | instskip(SKIP_1) | instid1(VALU_DEP_2)
	v_exp_f32_e32 v48, v1
	v_ashrrev_i32_e32 v1, 31, v0
	v_lshlrev_b64 v[46:47], 2, v[2:3]
	s_waitcnt_depctr 0xfff
	v_ldexp_f32 v3, v48, v49
	v_lshlrev_b64 v[48:49], 2, v[0:1]
	v_cndmask_b32_e32 v1, 0x100, v51, vcc_lo
	v_cmp_ngt_f32_e32 vcc_lo, 0xc2ce8ed0, v50
	s_delay_alu instid0(VALU_DEP_4) | instskip(SKIP_3) | instid1(VALU_DEP_4)
	v_cndmask_b32_e32 v3, 0, v3, vcc_lo
	v_add_co_u32 v44, vcc_lo, s12, v44
	v_add_co_ci_u32_e32 v45, vcc_lo, s13, v45, vcc_lo
	v_cmp_nlt_f32_e32 vcc_lo, 0x42b17218, v50
	v_cndmask_b32_e32 v3, 0x7f800000, v3, vcc_lo
	s_waitcnt lgkmcnt(0)
	v_add_co_u32 v46, vcc_lo, s4, v46
	v_add_co_ci_u32_e32 v47, vcc_lo, s5, v47, vcc_lo
	v_add_co_u32 v48, vcc_lo, s6, v48
	v_add_f32_e32 v11, v11, v3
	v_add_co_ci_u32_e32 v49, vcc_lo, s7, v49, vcc_lo
	global_store_b32 v[44:45], v3, off
	global_store_b32 v[46:47], v1, off
	;; [unrolled: 1-line block ×3, first 2 shown]
.LBB189_16:                             ;   in Loop: Header=BB189_14 Depth=1
	s_or_b32 exec_lo, exec_lo, s1
	s_delay_alu instid0(VALU_DEP_1) | instskip(SKIP_1) | instid1(VALU_DEP_1)
	v_ashrrev_i32_e32 v3, 31, v43
	s_mov_b32 s0, exec_lo
	v_lshrrev_b32_e32 v1, 28, v3
	s_delay_alu instid0(VALU_DEP_1) | instskip(NEXT) | instid1(VALU_DEP_1)
	v_add_nc_u32_e32 v1, v43, v1
	v_ashrrev_i32_e32 v1, 4, v1
	s_delay_alu instid0(VALU_DEP_1) | instskip(NEXT) | instid1(VALU_DEP_1)
	v_lshrrev_b32_e32 v5, 28, v1
	v_add_nc_u32_e32 v5, v1, v5
	s_delay_alu instid0(VALU_DEP_1) | instskip(NEXT) | instid1(VALU_DEP_1)
	v_and_b32_e32 v5, -16, v5
	v_sub_nc_u32_e32 v5, v1, v5
	s_delay_alu instid0(VALU_DEP_1)
	v_cmpx_eq_u32_e64 v21, v5
	s_cbranch_execz .LBB189_13
; %bb.17:                               ;   in Loop: Header=BB189_14 Depth=1
	v_lshrrev_b32_e32 v3, 24, v3
	v_lshlrev_b32_e32 v1, 4, v1
	s_delay_alu instid0(VALU_DEP_2) | instskip(NEXT) | instid1(VALU_DEP_2)
	v_add_nc_u32_e32 v3, v43, v3
	v_sub_nc_u32_e32 v1, v43, v1
	s_delay_alu instid0(VALU_DEP_2) | instskip(NEXT) | instid1(VALU_DEP_1)
	v_ashrrev_i32_e32 v3, 8, v3
	v_lshl_add_u32 v1, v3, 4, v1
	s_delay_alu instid0(VALU_DEP_1)
	v_cmp_ne_u32_e32 vcc_lo, 15, v1
	v_cndmask_b32_e32 v7, 0xff800000, v7, vcc_lo
	v_cmp_ne_u32_e32 vcc_lo, 14, v1
	v_cndmask_b32_e32 v8, 0xff800000, v8, vcc_lo
	;; [unrolled: 2-line block ×16, first 2 shown]
	s_branch .LBB189_13
.LBB189_18:
	s_delay_alu instid0(VALU_DEP_1) | instskip(SKIP_3) | instid1(VALU_DEP_4)
	v_sub_f32_e32 v3, v26, v13
	v_sub_f32_e32 v0, v24, v13
	;; [unrolled: 1-line block ×4, first 2 shown]
	v_dual_sub_f32 v14, v14, v13 :: v_dual_mul_f32 v25, 0x3fb8aa3b, v3
	s_delay_alu instid0(VALU_DEP_4)
	v_dual_sub_f32 v1, v27, v13 :: v_dual_mul_f32 v2, 0x3fb8aa3b, v0
	v_cmp_ngt_f32_e32 vcc_lo, 0xc2ce8ed0, v0
	v_sub_f32_e32 v15, v15, v13
	v_sub_f32_e32 v8, v8, v13
	;; [unrolled: 1-line block ×3, first 2 shown]
	v_fma_f32 v21, 0x3fb8aa3b, v0, -v2
	v_sub_f32_e32 v6, v23, v13
	v_rndne_f32_e32 v22, v2
	v_sub_f32_e32 v19, v19, v13
	s_delay_alu instid0(VALU_DEP_4) | instskip(NEXT) | instid1(VALU_DEP_4)
	v_dual_sub_f32 v20, v20, v13 :: v_dual_fmac_f32 v21, 0x32a5705f, v0
	v_dual_mul_f32 v4, 0x3fb8aa3b, v1 :: v_dual_mul_f32 v27, 0x3fb8aa3b, v6
	s_delay_alu instid0(VALU_DEP_4) | instskip(SKIP_1) | instid1(VALU_DEP_3)
	v_sub_f32_e32 v2, v2, v22
	v_cvt_i32_f32_e32 v22, v22
	v_rndne_f32_e32 v24, v4
	v_fma_f32 v23, 0x3fb8aa3b, v1, -v4
	s_delay_alu instid0(VALU_DEP_2) | instskip(SKIP_3) | instid1(VALU_DEP_2)
	v_sub_f32_e32 v4, v4, v24
	v_add_f32_e32 v2, v2, v21
	v_fma_f32 v21, 0x3fb8aa3b, v3, -v25
	v_cvt_i32_f32_e32 v24, v24
	v_fmac_f32_e32 v21, 0x32a5705f, v3
	s_delay_alu instid0(VALU_DEP_4) | instskip(SKIP_2) | instid1(VALU_DEP_1)
	v_exp_f32_e32 v2, v2
	s_waitcnt_depctr 0xfff
	v_ldexp_f32 v2, v2, v22
	v_dual_fmac_f32 v23, 0x32a5705f, v1 :: v_dual_cndmask_b32 v2, 0, v2
	s_delay_alu instid0(VALU_DEP_1) | instskip(SKIP_3) | instid1(VALU_DEP_3)
	v_add_f32_e32 v4, v4, v23
	v_rndne_f32_e32 v23, v25
	v_mul_f32_e32 v26, 0x3fb8aa3b, v5
	v_cmp_ngt_f32_e32 vcc_lo, 0xc2ce8ed0, v1
	v_sub_f32_e32 v25, v25, v23
	s_delay_alu instid0(VALU_DEP_3) | instskip(SKIP_2) | instid1(VALU_DEP_4)
	v_fma_f32 v28, 0x3fb8aa3b, v5, -v26
	v_rndne_f32_e32 v29, v26
	v_cvt_i32_f32_e32 v23, v23
	v_add_f32_e32 v21, v25, v21
	v_exp_f32_e32 v4, v4
	s_delay_alu instid0(VALU_DEP_1) | instskip(SKIP_2) | instid1(VALU_DEP_1)
	v_exp_f32_e32 v21, v21
	s_waitcnt_depctr 0xfff
	v_ldexp_f32 v4, v4, v24
	v_cndmask_b32_e32 v4, 0, v4, vcc_lo
	v_cmp_nlt_f32_e32 vcc_lo, 0x42b17218, v0
	v_cndmask_b32_e32 v0, 0x7f800000, v2, vcc_lo
	v_cmp_nlt_f32_e32 vcc_lo, 0x42b17218, v1
	v_sub_f32_e32 v22, v26, v29
	v_fma_f32 v2, 0x3fb8aa3b, v6, -v27
	v_cndmask_b32_e32 v1, 0x7f800000, v4, vcc_lo
	v_ldexp_f32 v4, v21, v23
	v_cmp_ngt_f32_e32 vcc_lo, 0xc2ce8ed0, v3
	v_fmac_f32_e32 v28, 0x32a5705f, v5
	v_rndne_f32_e32 v21, v27
	s_delay_alu instid0(VALU_DEP_4) | instskip(SKIP_1) | instid1(VALU_DEP_4)
	v_dual_add_f32 v0, v0, v1 :: v_dual_cndmask_b32 v1, 0, v4
	v_cmp_nlt_f32_e32 vcc_lo, 0x42b17218, v3
	v_add_f32_e32 v22, v22, v28
	v_cvt_i32_f32_e32 v4, v29
	v_sub_f32_e32 v23, v27, v21
	v_cndmask_b32_e32 v1, 0x7f800000, v1, vcc_lo
	s_delay_alu instid0(VALU_DEP_4) | instskip(SKIP_1) | instid1(VALU_DEP_2)
	v_exp_f32_e32 v22, v22
	v_cmp_ngt_f32_e32 vcc_lo, 0xc2ce8ed0, v5
	v_add_f32_e32 v0, v0, v1
	s_waitcnt_depctr 0xfff
	v_ldexp_f32 v3, v22, v4
	s_delay_alu instid0(VALU_DEP_1) | instskip(SKIP_3) | instid1(VALU_DEP_4)
	v_cndmask_b32_e32 v1, 0, v3, vcc_lo
	v_cmp_nlt_f32_e32 vcc_lo, 0x42b17218, v5
	v_cvt_i32_f32_e32 v5, v21
	v_dual_mul_f32 v21, 0x3fb8aa3b, v19 :: v_dual_mul_f32 v4, 0x3fb8aa3b, v20
	v_cndmask_b32_e32 v1, 0x7f800000, v1, vcc_lo
	v_cmp_ngt_f32_e32 vcc_lo, 0xc2ce8ed0, v6
	s_delay_alu instid0(VALU_DEP_3) | instskip(SKIP_1) | instid1(VALU_DEP_2)
	v_fma_f32 v3, 0x3fb8aa3b, v20, -v4
	v_fmac_f32_e32 v2, 0x32a5705f, v6
	v_dual_add_f32 v0, v0, v1 :: v_dual_fmac_f32 v3, 0x32a5705f, v20
	s_delay_alu instid0(VALU_DEP_2) | instskip(NEXT) | instid1(VALU_DEP_1)
	v_add_f32_e32 v2, v23, v2
	v_exp_f32_e32 v2, v2
	s_waitcnt_depctr 0xfff
	v_ldexp_f32 v1, v2, v5
	s_delay_alu instid0(VALU_DEP_1) | instskip(SKIP_2) | instid1(VALU_DEP_2)
	v_cndmask_b32_e32 v1, 0, v1, vcc_lo
	v_rndne_f32_e32 v22, v4
	v_cmp_nlt_f32_e32 vcc_lo, 0x42b17218, v6
	v_dual_sub_f32 v4, v4, v22 :: v_dual_cndmask_b32 v1, 0x7f800000, v1
	v_cvt_i32_f32_e32 v6, v22
	v_cmp_ngt_f32_e32 vcc_lo, 0xc2ce8ed0, v20
	s_delay_alu instid0(VALU_DEP_3) | instskip(SKIP_2) | instid1(VALU_DEP_2)
	v_add_f32_e32 v2, v4, v3
	v_fma_f32 v3, 0x3fb8aa3b, v19, -v21
	v_rndne_f32_e32 v4, v21
	v_fmac_f32_e32 v3, 0x32a5705f, v19
	s_delay_alu instid0(VALU_DEP_2) | instskip(SKIP_1) | instid1(VALU_DEP_2)
	v_sub_f32_e32 v5, v21, v4
	v_cvt_i32_f32_e32 v4, v4
	v_add_f32_e32 v3, v5, v3
	v_mul_f32_e32 v5, 0x3fb8aa3b, v18
	v_exp_f32_e32 v2, v2
	v_add_f32_e32 v0, v0, v1
	s_waitcnt_depctr 0xfff
	v_ldexp_f32 v1, v2, v6
	v_exp_f32_e32 v2, v3
	v_fma_f32 v3, 0x3fb8aa3b, v18, -v5
	v_rndne_f32_e32 v6, v5
	s_delay_alu instid0(VALU_DEP_2)
	v_fmac_f32_e32 v3, 0x32a5705f, v18
	s_waitcnt_depctr 0xfff
	v_ldexp_f32 v2, v2, v4
	v_sub_f32_e32 v4, v17, v13
	v_cndmask_b32_e32 v1, 0, v1, vcc_lo
	v_cmp_nlt_f32_e32 vcc_lo, 0x42b17218, v20
	v_mul_f32_e32 v20, 0x3fb8aa3b, v14
	s_delay_alu instid0(VALU_DEP_3) | instskip(SKIP_3) | instid1(VALU_DEP_4)
	v_cndmask_b32_e32 v1, 0x7f800000, v1, vcc_lo
	v_cmp_ngt_f32_e32 vcc_lo, 0xc2ce8ed0, v19
	v_sub_f32_e32 v5, v5, v6
	v_cvt_i32_f32_e32 v6, v6
	v_dual_add_f32 v0, v0, v1 :: v_dual_cndmask_b32 v1, 0, v2
	v_cmp_nlt_f32_e32 vcc_lo, 0x42b17218, v19
	s_delay_alu instid0(VALU_DEP_2) | instskip(SKIP_3) | instid1(VALU_DEP_4)
	v_cndmask_b32_e32 v1, 0x7f800000, v1, vcc_lo
	v_add_f32_e32 v3, v5, v3
	v_sub_f32_e32 v5, v16, v13
	v_cmp_ngt_f32_e32 vcc_lo, 0xc2ce8ed0, v18
	v_add_f32_e32 v0, v0, v1
	s_delay_alu instid0(VALU_DEP_4) | instskip(NEXT) | instid1(VALU_DEP_3)
	v_exp_f32_e32 v2, v3
	v_mul_f32_e32 v19, 0x3fb8aa3b, v5
	s_waitcnt_depctr 0xfff
	v_ldexp_f32 v1, v2, v6
	v_rndne_f32_e32 v6, v19
	v_mul_f32_e32 v3, 0x3fb8aa3b, v4
	s_delay_alu instid0(VALU_DEP_3) | instskip(SKIP_1) | instid1(VALU_DEP_3)
	v_cndmask_b32_e32 v1, 0, v1, vcc_lo
	v_cmp_nlt_f32_e32 vcc_lo, 0x42b17218, v18
	v_fma_f32 v16, 0x3fb8aa3b, v4, -v3
	v_rndne_f32_e32 v17, v3
	s_delay_alu instid0(VALU_DEP_4) | instskip(NEXT) | instid1(VALU_DEP_3)
	v_cndmask_b32_e32 v1, 0x7f800000, v1, vcc_lo
	v_fmac_f32_e32 v16, 0x32a5705f, v4
	s_delay_alu instid0(VALU_DEP_3) | instskip(SKIP_4) | instid1(VALU_DEP_4)
	v_sub_f32_e32 v2, v3, v17
	v_fma_f32 v3, 0x3fb8aa3b, v5, -v19
	v_cvt_i32_f32_e32 v17, v17
	v_add_f32_e32 v0, v0, v1
	v_cmp_ngt_f32_e32 vcc_lo, 0xc2ce8ed0, v4
	v_dual_add_f32 v2, v2, v16 :: v_dual_fmac_f32 v3, 0x32a5705f, v5
	v_dual_sub_f32 v16, v19, v6 :: v_dual_mul_f32 v19, 0x3fb8aa3b, v15
	s_delay_alu instid0(VALU_DEP_2) | instskip(NEXT) | instid1(VALU_DEP_1)
	v_exp_f32_e32 v2, v2
	v_add_f32_e32 v3, v16, v3
	s_delay_alu instid0(VALU_DEP_2) | instskip(SKIP_1) | instid1(VALU_DEP_3)
	v_fma_f32 v16, 0x3fb8aa3b, v15, -v19
	v_rndne_f32_e32 v18, v19
	v_exp_f32_e32 v3, v3
	s_delay_alu instid0(VALU_DEP_1) | instskip(SKIP_4) | instid1(VALU_DEP_3)
	v_dual_fmac_f32 v16, 0x32a5705f, v15 :: v_dual_sub_f32 v19, v19, v18
	s_waitcnt_depctr 0xfff
	v_ldexp_f32 v1, v2, v17
	v_cvt_i32_f32_e32 v2, v6
	v_rndne_f32_e32 v17, v20
	v_dual_add_f32 v6, v19, v16 :: v_dual_cndmask_b32 v1, 0, v1
	v_cmp_nlt_f32_e32 vcc_lo, 0x42b17218, v4
	s_delay_alu instid0(VALU_DEP_4) | instskip(SKIP_1) | instid1(VALU_DEP_4)
	v_ldexp_f32 v2, v3, v2
	v_fma_f32 v16, 0x3fb8aa3b, v14, -v20
	v_exp_f32_e32 v3, v6
	v_cvt_i32_f32_e32 v4, v18
	v_cndmask_b32_e32 v1, 0x7f800000, v1, vcc_lo
	v_cmp_ngt_f32_e32 vcc_lo, 0xc2ce8ed0, v5
	v_fmac_f32_e32 v16, 0x32a5705f, v14
	s_delay_alu instid0(VALU_DEP_3) | instskip(SKIP_2) | instid1(TRANS32_DEP_1)
	v_add_f32_e32 v0, v0, v1
	v_cndmask_b32_e32 v2, 0, v2, vcc_lo
	v_cmp_nlt_f32_e32 vcc_lo, 0x42b17218, v5
	v_ldexp_f32 v1, v3, v4
	v_sub_f32_e32 v4, v12, v13
	v_mul_f32_e32 v12, 0x3fb8aa3b, v8
	v_cndmask_b32_e32 v2, 0x7f800000, v2, vcc_lo
	v_cmp_ngt_f32_e32 vcc_lo, 0xc2ce8ed0, v15
	s_delay_alu instid0(VALU_DEP_2) | instskip(SKIP_4) | instid1(VALU_DEP_4)
	v_dual_mul_f32 v5, 0x3fb8aa3b, v4 :: v_dual_add_f32 v0, v0, v2
	v_cndmask_b32_e32 v1, 0, v1, vcc_lo
	v_cmp_nlt_f32_e32 vcc_lo, 0x42b17218, v15
	v_cvt_i32_f32_e32 v2, v17
	v_mul_f32_e32 v15, 0x3fb8aa3b, v7
	v_cndmask_b32_e32 v1, 0x7f800000, v1, vcc_lo
	v_cmp_ngt_f32_e32 vcc_lo, 0xc2ce8ed0, v14
	s_delay_alu instid0(VALU_DEP_2) | instskip(SKIP_1) | instid1(VALU_DEP_1)
	v_add_f32_e32 v0, v0, v1
	v_fma_f32 v1, 0x3fb8aa3b, v4, -v5
	v_dual_sub_f32 v6, v20, v17 :: v_dual_fmac_f32 v1, 0x32a5705f, v4
	s_delay_alu instid0(VALU_DEP_1) | instskip(SKIP_1) | instid1(VALU_DEP_2)
	v_add_f32_e32 v6, v6, v16
	v_rndne_f32_e32 v16, v15
	v_exp_f32_e32 v3, v6
	v_sub_f32_e32 v6, v9, v13
	v_fma_f32 v13, 0x3fb8aa3b, v8, -v12
	s_delay_alu instid0(VALU_DEP_1) | instskip(NEXT) | instid1(VALU_DEP_3)
	v_fmac_f32_e32 v13, 0x32a5705f, v8
	v_mul_f32_e32 v9, 0x3fb8aa3b, v6
	s_waitcnt_depctr 0xfff
	v_ldexp_f32 v2, v3, v2
	v_rndne_f32_e32 v3, v5
	s_delay_alu instid0(VALU_DEP_2) | instskip(SKIP_1) | instid1(VALU_DEP_3)
	v_cndmask_b32_e32 v2, 0, v2, vcc_lo
	v_cmp_nlt_f32_e32 vcc_lo, 0x42b17218, v14
	v_sub_f32_e32 v5, v5, v3
	v_cvt_i32_f32_e32 v3, v3
	v_rndne_f32_e32 v14, v12
	s_delay_alu instid0(VALU_DEP_3) | instskip(SKIP_2) | instid1(VALU_DEP_3)
	v_dual_cndmask_b32 v2, 0x7f800000, v2 :: v_dual_add_f32 v1, v5, v1
	v_rndne_f32_e32 v5, v9
	v_cmp_ngt_f32_e32 vcc_lo, 0xc2ce8ed0, v4
	v_add_f32_e32 v0, v0, v2
	v_fma_f32 v2, 0x3fb8aa3b, v6, -v9
	v_exp_f32_e32 v1, v1
	s_delay_alu instid0(VALU_DEP_1) | instskip(SKIP_1) | instid1(VALU_DEP_2)
	v_dual_fmac_f32 v2, 0x32a5705f, v6 :: v_dual_sub_f32 v9, v9, v5
	v_cvt_i32_f32_e32 v5, v5
	v_add_f32_e32 v2, v9, v2
	s_waitcnt_depctr 0xfff
	v_ldexp_f32 v1, v1, v3
	v_sub_f32_e32 v9, v12, v14
	v_fma_f32 v12, 0x3fb8aa3b, v7, -v15
	v_exp_f32_e32 v2, v2
	s_delay_alu instid0(VALU_DEP_3) | instskip(SKIP_1) | instid1(VALU_DEP_3)
	v_cndmask_b32_e32 v1, 0, v1, vcc_lo
	v_cmp_nlt_f32_e32 vcc_lo, 0x42b17218, v4
	v_fmac_f32_e32 v12, 0x32a5705f, v7
	v_cvt_i32_f32_e32 v4, v14
	s_delay_alu instid0(VALU_DEP_4) | instskip(SKIP_1) | instid1(TRANS32_DEP_1)
	v_cndmask_b32_e32 v1, 0x7f800000, v1, vcc_lo
	v_cmp_ngt_f32_e32 vcc_lo, 0xc2ce8ed0, v6
	v_ldexp_f32 v2, v2, v5
	v_add_f32_e32 v3, v9, v13
	s_delay_alu instid0(VALU_DEP_4) | instskip(NEXT) | instid1(VALU_DEP_3)
	v_dual_sub_f32 v9, v15, v16 :: v_dual_add_f32 v0, v0, v1
	v_cndmask_b32_e32 v2, 0, v2, vcc_lo
	s_delay_alu instid0(VALU_DEP_3) | instskip(NEXT) | instid1(VALU_DEP_2)
	v_exp_f32_e32 v3, v3
	v_add_f32_e32 v9, v9, v12
	v_cmp_nlt_f32_e32 vcc_lo, 0x42b17218, v6
	s_delay_alu instid0(VALU_DEP_2)
	v_exp_f32_e32 v5, v9
	v_cndmask_b32_e32 v2, 0x7f800000, v2, vcc_lo
	v_cmp_ngt_f32_e32 vcc_lo, 0xc2ce8ed0, v8
	s_waitcnt_depctr 0xfff
	v_ldexp_f32 v1, v3, v4
	v_cvt_i32_f32_e32 v3, v16
	s_delay_alu instid0(VALU_DEP_2) | instskip(SKIP_1) | instid1(VALU_DEP_3)
	v_dual_add_f32 v0, v0, v2 :: v_dual_cndmask_b32 v1, 0, v1
	v_cmp_nlt_f32_e32 vcc_lo, 0x42b17218, v8
	v_ldexp_f32 v3, v5, v3
	s_delay_alu instid0(VALU_DEP_3) | instskip(SKIP_1) | instid1(VALU_DEP_3)
	v_cndmask_b32_e32 v1, 0x7f800000, v1, vcc_lo
	v_cmp_ngt_f32_e32 vcc_lo, 0xc2ce8ed0, v7
	v_cndmask_b32_e32 v2, 0, v3, vcc_lo
	v_cmp_nlt_f32_e32 vcc_lo, 0x42b17218, v7
	s_delay_alu instid0(VALU_DEP_2) | instskip(NEXT) | instid1(VALU_DEP_1)
	v_dual_add_f32 v0, v0, v1 :: v_dual_cndmask_b32 v1, 0x7f800000, v2
	v_add_f32_e32 v0, v0, v1
	s_delay_alu instid0(VALU_DEP_1) | instskip(NEXT) | instid1(VALU_DEP_1)
	v_mov_b32_dpp v1, v0 quad_perm:[1,0,3,2] row_mask:0xf bank_mask:0xf
	v_add_f32_e32 v0, v0, v1
	s_delay_alu instid0(VALU_DEP_1) | instskip(NEXT) | instid1(VALU_DEP_1)
	v_mov_b32_dpp v1, v0 quad_perm:[2,3,0,1] row_mask:0xf bank_mask:0xf
	v_add_f32_e32 v0, v0, v1
	s_delay_alu instid0(VALU_DEP_1) | instskip(NEXT) | instid1(VALU_DEP_1)
	v_mov_b32_dpp v1, v0 row_half_mirror row_mask:0xf bank_mask:0xf
	v_add_f32_e32 v0, v0, v1
	s_delay_alu instid0(VALU_DEP_1)
	v_mov_b32_dpp v1, v0 row_mirror row_mask:0xf bank_mask:0xf
	s_and_b32 exec_lo, exec_lo, s2
	s_cbranch_execz .LBB189_23
; %bb.19:
	s_delay_alu instid0(VALU_DEP_1) | instskip(NEXT) | instid1(VALU_DEP_1)
	v_add_f32_e32 v0, v0, v1
	v_add_f32_e32 v0, v11, v0
	s_delay_alu instid0(VALU_DEP_1)
	v_cmp_neq_f32_e32 vcc_lo, 0, v0
	s_and_b32 exec_lo, exec_lo, vcc_lo
	s_cbranch_execz .LBB189_23
; %bb.20:
	s_and_not1_b32 vcc_lo, exec_lo, s15
	s_cbranch_vccnz .LBB189_23
; %bb.21:
	v_div_scale_f32 v2, null, v0, v0, 1.0
	v_div_scale_f32 v4, vcc_lo, 1.0, v0, 1.0
	s_delay_alu instid0(VALU_DEP_2) | instskip(SKIP_2) | instid1(VALU_DEP_1)
	v_rcp_f32_e32 v3, v2
	s_waitcnt_depctr 0xfff
	v_fma_f32 v1, -v2, v3, 1.0
	v_fmac_f32_e32 v3, v1, v3
	v_mul_lo_u32 v1, v10, s11
	s_delay_alu instid0(VALU_DEP_2) | instskip(NEXT) | instid1(VALU_DEP_1)
	v_mul_f32_e32 v5, v4, v3
	v_fma_f32 v6, -v2, v5, v4
	s_delay_alu instid0(VALU_DEP_1) | instskip(NEXT) | instid1(VALU_DEP_1)
	v_fmac_f32_e32 v5, v6, v3
	v_fma_f32 v4, -v2, v5, v4
	v_ashrrev_i32_e32 v2, 31, v1
	s_delay_alu instid0(VALU_DEP_2) | instskip(NEXT) | instid1(VALU_DEP_2)
	v_div_fmas_f32 v5, v4, v3, v5
	v_lshlrev_b64 v[3:4], 2, v[1:2]
	s_delay_alu instid0(VALU_DEP_2) | instskip(NEXT) | instid1(VALU_DEP_2)
	v_div_fixup_f32 v2, v5, v0, 1.0
	v_add_co_u32 v0, vcc_lo, s12, v3
	s_delay_alu instid0(VALU_DEP_3)
	v_add_co_ci_u32_e32 v1, vcc_lo, s13, v4, vcc_lo
.LBB189_22:                             ; =>This Inner Loop Header: Depth=1
	global_load_b32 v3, v[0:1], off
	s_add_i32 s8, s8, -1
	s_delay_alu instid0(SALU_CYCLE_1)
	s_cmp_lg_u32 s8, 0
	s_waitcnt vmcnt(0)
	v_mul_f32_e32 v3, v2, v3
	global_store_b32 v[0:1], v3, off
	v_add_co_u32 v0, vcc_lo, v0, 4
	v_add_co_ci_u32_e32 v1, vcc_lo, 0, v1, vcc_lo
	s_cbranch_scc1 .LBB189_22
.LBB189_23:
	s_nop 0
	s_sendmsg sendmsg(MSG_DEALLOC_VGPRS)
	s_endpgm
	.section	.rodata,"a",@progbits
	.p2align	6, 0x0
	.amdhsa_kernel _ZN4vllm3moe17topkGatingSoftmaxIDF16_Li16ELi256ELi8ELi32ELb0ELi1ELNS0_23SharedExpertScoringFuncE1EEEvPKT_PKbPfiPiS9_iiiiii
		.amdhsa_group_segment_fixed_size 0
		.amdhsa_private_segment_fixed_size 0
		.amdhsa_kernarg_size 72
		.amdhsa_user_sgpr_count 15
		.amdhsa_user_sgpr_dispatch_ptr 0
		.amdhsa_user_sgpr_queue_ptr 0
		.amdhsa_user_sgpr_kernarg_segment_ptr 1
		.amdhsa_user_sgpr_dispatch_id 0
		.amdhsa_user_sgpr_private_segment_size 0
		.amdhsa_wavefront_size32 1
		.amdhsa_uses_dynamic_stack 0
		.amdhsa_enable_private_segment 0
		.amdhsa_system_sgpr_workgroup_id_x 1
		.amdhsa_system_sgpr_workgroup_id_y 0
		.amdhsa_system_sgpr_workgroup_id_z 0
		.amdhsa_system_sgpr_workgroup_info 0
		.amdhsa_system_vgpr_workitem_id 1
		.amdhsa_next_free_vgpr 53
		.amdhsa_next_free_sgpr 19
		.amdhsa_reserve_vcc 1
		.amdhsa_float_round_mode_32 0
		.amdhsa_float_round_mode_16_64 0
		.amdhsa_float_denorm_mode_32 3
		.amdhsa_float_denorm_mode_16_64 3
		.amdhsa_dx10_clamp 1
		.amdhsa_ieee_mode 1
		.amdhsa_fp16_overflow 0
		.amdhsa_workgroup_processor_mode 1
		.amdhsa_memory_ordered 1
		.amdhsa_forward_progress 0
		.amdhsa_shared_vgpr_count 0
		.amdhsa_exception_fp_ieee_invalid_op 0
		.amdhsa_exception_fp_denorm_src 0
		.amdhsa_exception_fp_ieee_div_zero 0
		.amdhsa_exception_fp_ieee_overflow 0
		.amdhsa_exception_fp_ieee_underflow 0
		.amdhsa_exception_fp_ieee_inexact 0
		.amdhsa_exception_int_div_zero 0
	.end_amdhsa_kernel
	.section	.text._ZN4vllm3moe17topkGatingSoftmaxIDF16_Li16ELi256ELi8ELi32ELb0ELi1ELNS0_23SharedExpertScoringFuncE1EEEvPKT_PKbPfiPiS9_iiiiii,"axG",@progbits,_ZN4vllm3moe17topkGatingSoftmaxIDF16_Li16ELi256ELi8ELi32ELb0ELi1ELNS0_23SharedExpertScoringFuncE1EEEvPKT_PKbPfiPiS9_iiiiii,comdat
.Lfunc_end189:
	.size	_ZN4vllm3moe17topkGatingSoftmaxIDF16_Li16ELi256ELi8ELi32ELb0ELi1ELNS0_23SharedExpertScoringFuncE1EEEvPKT_PKbPfiPiS9_iiiiii, .Lfunc_end189-_ZN4vllm3moe17topkGatingSoftmaxIDF16_Li16ELi256ELi8ELi32ELb0ELi1ELNS0_23SharedExpertScoringFuncE1EEEvPKT_PKbPfiPiS9_iiiiii
                                        ; -- End function
	.section	.AMDGPU.csdata,"",@progbits
; Kernel info:
; codeLenInByte = 4996
; NumSgprs: 21
; NumVgprs: 53
; ScratchSize: 0
; MemoryBound: 0
; FloatMode: 240
; IeeeMode: 1
; LDSByteSize: 0 bytes/workgroup (compile time only)
; SGPRBlocks: 2
; VGPRBlocks: 6
; NumSGPRsForWavesPerEU: 21
; NumVGPRsForWavesPerEU: 53
; Occupancy: 16
; WaveLimiterHint : 0
; COMPUTE_PGM_RSRC2:SCRATCH_EN: 0
; COMPUTE_PGM_RSRC2:USER_SGPR: 15
; COMPUTE_PGM_RSRC2:TRAP_HANDLER: 0
; COMPUTE_PGM_RSRC2:TGID_X_EN: 1
; COMPUTE_PGM_RSRC2:TGID_Y_EN: 0
; COMPUTE_PGM_RSRC2:TGID_Z_EN: 0
; COMPUTE_PGM_RSRC2:TIDIG_COMP_CNT: 1
	.section	.text._ZN4vllm3moe17topkGatingSoftmaxIDF16_Li16ELi256ELi8ELi32ELb1ELi2ELNS0_23SharedExpertScoringFuncE1EEEvPKT_PKbPfiPiS9_iiiiii,"axG",@progbits,_ZN4vllm3moe17topkGatingSoftmaxIDF16_Li16ELi256ELi8ELi32ELb1ELi2ELNS0_23SharedExpertScoringFuncE1EEEvPKT_PKbPfiPiS9_iiiiii,comdat
	.protected	_ZN4vllm3moe17topkGatingSoftmaxIDF16_Li16ELi256ELi8ELi32ELb1ELi2ELNS0_23SharedExpertScoringFuncE1EEEvPKT_PKbPfiPiS9_iiiiii ; -- Begin function _ZN4vllm3moe17topkGatingSoftmaxIDF16_Li16ELi256ELi8ELi32ELb1ELi2ELNS0_23SharedExpertScoringFuncE1EEEvPKT_PKbPfiPiS9_iiiiii
	.globl	_ZN4vllm3moe17topkGatingSoftmaxIDF16_Li16ELi256ELi8ELi32ELb1ELi2ELNS0_23SharedExpertScoringFuncE1EEEvPKT_PKbPfiPiS9_iiiiii
	.p2align	8
	.type	_ZN4vllm3moe17topkGatingSoftmaxIDF16_Li16ELi256ELi8ELi32ELb1ELi2ELNS0_23SharedExpertScoringFuncE1EEEvPKT_PKbPfiPiS9_iiiiii,@function
_ZN4vllm3moe17topkGatingSoftmaxIDF16_Li16ELi256ELi8ELi32ELb1ELi2ELNS0_23SharedExpertScoringFuncE1EEEvPKT_PKbPfiPiS9_iiiiii: ; @_ZN4vllm3moe17topkGatingSoftmaxIDF16_Li16ELi256ELi8ELi32ELb1ELi2ELNS0_23SharedExpertScoringFuncE1EEEvPKT_PKbPfiPiS9_iiiiii
; %bb.0:
	s_load_b32 s16, s[0:1], 0x18
	v_bfe_u32 v1, v0, 10, 10
	v_and_b32_e32 v0, 0x3ff, v0
	s_lshl_b32 s18, s15, 4
	s_mov_b32 s2, exec_lo
	s_delay_alu instid0(VALU_DEP_2) | instskip(NEXT) | instid1(VALU_DEP_2)
	v_lshlrev_b32_e32 v42, 1, v1
	v_lshrrev_b32_e32 v43, 4, v0
	s_delay_alu instid0(VALU_DEP_1) | instskip(SKIP_1) | instid1(VALU_DEP_1)
	v_add3_u32 v8, s18, v42, v43
	s_waitcnt lgkmcnt(0)
	v_cmpx_gt_i32_e64 s16, v8
	s_cbranch_execz .LBB190_22
; %bb.1:
	s_clause 0x1
	s_load_b128 s[4:7], s[0:1], 0x0
	s_load_b64 s[12:13], s[0:1], 0x10
	s_waitcnt lgkmcnt(0)
	s_cmp_eq_u64 s[6:7], 0
	s_cbranch_scc1 .LBB190_3
; %bb.2:
	v_ashrrev_i32_e32 v2, 31, v8
	v_add_co_u32 v1, vcc_lo, s6, v8
	s_delay_alu instid0(VALU_DEP_2) | instskip(SKIP_3) | instid1(VALU_DEP_1)
	v_add_co_ci_u32_e32 v2, vcc_lo, s7, v2, vcc_lo
	global_load_u8 v1, v[1:2], off
	s_waitcnt vmcnt(0)
	v_and_b32_e32 v1, 1, v1
	v_cmp_eq_u32_e32 vcc_lo, 1, v1
	s_xor_b32 s2, vcc_lo, -1
	s_delay_alu instid0(SALU_CYCLE_1)
	s_or_not1_b32 s17, s2, exec_lo
	s_branch .LBB190_4
.LBB190_3:
	s_mov_b32 s17, -1
.LBB190_4:
	s_load_b64 s[14:15], s[0:1], 0x40
	v_and_b32_e32 v9, 15, v0
	s_mov_b32 s2, exec_lo
	s_delay_alu instid0(VALU_DEP_1) | instskip(SKIP_2) | instid1(VALU_DEP_1)
	v_dual_mov_b32 v11, 0 :: v_dual_lshlrev_b32 v10, 4, v9
	s_waitcnt lgkmcnt(0)
	v_mul_lo_u32 v1, v8, s15
	v_ashrrev_i32_e32 v2, 31, v1
	s_delay_alu instid0(VALU_DEP_1) | instskip(SKIP_1) | instid1(VALU_DEP_2)
	v_lshlrev_b64 v[0:1], 1, v[1:2]
	v_lshlrev_b32_e32 v2, 5, v9
	v_add_co_u32 v12, vcc_lo, s4, v0
	s_delay_alu instid0(VALU_DEP_3) | instskip(SKIP_1) | instid1(VALU_DEP_2)
	v_add_co_ci_u32_e32 v13, vcc_lo, s5, v1, vcc_lo
	s_load_b128 s[4:7], s[0:1], 0x30
	v_add_co_u32 v4, vcc_lo, v12, v2
	s_delay_alu instid0(VALU_DEP_2)
	v_add_co_ci_u32_e32 v5, vcc_lo, 0, v13, vcc_lo
	s_clause 0x1
	global_load_b128 v[0:3], v[4:5], off offset:16
	global_load_b128 v[4:7], v[4:5], off
	v_cmpx_gt_u32_e32 2, v9
	s_cbranch_execz .LBB190_6
; %bb.5:
	v_lshlrev_b32_e32 v14, 1, v9
	s_mov_b32 s3, 0x3fb8aa3b
	s_delay_alu instid0(VALU_DEP_1) | instskip(SKIP_4) | instid1(VALU_DEP_1)
	v_add_co_u32 v12, vcc_lo, v12, v14
	v_add_co_ci_u32_e32 v13, vcc_lo, 0, v13, vcc_lo
	global_load_u16 v12, v[12:13], off offset:512
	s_waitcnt vmcnt(0)
	v_cvt_f32_f16_e64 v13, -v12
	v_mul_f32_e32 v14, 0x3fb8aa3b, v13
	v_cmp_ngt_f32_e32 vcc_lo, 0xc2ce8ed0, v13
	s_delay_alu instid0(VALU_DEP_2)
	v_fma_mix_f32 v15, -v12, s3, -v14 op_sel_hi:[1,0,0]
	v_rndne_f32_e32 v16, v14
	s_mov_b32 s3, 0x32a5705f
	s_delay_alu instid0(VALU_DEP_2) | instid1(SALU_CYCLE_1)
	v_fma_mix_f32 v12, -v12, s3, v15 op_sel_hi:[1,0,0]
	s_delay_alu instid0(VALU_DEP_2) | instskip(NEXT) | instid1(VALU_DEP_1)
	v_sub_f32_e32 v14, v14, v16
	v_add_f32_e32 v12, v14, v12
	v_cvt_i32_f32_e32 v14, v16
	s_delay_alu instid0(VALU_DEP_2) | instskip(SKIP_2) | instid1(VALU_DEP_1)
	v_exp_f32_e32 v12, v12
	s_waitcnt_depctr 0xfff
	v_ldexp_f32 v12, v12, v14
	v_cndmask_b32_e32 v12, 0, v12, vcc_lo
	v_cmp_nlt_f32_e32 vcc_lo, 0x42b17218, v13
	s_delay_alu instid0(VALU_DEP_2) | instskip(NEXT) | instid1(VALU_DEP_1)
	v_cndmask_b32_e32 v12, 0x7f800000, v12, vcc_lo
	v_add_f32_e32 v14, 1.0, v12
	s_delay_alu instid0(VALU_DEP_1) | instskip(SKIP_1) | instid1(VALU_DEP_2)
	v_div_scale_f32 v13, null, v14, v14, 1.0
	v_div_scale_f32 v16, vcc_lo, 1.0, v14, 1.0
	v_rcp_f32_e32 v15, v13
	s_waitcnt_depctr 0xfff
	v_fma_f32 v12, -v13, v15, 1.0
	s_delay_alu instid0(VALU_DEP_1) | instskip(SKIP_2) | instid1(VALU_DEP_2)
	v_fmac_f32_e32 v15, v12, v15
	s_waitcnt lgkmcnt(0)
	v_mul_lo_u32 v12, v8, s7
	v_mul_f32_e32 v17, v16, v15
	s_delay_alu instid0(VALU_DEP_2) | instskip(NEXT) | instid1(VALU_DEP_2)
	v_add3_u32 v12, v12, s4, v9
	v_fma_f32 v18, -v13, v17, v16
	s_delay_alu instid0(VALU_DEP_1) | instskip(NEXT) | instid1(VALU_DEP_1)
	v_fmac_f32_e32 v17, v18, v15
	v_fma_f32 v16, -v13, v17, v16
	s_delay_alu instid0(VALU_DEP_4) | instskip(NEXT) | instid1(VALU_DEP_2)
	v_ashrrev_i32_e32 v13, 31, v12
	v_div_fmas_f32 v15, v16, v15, v17
	s_delay_alu instid0(VALU_DEP_2) | instskip(NEXT) | instid1(VALU_DEP_2)
	v_lshlrev_b64 v[12:13], 2, v[12:13]
	v_div_fixup_f32 v14, v15, v14, 1.0
	s_delay_alu instid0(VALU_DEP_2) | instskip(NEXT) | instid1(VALU_DEP_3)
	v_add_co_u32 v12, vcc_lo, s12, v12
	v_add_co_ci_u32_e32 v13, vcc_lo, s13, v13, vcc_lo
	global_store_b32 v[12:13], v14, off
.LBB190_6:
	s_or_b32 exec_lo, exec_lo, s2
	s_waitcnt vmcnt(0)
	v_lshrrev_b32_e32 v15, 16, v4
	v_cvt_f32_f16_e32 v12, v4
	v_or_b32_e32 v13, 1, v10
	v_or_b32_e32 v16, 2, v10
	v_cvt_f32_f16_e32 v19, v6
	v_cvt_f32_f16_e32 v14, v15
	v_cmp_lt_f16_e32 vcc_lo, v4, v15
	v_cvt_f32_f16_e32 v15, v5
	v_lshrrev_b32_e32 v5, 16, v5
	v_lshrrev_b32_e32 v6, 16, v6
	v_or_b32_e32 v20, 4, v10
	v_cndmask_b32_e32 v4, v10, v13, vcc_lo
	v_cvt_f32_f16_e32 v23, v7
	v_cvt_f32_f16_e32 v17, v5
	v_cndmask_b32_e32 v18, v12, v14, vcc_lo
	v_cvt_f32_f16_e32 v21, v6
	v_or_b32_e32 v22, 5, v10
	v_lshrrev_b32_e32 v6, 16, v7
	v_or_b32_e32 v7, 6, v10
	v_cmp_lt_f32_e32 vcc_lo, v18, v15
	v_cvt_f32_f16_e32 v30, v1
	v_lshrrev_b32_e32 v1, 16, v1
	v_cvt_f32_f16_e32 v24, v6
	v_or_b32_e32 v25, 7, v10
	v_dual_cndmask_b32 v4, v4, v16 :: v_dual_cndmask_b32 v5, v18, v15
	v_or_b32_e32 v18, 3, v10
	v_cvt_f32_f16_e32 v32, v1
	v_cvt_f32_f16_e32 v26, v0
	v_lshrrev_b32_e32 v0, 16, v0
	v_cmp_lt_f32_e32 vcc_lo, v5, v17
	v_or_b32_e32 v27, 8, v10
	v_cvt_f32_f16_e32 v34, v2
	v_lshrrev_b32_e32 v2, 16, v2
	v_cvt_f32_f16_e32 v28, v0
	v_dual_cndmask_b32 v5, v5, v17 :: v_dual_cndmask_b32 v4, v4, v18
	v_or_b32_e32 v29, 9, v10
	s_delay_alu instid0(VALU_DEP_4) | instskip(SKIP_1) | instid1(VALU_DEP_4)
	v_cvt_f32_f16_e32 v36, v2
	v_cvt_f32_f16_e32 v38, v3
	v_cmp_lt_f32_e32 vcc_lo, v5, v19
	v_or_b32_e32 v31, 10, v10
	v_lshrrev_b32_e32 v2, 16, v3
	v_or_b32_e32 v33, 11, v10
	v_or_b32_e32 v35, 12, v10
	v_dual_cndmask_b32 v5, v5, v19 :: v_dual_cndmask_b32 v4, v4, v20
	s_delay_alu instid0(VALU_DEP_4) | instskip(SKIP_2) | instid1(VALU_DEP_4)
	v_cvt_f32_f16_e32 v40, v2
	v_or_b32_e32 v37, 13, v10
	v_or_b32_e32 v39, 14, v10
	v_cmp_lt_f32_e32 vcc_lo, v5, v21
	v_or_b32_e32 v41, 15, v10
	v_dual_cndmask_b32 v5, v5, v21 :: v_dual_cndmask_b32 v4, v4, v22
	s_delay_alu instid0(VALU_DEP_1) | instskip(SKIP_1) | instid1(VALU_DEP_3)
	v_cmp_lt_f32_e32 vcc_lo, v5, v23
	v_cndmask_b32_e32 v5, v5, v23, vcc_lo
	v_cndmask_b32_e32 v4, v4, v7, vcc_lo
	s_delay_alu instid0(VALU_DEP_2) | instskip(NEXT) | instid1(VALU_DEP_2)
	v_cmp_lt_f32_e32 vcc_lo, v5, v24
	v_dual_cndmask_b32 v5, v5, v24 :: v_dual_cndmask_b32 v4, v4, v25
	s_delay_alu instid0(VALU_DEP_1) | instskip(NEXT) | instid1(VALU_DEP_2)
	v_cmp_lt_f32_e32 vcc_lo, v5, v26
	v_cndmask_b32_e32 v0, v4, v27, vcc_lo
	v_cndmask_b32_e32 v4, v5, v26, vcc_lo
	s_delay_alu instid0(VALU_DEP_1) | instskip(SKIP_1) | instid1(VALU_DEP_4)
	v_cmp_lt_f32_e32 vcc_lo, v4, v28
	v_cndmask_b32_e32 v4, v4, v28, vcc_lo
	v_cndmask_b32_e32 v0, v0, v29, vcc_lo
	s_delay_alu instid0(VALU_DEP_2) | instskip(SKIP_1) | instid1(VALU_DEP_3)
	v_cmp_lt_f32_e32 vcc_lo, v4, v30
	v_cndmask_b32_e32 v1, v4, v30, vcc_lo
	v_cndmask_b32_e32 v0, v0, v31, vcc_lo
	s_delay_alu instid0(VALU_DEP_2) | instskip(NEXT) | instid1(VALU_DEP_2)
	v_cmp_lt_f32_e32 vcc_lo, v1, v32
	v_dual_cndmask_b32 v1, v1, v32 :: v_dual_cndmask_b32 v0, v0, v33
	s_delay_alu instid0(VALU_DEP_1) | instskip(NEXT) | instid1(VALU_DEP_2)
	v_cmp_lt_f32_e32 vcc_lo, v1, v34
	v_dual_cndmask_b32 v1, v1, v34 :: v_dual_cndmask_b32 v0, v0, v35
	s_delay_alu instid0(VALU_DEP_1) | instskip(NEXT) | instid1(VALU_DEP_2)
	;; [unrolled: 3-line block ×5, first 2 shown]
	v_mov_b32_dpp v2, v0 quad_perm:[1,0,3,2] row_mask:0xf bank_mask:0xf
	v_mov_b32_dpp v3, v1 quad_perm:[1,0,3,2] row_mask:0xf bank_mask:0xf
	s_delay_alu instid0(VALU_DEP_2) | instskip(NEXT) | instid1(VALU_DEP_2)
	v_cmp_lt_i32_e32 vcc_lo, v2, v0
	v_cmp_eq_f32_e64 s2, v1, v3
	v_cmp_lt_f32_e64 s3, v1, v3
	s_delay_alu instid0(VALU_DEP_2)
	s_and_b32 s2, s2, vcc_lo
	s_delay_alu instid0(VALU_DEP_1) | instid1(SALU_CYCLE_1)
	s_or_b32 vcc_lo, s3, s2
	v_dual_cndmask_b32 v1, v1, v3 :: v_dual_cndmask_b32 v0, v0, v2
	s_delay_alu instid0(VALU_DEP_1) | instskip(NEXT) | instid1(VALU_DEP_2)
	v_mov_b32_dpp v2, v1 quad_perm:[2,3,0,1] row_mask:0xf bank_mask:0xf
	v_mov_b32_dpp v3, v0 quad_perm:[2,3,0,1] row_mask:0xf bank_mask:0xf
	s_delay_alu instid0(VALU_DEP_2) | instskip(NEXT) | instid1(VALU_DEP_2)
	v_cmp_eq_f32_e32 vcc_lo, v1, v2
	v_cmp_lt_i32_e64 s2, v3, v0
	v_cmp_lt_f32_e64 s3, v1, v2
	s_delay_alu instid0(VALU_DEP_2)
	s_and_b32 s2, vcc_lo, s2
	s_delay_alu instid0(VALU_DEP_1) | instid1(SALU_CYCLE_1)
	s_or_b32 vcc_lo, s3, s2
	v_dual_cndmask_b32 v1, v1, v2 :: v_dual_cndmask_b32 v0, v0, v3
	s_delay_alu instid0(VALU_DEP_1) | instskip(NEXT) | instid1(VALU_DEP_2)
	v_mov_b32_dpp v2, v1 row_half_mirror row_mask:0xf bank_mask:0xf
	v_mov_b32_dpp v3, v0 row_half_mirror row_mask:0xf bank_mask:0xf
	s_delay_alu instid0(VALU_DEP_2) | instskip(NEXT) | instid1(VALU_DEP_2)
	v_cmp_eq_f32_e32 vcc_lo, v1, v2
	v_cmp_lt_i32_e64 s2, v3, v0
	v_cmp_lt_f32_e64 s3, v1, v2
	s_delay_alu instid0(VALU_DEP_2)
	s_and_b32 s2, vcc_lo, s2
	s_delay_alu instid0(VALU_DEP_1) | instid1(SALU_CYCLE_1)
	s_or_b32 vcc_lo, s3, s2
	s_waitcnt lgkmcnt(0)
	s_cmp_gt_i32 s4, 0
	v_cndmask_b32_e32 v2, v1, v2, vcc_lo
	v_cndmask_b32_e32 v0, v0, v3, vcc_lo
	v_cmp_eq_u32_e32 vcc_lo, 0, v9
	s_cselect_b32 s3, -1, 0
	s_cmp_lt_i32 s4, 1
	v_mov_b32_dpp v4, v2 row_mirror row_mask:0xf bank_mask:0xf
	v_mov_b32_dpp v6, v0 row_mirror row_mask:0xf bank_mask:0xf
	s_cbranch_scc1 .LBB190_18
; %bb.7:
	s_load_b128 s[8:11], s[0:1], 0x20
	s_delay_alu instid0(VALU_DEP_2) | instskip(NEXT) | instid1(VALU_DEP_2)
	v_cmp_eq_f32_e64 s0, v2, v4
	v_cmp_lt_i32_e64 s1, v6, v0
	v_cmp_lt_f32_e64 s2, v2, v4
	v_mul_lo_u32 v1, v8, s7
	v_mul_lo_u32 v3, v8, s14
	;; [unrolled: 1-line block ×3, first 2 shown]
	s_and_b32 s0, s0, s1
	v_mov_b32_e32 v11, 0
	s_or_b32 s0, s2, s0
	s_delay_alu instid0(SALU_CYCLE_1)
	v_cndmask_b32_e64 v0, v0, v6, s0
	v_cndmask_b32_e64 v44, v2, v4, s0
	s_and_saveexec_b32 s2, vcc_lo
	s_cbranch_execz .LBB190_9
; %bb.8:
	s_delay_alu instid0(VALU_DEP_1)
	v_sub_f32_e32 v11, v44, v44
	v_cmp_le_i32_e64 s0, s5, v0
	v_cmp_gt_i32_e64 s1, s6, v0
	v_subrev_nc_u32_e32 v51, s5, v0
	v_ashrrev_i32_e32 v6, 31, v5
	v_mul_f32_e32 v2, 0x3fb8aa3b, v11
	s_delay_alu instid0(VALU_DEP_4) | instskip(NEXT) | instid1(SALU_CYCLE_1)
	s_and_b32 s0, s0, s1
	s_and_b32 s0, s17, s0
	s_delay_alu instid0(VALU_DEP_1) | instskip(SKIP_2) | instid1(VALU_DEP_3)
	v_rndne_f32_e32 v47, v2
	v_fma_f32 v4, 0x3fb8aa3b, v11, -v2
	v_lshlrev_b64 v[49:50], 2, v[5:6]
	v_sub_f32_e32 v2, v2, v47
	s_delay_alu instid0(VALU_DEP_3) | instskip(NEXT) | instid1(VALU_DEP_1)
	v_fmamk_f32 v4, v11, 0x32a5705f, v4
	v_add_f32_e32 v4, v2, v4
	v_ashrrev_i32_e32 v2, 31, v1
	s_delay_alu instid0(VALU_DEP_2) | instskip(NEXT) | instid1(VALU_DEP_1)
	v_exp_f32_e32 v52, v4
	v_lshlrev_b64 v[45:46], 2, v[1:2]
	v_ashrrev_i32_e32 v4, 31, v3
	v_cvt_i32_f32_e32 v2, v47
	s_delay_alu instid0(VALU_DEP_2) | instskip(SKIP_2) | instid1(VALU_DEP_1)
	v_lshlrev_b64 v[47:48], 2, v[3:4]
	v_cndmask_b32_e64 v4, 0x100, v51, s0
	v_add_co_u32 v45, s0, s12, v45
	v_add_co_ci_u32_e64 v46, s0, s13, v46, s0
	s_delay_alu instid0(TRANS32_DEP_1) | instskip(SKIP_1) | instid1(VALU_DEP_1)
	v_ldexp_f32 v2, v52, v2
	v_cmp_ngt_f32_e64 s0, 0xc2ce8ed0, v11
	v_cndmask_b32_e64 v2, 0, v2, s0
	s_waitcnt lgkmcnt(0)
	v_add_co_u32 v47, s0, s8, v47
	s_delay_alu instid0(VALU_DEP_1) | instskip(SKIP_1) | instid1(VALU_DEP_1)
	v_add_co_ci_u32_e64 v48, s0, s9, v48, s0
	v_cmp_nlt_f32_e64 s0, 0x42b17218, v11
	v_cndmask_b32_e64 v11, 0x7f800000, v2, s0
	v_add_co_u32 v49, s0, s10, v49
	s_delay_alu instid0(VALU_DEP_1)
	v_add_co_ci_u32_e64 v50, s0, s11, v50, s0
	global_store_b32 v[47:48], v4, off
	global_store_b32 v[45:46], v11, off
	;; [unrolled: 1-line block ×3, first 2 shown]
.LBB190_9:
	s_or_b32 exec_lo, exec_lo, s2
	v_ashrrev_i32_e32 v4, 31, v0
	s_mov_b32 s1, exec_lo
	s_delay_alu instid0(VALU_DEP_1) | instskip(NEXT) | instid1(VALU_DEP_1)
	v_lshrrev_b32_e32 v2, 28, v4
	v_add_nc_u32_e32 v2, v0, v2
	s_delay_alu instid0(VALU_DEP_1) | instskip(NEXT) | instid1(VALU_DEP_1)
	v_ashrrev_i32_e32 v2, 4, v2
	v_lshrrev_b32_e32 v6, 28, v2
	s_delay_alu instid0(VALU_DEP_1) | instskip(NEXT) | instid1(VALU_DEP_1)
	v_add_nc_u32_e32 v6, v2, v6
	v_and_b32_e32 v6, -16, v6
	s_delay_alu instid0(VALU_DEP_1) | instskip(NEXT) | instid1(VALU_DEP_1)
	v_sub_nc_u32_e32 v6, v2, v6
	v_cmpx_eq_u32_e64 v9, v6
	s_cbranch_execz .LBB190_11
; %bb.10:
	v_lshrrev_b32_e32 v4, 24, v4
	v_lshlrev_b32_e32 v2, 4, v2
	s_delay_alu instid0(VALU_DEP_2) | instskip(NEXT) | instid1(VALU_DEP_2)
	v_add_nc_u32_e32 v4, v0, v4
	v_sub_nc_u32_e32 v0, v0, v2
	s_delay_alu instid0(VALU_DEP_2) | instskip(NEXT) | instid1(VALU_DEP_1)
	v_ashrrev_i32_e32 v2, 8, v4
	v_lshl_add_u32 v0, v2, 4, v0
	s_delay_alu instid0(VALU_DEP_1) | instskip(NEXT) | instid1(VALU_DEP_1)
	v_cmp_ne_u32_e64 s0, 15, v0
	v_cndmask_b32_e64 v40, 0xff800000, v40, s0
	v_cmp_ne_u32_e64 s0, 14, v0
	s_delay_alu instid0(VALU_DEP_1) | instskip(SKIP_1) | instid1(VALU_DEP_1)
	v_cndmask_b32_e64 v38, 0xff800000, v38, s0
	v_cmp_ne_u32_e64 s0, 13, v0
	v_cndmask_b32_e64 v36, 0xff800000, v36, s0
	v_cmp_ne_u32_e64 s0, 12, v0
	s_delay_alu instid0(VALU_DEP_1) | instskip(SKIP_1) | instid1(VALU_DEP_1)
	v_cndmask_b32_e64 v34, 0xff800000, v34, s0
	;; [unrolled: 5-line block ×7, first 2 shown]
	v_cmp_ne_u32_e64 s0, 1, v0
	v_cndmask_b32_e64 v14, 0xff800000, v14, s0
	v_cmp_ne_u32_e64 s0, 0, v0
	s_delay_alu instid0(VALU_DEP_1)
	v_cndmask_b32_e64 v12, 0xff800000, v12, s0
.LBB190_11:
	s_or_b32 exec_lo, exec_lo, s1
	s_cmp_eq_u32 s4, 1
	s_cbranch_scc1 .LBB190_18
; %bb.12:
	s_add_i32 s18, s18, s16
	v_add_nc_u32_e32 v0, 1, v5
	v_add3_u32 v6, s18, v43, v42
	v_add_nc_u32_e32 v2, 1, v3
	v_add_nc_u32_e32 v4, 1, v1
	s_add_i32 s14, s4, -1
	s_branch .LBB190_14
.LBB190_13:                             ;   in Loop: Header=BB190_14 Depth=1
	s_or_b32 exec_lo, exec_lo, s1
	v_add_nc_u32_e32 v6, s16, v6
	v_add_nc_u32_e32 v0, 1, v0
	;; [unrolled: 1-line block ×4, first 2 shown]
	s_add_i32 s14, s14, -1
	s_delay_alu instid0(SALU_CYCLE_1)
	s_cmp_eq_u32 s14, 0
	s_cbranch_scc1 .LBB190_18
.LBB190_14:                             ; =>This Inner Loop Header: Depth=1
	v_cmp_gt_f32_e64 s0, v14, v12
	s_delay_alu instid0(VALU_DEP_1) | instskip(SKIP_1) | instid1(VALU_DEP_2)
	v_cndmask_b32_e64 v3, v12, v14, s0
	v_cndmask_b32_e64 v1, v10, v13, s0
	v_cmp_gt_f32_e64 s0, v15, v3
	s_delay_alu instid0(VALU_DEP_1) | instskip(NEXT) | instid1(VALU_DEP_3)
	v_cndmask_b32_e64 v3, v3, v15, s0
	v_cndmask_b32_e64 v1, v1, v16, s0
	s_delay_alu instid0(VALU_DEP_2) | instskip(NEXT) | instid1(VALU_DEP_1)
	v_cmp_gt_f32_e64 s0, v17, v3
	v_cndmask_b32_e64 v3, v3, v17, s0
	s_delay_alu instid0(VALU_DEP_3) | instskip(NEXT) | instid1(VALU_DEP_2)
	v_cndmask_b32_e64 v1, v1, v18, s0
	v_cmp_gt_f32_e64 s0, v19, v3
	s_delay_alu instid0(VALU_DEP_1) | instskip(NEXT) | instid1(VALU_DEP_3)
	v_cndmask_b32_e64 v3, v3, v19, s0
	v_cndmask_b32_e64 v1, v1, v20, s0
	s_delay_alu instid0(VALU_DEP_2) | instskip(NEXT) | instid1(VALU_DEP_1)
	v_cmp_gt_f32_e64 s0, v21, v3
	v_cndmask_b32_e64 v3, v3, v21, s0
	s_delay_alu instid0(VALU_DEP_3) | instskip(NEXT) | instid1(VALU_DEP_2)
	;; [unrolled: 9-line block ×6, first 2 shown]
	v_cndmask_b32_e64 v1, v1, v37, s0
	v_cmp_gt_f32_e64 s0, v38, v3
	s_delay_alu instid0(VALU_DEP_1) | instskip(NEXT) | instid1(VALU_DEP_3)
	v_cndmask_b32_e64 v3, v3, v38, s0
	v_cndmask_b32_e64 v1, v1, v39, s0
	s_delay_alu instid0(VALU_DEP_2) | instskip(NEXT) | instid1(VALU_DEP_1)
	v_cmp_gt_f32_e64 s0, v40, v3
	v_cndmask_b32_e64 v1, v1, v41, s0
	v_cndmask_b32_e64 v3, v3, v40, s0
	s_delay_alu instid0(VALU_DEP_2) | instskip(NEXT) | instid1(VALU_DEP_2)
	v_mov_b32_dpp v5, v1 quad_perm:[1,0,3,2] row_mask:0xf bank_mask:0xf
	v_mov_b32_dpp v42, v3 quad_perm:[1,0,3,2] row_mask:0xf bank_mask:0xf
	s_delay_alu instid0(VALU_DEP_2) | instskip(NEXT) | instid1(VALU_DEP_2)
	v_cmp_lt_i32_e64 s0, v5, v1
	v_cmp_eq_f32_e64 s1, v3, v42
	v_cmp_lt_f32_e64 s2, v3, v42
	s_delay_alu instid0(VALU_DEP_2)
	s_and_b32 s0, s1, s0
	s_delay_alu instid0(VALU_DEP_1) | instid1(SALU_CYCLE_1)
	s_or_b32 s0, s2, s0
	s_delay_alu instid0(SALU_CYCLE_1) | instskip(SKIP_1) | instid1(VALU_DEP_2)
	v_cndmask_b32_e64 v3, v3, v42, s0
	v_cndmask_b32_e64 v1, v1, v5, s0
	v_mov_b32_dpp v5, v3 quad_perm:[2,3,0,1] row_mask:0xf bank_mask:0xf
	s_delay_alu instid0(VALU_DEP_2) | instskip(NEXT) | instid1(VALU_DEP_2)
	v_mov_b32_dpp v42, v1 quad_perm:[2,3,0,1] row_mask:0xf bank_mask:0xf
	v_cmp_eq_f32_e64 s0, v3, v5
	s_delay_alu instid0(VALU_DEP_2) | instskip(SKIP_1) | instid1(VALU_DEP_2)
	v_cmp_lt_i32_e64 s1, v42, v1
	v_cmp_lt_f32_e64 s2, v3, v5
	s_and_b32 s0, s0, s1
	s_delay_alu instid0(VALU_DEP_1) | instid1(SALU_CYCLE_1)
	s_or_b32 s0, s2, s0
	s_delay_alu instid0(SALU_CYCLE_1) | instskip(SKIP_1) | instid1(VALU_DEP_2)
	v_cndmask_b32_e64 v3, v3, v5, s0
	v_cndmask_b32_e64 v5, v1, v42, s0
	v_mov_b32_dpp v1, v3 row_half_mirror row_mask:0xf bank_mask:0xf
	s_delay_alu instid0(VALU_DEP_2) | instskip(NEXT) | instid1(VALU_DEP_2)
	v_mov_b32_dpp v42, v5 row_half_mirror row_mask:0xf bank_mask:0xf
	v_cmp_eq_f32_e64 s0, v3, v1
	s_delay_alu instid0(VALU_DEP_2) | instskip(SKIP_1) | instid1(VALU_DEP_2)
	v_cmp_lt_i32_e64 s1, v42, v5
	v_cmp_lt_f32_e64 s2, v3, v1
	s_and_b32 s0, s0, s1
	s_delay_alu instid0(VALU_DEP_1) | instid1(SALU_CYCLE_1)
	s_or_b32 s0, s2, s0
	s_delay_alu instid0(SALU_CYCLE_1) | instskip(SKIP_1) | instid1(VALU_DEP_2)
	v_cndmask_b32_e64 v1, v3, v1, s0
	v_cndmask_b32_e64 v5, v5, v42, s0
	v_mov_b32_dpp v3, v1 row_mirror row_mask:0xf bank_mask:0xf
	s_delay_alu instid0(VALU_DEP_2) | instskip(NEXT) | instid1(VALU_DEP_2)
	v_mov_b32_dpp v42, v5 row_mirror row_mask:0xf bank_mask:0xf
	v_cmp_eq_f32_e64 s0, v1, v3
	s_delay_alu instid0(VALU_DEP_2) | instskip(SKIP_1) | instid1(VALU_DEP_2)
	v_cmp_lt_i32_e64 s1, v42, v5
	v_cmp_lt_f32_e64 s2, v1, v3
	s_and_b32 s0, s0, s1
	s_delay_alu instid0(VALU_DEP_1) | instid1(SALU_CYCLE_1)
	s_or_b32 s0, s2, s0
	s_delay_alu instid0(SALU_CYCLE_1)
	v_cndmask_b32_e64 v42, v5, v42, s0
	s_and_saveexec_b32 s2, vcc_lo
	s_cbranch_execz .LBB190_16
; %bb.15:                               ;   in Loop: Header=BB190_14 Depth=1
	v_cndmask_b32_e64 v1, v1, v3, s0
	s_delay_alu instid0(VALU_DEP_2) | instskip(SKIP_4) | instid1(VALU_DEP_4)
	v_cmp_le_i32_e64 s0, s5, v42
	v_cmp_gt_i32_e64 s1, s6, v42
	v_ashrrev_i32_e32 v5, 31, v4
	v_subrev_nc_u32_e32 v51, s5, v42
	v_sub_f32_e32 v43, v1, v44
	s_and_b32 s0, s0, s1
	s_delay_alu instid0(SALU_CYCLE_1) | instskip(NEXT) | instid1(VALU_DEP_1)
	s_and_b32 s0, s17, s0
	v_mul_f32_e32 v1, 0x3fb8aa3b, v43
	s_delay_alu instid0(VALU_DEP_1) | instskip(SKIP_1) | instid1(VALU_DEP_2)
	v_fma_f32 v3, 0x3fb8aa3b, v43, -v1
	v_rndne_f32_e32 v45, v1
	v_fmac_f32_e32 v3, 0x32a5705f, v43
	s_delay_alu instid0(VALU_DEP_2) | instskip(SKIP_2) | instid1(VALU_DEP_3)
	v_sub_f32_e32 v1, v1, v45
	v_cvt_i32_f32_e32 v50, v45
	v_lshlrev_b64 v[45:46], 2, v[4:5]
	v_add_f32_e32 v1, v1, v3
	v_ashrrev_i32_e32 v3, 31, v2
	s_delay_alu instid0(VALU_DEP_2) | instskip(SKIP_1) | instid1(VALU_DEP_2)
	v_exp_f32_e32 v49, v1
	v_ashrrev_i32_e32 v1, 31, v0
	v_lshlrev_b64 v[47:48], 2, v[2:3]
	s_waitcnt_depctr 0xfff
	v_ldexp_f32 v3, v49, v50
	v_lshlrev_b64 v[49:50], 2, v[0:1]
	v_cndmask_b32_e64 v1, 0x100, v51, s0
	v_cmp_ngt_f32_e64 s0, 0xc2ce8ed0, v43
	s_delay_alu instid0(VALU_DEP_1) | instskip(SKIP_1) | instid1(VALU_DEP_1)
	v_cndmask_b32_e64 v3, 0, v3, s0
	v_add_co_u32 v45, s0, s12, v45
	v_add_co_ci_u32_e64 v46, s0, s13, v46, s0
	v_cmp_nlt_f32_e64 s0, 0x42b17218, v43
	s_delay_alu instid0(VALU_DEP_1) | instskip(SKIP_2) | instid1(VALU_DEP_1)
	v_cndmask_b32_e64 v3, 0x7f800000, v3, s0
	s_waitcnt lgkmcnt(0)
	v_add_co_u32 v47, s0, s8, v47
	v_add_co_ci_u32_e64 v48, s0, s9, v48, s0
	v_add_co_u32 v49, s0, s10, v49
	v_add_f32_e32 v11, v11, v3
	v_add_co_ci_u32_e64 v50, s0, s11, v50, s0
	global_store_b32 v[45:46], v3, off
	global_store_b32 v[47:48], v1, off
	;; [unrolled: 1-line block ×3, first 2 shown]
.LBB190_16:                             ;   in Loop: Header=BB190_14 Depth=1
	s_or_b32 exec_lo, exec_lo, s2
	s_delay_alu instid0(VALU_DEP_1) | instskip(SKIP_1) | instid1(VALU_DEP_1)
	v_ashrrev_i32_e32 v3, 31, v42
	s_mov_b32 s1, exec_lo
	v_lshrrev_b32_e32 v1, 28, v3
	s_delay_alu instid0(VALU_DEP_1) | instskip(NEXT) | instid1(VALU_DEP_1)
	v_add_nc_u32_e32 v1, v42, v1
	v_ashrrev_i32_e32 v1, 4, v1
	s_delay_alu instid0(VALU_DEP_1) | instskip(NEXT) | instid1(VALU_DEP_1)
	v_lshrrev_b32_e32 v5, 28, v1
	v_add_nc_u32_e32 v5, v1, v5
	s_delay_alu instid0(VALU_DEP_1) | instskip(NEXT) | instid1(VALU_DEP_1)
	v_and_b32_e32 v5, -16, v5
	v_sub_nc_u32_e32 v5, v1, v5
	s_delay_alu instid0(VALU_DEP_1)
	v_cmpx_eq_u32_e64 v9, v5
	s_cbranch_execz .LBB190_13
; %bb.17:                               ;   in Loop: Header=BB190_14 Depth=1
	v_lshrrev_b32_e32 v3, 24, v3
	v_lshlrev_b32_e32 v1, 4, v1
	s_delay_alu instid0(VALU_DEP_2) | instskip(NEXT) | instid1(VALU_DEP_2)
	v_add_nc_u32_e32 v3, v42, v3
	v_sub_nc_u32_e32 v1, v42, v1
	s_delay_alu instid0(VALU_DEP_2) | instskip(NEXT) | instid1(VALU_DEP_1)
	v_ashrrev_i32_e32 v3, 8, v3
	v_lshl_add_u32 v1, v3, 4, v1
	s_delay_alu instid0(VALU_DEP_1) | instskip(NEXT) | instid1(VALU_DEP_1)
	v_cmp_ne_u32_e64 s0, 15, v1
	v_cndmask_b32_e64 v40, 0xff800000, v40, s0
	v_cmp_ne_u32_e64 s0, 14, v1
	s_delay_alu instid0(VALU_DEP_1) | instskip(SKIP_1) | instid1(VALU_DEP_1)
	v_cndmask_b32_e64 v38, 0xff800000, v38, s0
	v_cmp_ne_u32_e64 s0, 13, v1
	v_cndmask_b32_e64 v36, 0xff800000, v36, s0
	v_cmp_ne_u32_e64 s0, 12, v1
	s_delay_alu instid0(VALU_DEP_1) | instskip(SKIP_1) | instid1(VALU_DEP_1)
	v_cndmask_b32_e64 v34, 0xff800000, v34, s0
	;; [unrolled: 5-line block ×7, first 2 shown]
	v_cmp_ne_u32_e64 s0, 1, v1
	v_cndmask_b32_e64 v14, 0xff800000, v14, s0
	v_cmp_ne_u32_e64 s0, 0, v1
	s_delay_alu instid0(VALU_DEP_1)
	v_cndmask_b32_e64 v12, 0xff800000, v12, s0
	s_branch .LBB190_13
.LBB190_18:
	v_cmp_eq_u32_e32 vcc_lo, 0, v9
	v_cmp_neq_f32_e64 s0, 0, v11
	s_delay_alu instid0(VALU_DEP_1) | instskip(NEXT) | instid1(SALU_CYCLE_1)
	s_and_b32 s0, vcc_lo, s0
	s_and_b32 exec_lo, exec_lo, s0
	s_cbranch_execz .LBB190_22
; %bb.19:
	s_and_not1_b32 vcc_lo, exec_lo, s3
	s_cbranch_vccnz .LBB190_22
; %bb.20:
	v_div_scale_f32 v1, null, v11, v11, 1.0
	v_div_scale_f32 v3, vcc_lo, 1.0, v11, 1.0
	s_delay_alu instid0(VALU_DEP_2) | instskip(SKIP_2) | instid1(VALU_DEP_1)
	v_rcp_f32_e32 v2, v1
	s_waitcnt_depctr 0xfff
	v_fma_f32 v0, -v1, v2, 1.0
	v_fmac_f32_e32 v2, v0, v2
	v_mul_lo_u32 v0, v8, s7
	s_delay_alu instid0(VALU_DEP_2) | instskip(NEXT) | instid1(VALU_DEP_1)
	v_mul_f32_e32 v4, v3, v2
	v_fma_f32 v5, -v1, v4, v3
	s_delay_alu instid0(VALU_DEP_1) | instskip(NEXT) | instid1(VALU_DEP_1)
	v_fmac_f32_e32 v4, v5, v2
	v_fma_f32 v3, -v1, v4, v3
	v_ashrrev_i32_e32 v1, 31, v0
	s_delay_alu instid0(VALU_DEP_2) | instskip(NEXT) | instid1(VALU_DEP_2)
	v_div_fmas_f32 v2, v3, v2, v4
	v_lshlrev_b64 v[0:1], 2, v[0:1]
	s_delay_alu instid0(VALU_DEP_2) | instskip(NEXT) | instid1(VALU_DEP_2)
	v_div_fixup_f32 v2, v2, v11, 1.0
	v_add_co_u32 v0, vcc_lo, s12, v0
	s_delay_alu instid0(VALU_DEP_3)
	v_add_co_ci_u32_e32 v1, vcc_lo, s13, v1, vcc_lo
.LBB190_21:                             ; =>This Inner Loop Header: Depth=1
	global_load_b32 v3, v[0:1], off
	s_add_i32 s4, s4, -1
	s_delay_alu instid0(SALU_CYCLE_1)
	s_cmp_lg_u32 s4, 0
	s_waitcnt vmcnt(0)
	v_mul_f32_e32 v3, v2, v3
	global_store_b32 v[0:1], v3, off
	v_add_co_u32 v0, vcc_lo, v0, 4
	v_add_co_ci_u32_e32 v1, vcc_lo, 0, v1, vcc_lo
	s_cbranch_scc1 .LBB190_21
.LBB190_22:
	s_nop 0
	s_sendmsg sendmsg(MSG_DEALLOC_VGPRS)
	s_endpgm
	.section	.rodata,"a",@progbits
	.p2align	6, 0x0
	.amdhsa_kernel _ZN4vllm3moe17topkGatingSoftmaxIDF16_Li16ELi256ELi8ELi32ELb1ELi2ELNS0_23SharedExpertScoringFuncE1EEEvPKT_PKbPfiPiS9_iiiiii
		.amdhsa_group_segment_fixed_size 0
		.amdhsa_private_segment_fixed_size 0
		.amdhsa_kernarg_size 72
		.amdhsa_user_sgpr_count 15
		.amdhsa_user_sgpr_dispatch_ptr 0
		.amdhsa_user_sgpr_queue_ptr 0
		.amdhsa_user_sgpr_kernarg_segment_ptr 1
		.amdhsa_user_sgpr_dispatch_id 0
		.amdhsa_user_sgpr_private_segment_size 0
		.amdhsa_wavefront_size32 1
		.amdhsa_uses_dynamic_stack 0
		.amdhsa_enable_private_segment 0
		.amdhsa_system_sgpr_workgroup_id_x 1
		.amdhsa_system_sgpr_workgroup_id_y 0
		.amdhsa_system_sgpr_workgroup_id_z 0
		.amdhsa_system_sgpr_workgroup_info 0
		.amdhsa_system_vgpr_workitem_id 1
		.amdhsa_next_free_vgpr 53
		.amdhsa_next_free_sgpr 19
		.amdhsa_reserve_vcc 1
		.amdhsa_float_round_mode_32 0
		.amdhsa_float_round_mode_16_64 0
		.amdhsa_float_denorm_mode_32 3
		.amdhsa_float_denorm_mode_16_64 3
		.amdhsa_dx10_clamp 1
		.amdhsa_ieee_mode 1
		.amdhsa_fp16_overflow 0
		.amdhsa_workgroup_processor_mode 1
		.amdhsa_memory_ordered 1
		.amdhsa_forward_progress 0
		.amdhsa_shared_vgpr_count 0
		.amdhsa_exception_fp_ieee_invalid_op 0
		.amdhsa_exception_fp_denorm_src 0
		.amdhsa_exception_fp_ieee_div_zero 0
		.amdhsa_exception_fp_ieee_overflow 0
		.amdhsa_exception_fp_ieee_underflow 0
		.amdhsa_exception_fp_ieee_inexact 0
		.amdhsa_exception_int_div_zero 0
	.end_amdhsa_kernel
	.section	.text._ZN4vllm3moe17topkGatingSoftmaxIDF16_Li16ELi256ELi8ELi32ELb1ELi2ELNS0_23SharedExpertScoringFuncE1EEEvPKT_PKbPfiPiS9_iiiiii,"axG",@progbits,_ZN4vllm3moe17topkGatingSoftmaxIDF16_Li16ELi256ELi8ELi32ELb1ELi2ELNS0_23SharedExpertScoringFuncE1EEEvPKT_PKbPfiPiS9_iiiiii,comdat
.Lfunc_end190:
	.size	_ZN4vllm3moe17topkGatingSoftmaxIDF16_Li16ELi256ELi8ELi32ELb1ELi2ELNS0_23SharedExpertScoringFuncE1EEEvPKT_PKbPfiPiS9_iiiiii, .Lfunc_end190-_ZN4vllm3moe17topkGatingSoftmaxIDF16_Li16ELi256ELi8ELi32ELb1ELi2ELNS0_23SharedExpertScoringFuncE1EEEvPKT_PKbPfiPiS9_iiiiii
                                        ; -- End function
	.section	.AMDGPU.csdata,"",@progbits
; Kernel info:
; codeLenInByte = 3948
; NumSgprs: 21
; NumVgprs: 53
; ScratchSize: 0
; MemoryBound: 0
; FloatMode: 240
; IeeeMode: 1
; LDSByteSize: 0 bytes/workgroup (compile time only)
; SGPRBlocks: 2
; VGPRBlocks: 6
; NumSGPRsForWavesPerEU: 21
; NumVGPRsForWavesPerEU: 53
; Occupancy: 16
; WaveLimiterHint : 0
; COMPUTE_PGM_RSRC2:SCRATCH_EN: 0
; COMPUTE_PGM_RSRC2:USER_SGPR: 15
; COMPUTE_PGM_RSRC2:TRAP_HANDLER: 0
; COMPUTE_PGM_RSRC2:TGID_X_EN: 1
; COMPUTE_PGM_RSRC2:TGID_Y_EN: 0
; COMPUTE_PGM_RSRC2:TGID_Z_EN: 0
; COMPUTE_PGM_RSRC2:TIDIG_COMP_CNT: 1
	.section	.text._ZN4vllm3moe17topkGatingSoftmaxIDF16_Li16ELi256ELi8ELi32ELb0ELi2ELNS0_23SharedExpertScoringFuncE1EEEvPKT_PKbPfiPiS9_iiiiii,"axG",@progbits,_ZN4vllm3moe17topkGatingSoftmaxIDF16_Li16ELi256ELi8ELi32ELb0ELi2ELNS0_23SharedExpertScoringFuncE1EEEvPKT_PKbPfiPiS9_iiiiii,comdat
	.protected	_ZN4vllm3moe17topkGatingSoftmaxIDF16_Li16ELi256ELi8ELi32ELb0ELi2ELNS0_23SharedExpertScoringFuncE1EEEvPKT_PKbPfiPiS9_iiiiii ; -- Begin function _ZN4vllm3moe17topkGatingSoftmaxIDF16_Li16ELi256ELi8ELi32ELb0ELi2ELNS0_23SharedExpertScoringFuncE1EEEvPKT_PKbPfiPiS9_iiiiii
	.globl	_ZN4vllm3moe17topkGatingSoftmaxIDF16_Li16ELi256ELi8ELi32ELb0ELi2ELNS0_23SharedExpertScoringFuncE1EEEvPKT_PKbPfiPiS9_iiiiii
	.p2align	8
	.type	_ZN4vllm3moe17topkGatingSoftmaxIDF16_Li16ELi256ELi8ELi32ELb0ELi2ELNS0_23SharedExpertScoringFuncE1EEEvPKT_PKbPfiPiS9_iiiiii,@function
_ZN4vllm3moe17topkGatingSoftmaxIDF16_Li16ELi256ELi8ELi32ELb0ELi2ELNS0_23SharedExpertScoringFuncE1EEEvPKT_PKbPfiPiS9_iiiiii: ; @_ZN4vllm3moe17topkGatingSoftmaxIDF16_Li16ELi256ELi8ELi32ELb0ELi2ELNS0_23SharedExpertScoringFuncE1EEEvPKT_PKbPfiPiS9_iiiiii
; %bb.0:
	s_load_b32 s16, s[0:1], 0x18
	v_bfe_u32 v1, v0, 10, 10
	v_and_b32_e32 v0, 0x3ff, v0
	s_lshl_b32 s18, s15, 4
	s_mov_b32 s2, exec_lo
	s_delay_alu instid0(VALU_DEP_2) | instskip(NEXT) | instid1(VALU_DEP_2)
	v_lshlrev_b32_e32 v43, 1, v1
	v_lshrrev_b32_e32 v44, 4, v0
	s_delay_alu instid0(VALU_DEP_1) | instskip(SKIP_1) | instid1(VALU_DEP_1)
	v_add3_u32 v8, s18, v43, v44
	s_waitcnt lgkmcnt(0)
	v_cmpx_gt_i32_e64 s16, v8
	s_cbranch_execz .LBB191_23
; %bb.1:
	s_clause 0x1
	s_load_b128 s[4:7], s[0:1], 0x0
	s_load_b64 s[12:13], s[0:1], 0x10
	s_waitcnt lgkmcnt(0)
	s_cmp_eq_u64 s[6:7], 0
	s_cbranch_scc1 .LBB191_3
; %bb.2:
	v_ashrrev_i32_e32 v2, 31, v8
	v_add_co_u32 v1, vcc_lo, s6, v8
	s_delay_alu instid0(VALU_DEP_2) | instskip(SKIP_3) | instid1(VALU_DEP_1)
	v_add_co_ci_u32_e32 v2, vcc_lo, s7, v2, vcc_lo
	global_load_u8 v1, v[1:2], off
	s_waitcnt vmcnt(0)
	v_and_b32_e32 v1, 1, v1
	v_cmp_eq_u32_e32 vcc_lo, 1, v1
	s_xor_b32 s2, vcc_lo, -1
	s_delay_alu instid0(SALU_CYCLE_1)
	s_or_not1_b32 s17, s2, exec_lo
	s_branch .LBB191_4
.LBB191_3:
	s_mov_b32 s17, -1
.LBB191_4:
	s_load_b64 s[14:15], s[0:1], 0x40
	v_dual_mov_b32 v10, 0 :: v_dual_and_b32 v9, 15, v0
	s_mov_b32 s2, exec_lo
	s_delay_alu instid0(VALU_DEP_1) | instskip(SKIP_2) | instid1(VALU_DEP_1)
	v_lshlrev_b32_e32 v22, 4, v9
	s_waitcnt lgkmcnt(0)
	v_mul_lo_u32 v1, v8, s15
	v_ashrrev_i32_e32 v2, 31, v1
	s_delay_alu instid0(VALU_DEP_1) | instskip(SKIP_1) | instid1(VALU_DEP_2)
	v_lshlrev_b64 v[0:1], 1, v[1:2]
	v_lshlrev_b32_e32 v2, 5, v9
	v_add_co_u32 v11, vcc_lo, s4, v0
	s_delay_alu instid0(VALU_DEP_3) | instskip(SKIP_1) | instid1(VALU_DEP_2)
	v_add_co_ci_u32_e32 v12, vcc_lo, s5, v1, vcc_lo
	s_load_b128 s[4:7], s[0:1], 0x30
	v_add_co_u32 v4, vcc_lo, v11, v2
	s_delay_alu instid0(VALU_DEP_2)
	v_add_co_ci_u32_e32 v5, vcc_lo, 0, v12, vcc_lo
	s_clause 0x1
	global_load_b128 v[0:3], v[4:5], off offset:16
	global_load_b128 v[4:7], v[4:5], off
	v_cmpx_gt_u32_e32 2, v9
	s_cbranch_execz .LBB191_6
; %bb.5:
	v_lshlrev_b32_e32 v13, 1, v9
	s_mov_b32 s3, 0x3fb8aa3b
	s_delay_alu instid0(VALU_DEP_1) | instskip(SKIP_4) | instid1(VALU_DEP_1)
	v_add_co_u32 v11, vcc_lo, v11, v13
	v_add_co_ci_u32_e32 v12, vcc_lo, 0, v12, vcc_lo
	global_load_u16 v11, v[11:12], off offset:512
	s_waitcnt vmcnt(0)
	v_cvt_f32_f16_e64 v12, -v11
	v_mul_f32_e32 v13, 0x3fb8aa3b, v12
	v_cmp_ngt_f32_e32 vcc_lo, 0xc2ce8ed0, v12
	s_delay_alu instid0(VALU_DEP_2)
	v_fma_mix_f32 v14, -v11, s3, -v13 op_sel_hi:[1,0,0]
	v_rndne_f32_e32 v15, v13
	s_mov_b32 s3, 0x32a5705f
	s_delay_alu instid0(VALU_DEP_2) | instid1(SALU_CYCLE_1)
	v_fma_mix_f32 v11, -v11, s3, v14 op_sel_hi:[1,0,0]
	s_delay_alu instid0(VALU_DEP_2) | instskip(NEXT) | instid1(VALU_DEP_1)
	v_sub_f32_e32 v13, v13, v15
	v_add_f32_e32 v11, v13, v11
	v_cvt_i32_f32_e32 v13, v15
	s_delay_alu instid0(VALU_DEP_2) | instskip(SKIP_2) | instid1(VALU_DEP_1)
	v_exp_f32_e32 v11, v11
	s_waitcnt_depctr 0xfff
	v_ldexp_f32 v11, v11, v13
	v_cndmask_b32_e32 v11, 0, v11, vcc_lo
	v_cmp_nlt_f32_e32 vcc_lo, 0x42b17218, v12
	s_delay_alu instid0(VALU_DEP_2) | instskip(NEXT) | instid1(VALU_DEP_1)
	v_cndmask_b32_e32 v11, 0x7f800000, v11, vcc_lo
	v_add_f32_e32 v13, 1.0, v11
	s_delay_alu instid0(VALU_DEP_1) | instskip(SKIP_1) | instid1(VALU_DEP_2)
	v_div_scale_f32 v12, null, v13, v13, 1.0
	v_div_scale_f32 v15, vcc_lo, 1.0, v13, 1.0
	v_rcp_f32_e32 v14, v12
	s_waitcnt_depctr 0xfff
	v_fma_f32 v11, -v12, v14, 1.0
	s_delay_alu instid0(VALU_DEP_1) | instskip(SKIP_2) | instid1(VALU_DEP_2)
	v_fmac_f32_e32 v14, v11, v14
	s_waitcnt lgkmcnt(0)
	v_mul_lo_u32 v11, v8, s7
	v_mul_f32_e32 v16, v15, v14
	s_delay_alu instid0(VALU_DEP_2) | instskip(NEXT) | instid1(VALU_DEP_2)
	v_add3_u32 v11, v11, s4, v9
	v_fma_f32 v17, -v12, v16, v15
	s_delay_alu instid0(VALU_DEP_1) | instskip(NEXT) | instid1(VALU_DEP_1)
	v_fmac_f32_e32 v16, v17, v14
	v_fma_f32 v15, -v12, v16, v15
	s_delay_alu instid0(VALU_DEP_4) | instskip(NEXT) | instid1(VALU_DEP_2)
	v_ashrrev_i32_e32 v12, 31, v11
	v_div_fmas_f32 v14, v15, v14, v16
	s_delay_alu instid0(VALU_DEP_2) | instskip(NEXT) | instid1(VALU_DEP_2)
	v_lshlrev_b64 v[11:12], 2, v[11:12]
	v_div_fixup_f32 v13, v14, v13, 1.0
	s_delay_alu instid0(VALU_DEP_2) | instskip(NEXT) | instid1(VALU_DEP_3)
	v_add_co_u32 v11, vcc_lo, s12, v11
	v_add_co_ci_u32_e32 v12, vcc_lo, s13, v12, vcc_lo
	global_store_b32 v[11:12], v13, off
.LBB191_6:
	s_or_b32 exec_lo, exec_lo, s2
	s_waitcnt vmcnt(0)
	v_lshrrev_b32_e32 v11, 16, v4
	v_cvt_f32_f16_e32 v24, v4
	v_or_b32_e32 v28, 1, v22
	v_cvt_f32_f16_e32 v26, v5
	v_lshrrev_b32_e32 v5, 16, v5
	v_cvt_f32_f16_e32 v27, v11
	v_cmp_lt_f16_e32 vcc_lo, v4, v11
	v_or_b32_e32 v29, 2, v22
	v_or_b32_e32 v30, 3, v22
	v_cvt_f32_f16_e32 v25, v5
	v_cvt_f32_f16_e32 v23, v6
	v_dual_cndmask_b32 v4, v22, v28 :: v_dual_cndmask_b32 v11, v24, v27
	v_lshrrev_b32_e32 v6, 16, v6
	v_or_b32_e32 v31, 4, v22
	v_or_b32_e32 v32, 5, v22
	v_cvt_f32_f16_e32 v20, v7
	v_cmp_lt_f32_e32 vcc_lo, v11, v26
	v_cvt_f32_f16_e32 v21, v6
	v_lshrrev_b32_e32 v6, 16, v7
	v_or_b32_e32 v33, 6, v22
	v_or_b32_e32 v34, 7, v22
	v_dual_cndmask_b32 v4, v4, v29 :: v_dual_cndmask_b32 v5, v11, v26
	s_delay_alu instid0(VALU_DEP_4)
	v_cvt_f32_f16_e32 v19, v6
	v_cvt_f32_f16_e32 v18, v0
	v_lshrrev_b32_e32 v0, 16, v0
	v_or_b32_e32 v35, 8, v22
	v_cmp_lt_f32_e32 vcc_lo, v5, v25
	v_cvt_f32_f16_e32 v13, v2
	v_lshrrev_b32_e32 v2, 16, v2
	v_cvt_f32_f16_e32 v17, v0
	v_or_b32_e32 v36, 9, v22
	v_dual_cndmask_b32 v4, v4, v30 :: v_dual_cndmask_b32 v5, v5, v25
	v_cvt_f32_f16_e32 v16, v1
	v_lshrrev_b32_e32 v1, 16, v1
	v_cvt_f32_f16_e32 v12, v2
	v_or_b32_e32 v37, 10, v22
	v_cmp_lt_f32_e32 vcc_lo, v5, v23
	v_cvt_f32_f16_e32 v11, v3
	v_cvt_f32_f16_e32 v15, v1
	v_or_b32_e32 v38, 11, v22
	v_lshrrev_b32_e32 v2, 16, v3
	v_cndmask_b32_e32 v5, v5, v23, vcc_lo
	v_cndmask_b32_e32 v4, v4, v31, vcc_lo
	v_or_b32_e32 v39, 12, v22
	v_or_b32_e32 v40, 13, v22
	v_cvt_f32_f16_e32 v7, v2
	v_cmp_lt_f32_e32 vcc_lo, v5, v21
	v_or_b32_e32 v41, 14, v22
	v_or_b32_e32 v42, 15, v22
	v_dual_cndmask_b32 v5, v5, v21 :: v_dual_cndmask_b32 v4, v4, v32
	s_delay_alu instid0(VALU_DEP_1) | instskip(NEXT) | instid1(VALU_DEP_2)
	v_cmp_lt_f32_e32 vcc_lo, v5, v20
	v_dual_cndmask_b32 v4, v4, v33 :: v_dual_cndmask_b32 v5, v5, v20
	s_delay_alu instid0(VALU_DEP_1) | instskip(NEXT) | instid1(VALU_DEP_2)
	v_cmp_lt_f32_e32 vcc_lo, v5, v19
	;; [unrolled: 3-line block ×3, first 2 shown]
	v_cndmask_b32_e32 v0, v4, v35, vcc_lo
	v_cndmask_b32_e32 v4, v5, v18, vcc_lo
	s_delay_alu instid0(VALU_DEP_1) | instskip(SKIP_1) | instid1(VALU_DEP_4)
	v_cmp_lt_f32_e32 vcc_lo, v4, v17
	v_cndmask_b32_e32 v4, v4, v17, vcc_lo
	v_cndmask_b32_e32 v0, v0, v36, vcc_lo
	s_delay_alu instid0(VALU_DEP_2) | instskip(SKIP_1) | instid1(VALU_DEP_3)
	v_cmp_lt_f32_e32 vcc_lo, v4, v16
	v_cndmask_b32_e32 v1, v4, v16, vcc_lo
	v_cndmask_b32_e32 v0, v0, v37, vcc_lo
	s_delay_alu instid0(VALU_DEP_2) | instskip(NEXT) | instid1(VALU_DEP_2)
	v_cmp_lt_f32_e32 vcc_lo, v1, v15
	v_dual_cndmask_b32 v1, v1, v15 :: v_dual_cndmask_b32 v0, v0, v38
	s_delay_alu instid0(VALU_DEP_1) | instskip(NEXT) | instid1(VALU_DEP_2)
	v_cmp_lt_f32_e32 vcc_lo, v1, v13
	v_dual_cndmask_b32 v1, v1, v13 :: v_dual_cndmask_b32 v0, v0, v39
	s_delay_alu instid0(VALU_DEP_1) | instskip(SKIP_1) | instid1(VALU_DEP_3)
	v_cmp_lt_f32_e32 vcc_lo, v1, v12
	v_cndmask_b32_e32 v1, v1, v12, vcc_lo
	v_cndmask_b32_e32 v0, v0, v40, vcc_lo
	s_delay_alu instid0(VALU_DEP_2) | instskip(NEXT) | instid1(VALU_DEP_2)
	v_cmp_lt_f32_e32 vcc_lo, v1, v11
	v_dual_cndmask_b32 v1, v1, v11 :: v_dual_cndmask_b32 v0, v0, v41
	s_delay_alu instid0(VALU_DEP_1) | instskip(NEXT) | instid1(VALU_DEP_2)
	v_cmp_lt_f32_e32 vcc_lo, v1, v7
	v_dual_cndmask_b32 v0, v0, v42 :: v_dual_cndmask_b32 v1, v1, v7
	s_delay_alu instid0(VALU_DEP_1) | instskip(NEXT) | instid1(VALU_DEP_2)
	v_mov_b32_dpp v2, v0 quad_perm:[1,0,3,2] row_mask:0xf bank_mask:0xf
	v_mov_b32_dpp v3, v1 quad_perm:[1,0,3,2] row_mask:0xf bank_mask:0xf
	s_delay_alu instid0(VALU_DEP_2) | instskip(NEXT) | instid1(VALU_DEP_2)
	v_cmp_lt_i32_e32 vcc_lo, v2, v0
	v_cmp_eq_f32_e64 s2, v1, v3
	v_cmp_lt_f32_e64 s3, v1, v3
	s_delay_alu instid0(VALU_DEP_2)
	s_and_b32 s2, s2, vcc_lo
	s_delay_alu instid0(VALU_DEP_1) | instid1(SALU_CYCLE_1)
	s_or_b32 vcc_lo, s3, s2
	v_dual_cndmask_b32 v1, v1, v3 :: v_dual_cndmask_b32 v0, v0, v2
	s_delay_alu instid0(VALU_DEP_1) | instskip(NEXT) | instid1(VALU_DEP_2)
	v_mov_b32_dpp v2, v1 quad_perm:[2,3,0,1] row_mask:0xf bank_mask:0xf
	v_mov_b32_dpp v3, v0 quad_perm:[2,3,0,1] row_mask:0xf bank_mask:0xf
	s_delay_alu instid0(VALU_DEP_2) | instskip(NEXT) | instid1(VALU_DEP_2)
	v_cmp_eq_f32_e32 vcc_lo, v1, v2
	v_cmp_lt_i32_e64 s2, v3, v0
	v_cmp_lt_f32_e64 s3, v1, v2
	s_delay_alu instid0(VALU_DEP_2)
	s_and_b32 s2, vcc_lo, s2
	s_delay_alu instid0(VALU_DEP_1) | instid1(SALU_CYCLE_1)
	s_or_b32 vcc_lo, s3, s2
	v_dual_cndmask_b32 v1, v1, v2 :: v_dual_cndmask_b32 v0, v0, v3
	s_delay_alu instid0(VALU_DEP_1) | instskip(NEXT) | instid1(VALU_DEP_2)
	v_mov_b32_dpp v2, v1 row_half_mirror row_mask:0xf bank_mask:0xf
	v_mov_b32_dpp v3, v0 row_half_mirror row_mask:0xf bank_mask:0xf
	s_delay_alu instid0(VALU_DEP_2) | instskip(NEXT) | instid1(VALU_DEP_2)
	v_cmp_eq_f32_e32 vcc_lo, v1, v2
	v_cmp_lt_i32_e64 s2, v3, v0
	v_cmp_lt_f32_e64 s3, v1, v2
	s_delay_alu instid0(VALU_DEP_2)
	s_and_b32 s2, vcc_lo, s2
	s_delay_alu instid0(VALU_DEP_1) | instid1(SALU_CYCLE_1)
	s_or_b32 vcc_lo, s3, s2
	v_dual_cndmask_b32 v1, v1, v2 :: v_dual_cndmask_b32 v0, v0, v3
	s_delay_alu instid0(VALU_DEP_1) | instskip(NEXT) | instid1(VALU_DEP_2)
	v_mov_b32_dpp v3, v1 row_mirror row_mask:0xf bank_mask:0xf
	v_mov_b32_dpp v2, v0 row_mirror row_mask:0xf bank_mask:0xf
	s_delay_alu instid0(VALU_DEP_2) | instskip(NEXT) | instid1(VALU_DEP_2)
	v_cmp_eq_f32_e32 vcc_lo, v1, v3
	v_cmp_lt_i32_e64 s2, v2, v0
	v_cmp_lt_f32_e64 s3, v1, v3
	s_delay_alu instid0(VALU_DEP_2) | instskip(SKIP_1) | instid1(VALU_DEP_2)
	s_and_b32 s2, vcc_lo, s2
	v_cmp_eq_u32_e32 vcc_lo, 0, v9
	s_or_b32 s2, s3, s2
	s_waitcnt lgkmcnt(0)
	s_cmp_gt_i32 s4, 0
	v_cndmask_b32_e64 v14, v1, v3, s2
	s_cselect_b32 s3, -1, 0
	s_cmp_lt_i32 s4, 1
	s_cbranch_scc1 .LBB191_18
; %bb.7:
	s_load_b128 s[8:11], s[0:1], 0x20
	v_mul_lo_u32 v1, v8, s7
	v_mul_lo_u32 v3, v8, s14
	;; [unrolled: 1-line block ×3, first 2 shown]
	v_cndmask_b32_e64 v0, v0, v2, s2
	v_mov_b32_e32 v10, 0
	s_and_saveexec_b32 s2, vcc_lo
	s_cbranch_execz .LBB191_9
; %bb.8:
	v_sub_f32_e32 v10, v14, v14
	v_cmp_le_i32_e64 s0, s5, v0
	v_cmp_gt_i32_e64 s1, s6, v0
	v_subrev_nc_u32_e32 v51, s5, v0
	v_ashrrev_i32_e32 v6, 31, v5
	v_mul_f32_e32 v2, 0x3fb8aa3b, v10
	s_delay_alu instid0(VALU_DEP_4) | instskip(NEXT) | instid1(SALU_CYCLE_1)
	s_and_b32 s0, s0, s1
	s_and_b32 s0, s17, s0
	s_delay_alu instid0(VALU_DEP_1) | instskip(SKIP_2) | instid1(VALU_DEP_3)
	v_rndne_f32_e32 v47, v2
	v_fma_f32 v4, 0x3fb8aa3b, v10, -v2
	v_lshlrev_b64 v[49:50], 2, v[5:6]
	v_sub_f32_e32 v2, v2, v47
	s_delay_alu instid0(VALU_DEP_3) | instskip(NEXT) | instid1(VALU_DEP_1)
	v_fmamk_f32 v4, v10, 0x32a5705f, v4
	v_add_f32_e32 v4, v2, v4
	v_ashrrev_i32_e32 v2, 31, v1
	s_delay_alu instid0(VALU_DEP_2) | instskip(NEXT) | instid1(VALU_DEP_1)
	v_exp_f32_e32 v52, v4
	v_lshlrev_b64 v[45:46], 2, v[1:2]
	v_ashrrev_i32_e32 v4, 31, v3
	v_cvt_i32_f32_e32 v2, v47
	s_delay_alu instid0(VALU_DEP_2) | instskip(SKIP_2) | instid1(VALU_DEP_1)
	v_lshlrev_b64 v[47:48], 2, v[3:4]
	v_cndmask_b32_e64 v4, 0x100, v51, s0
	v_add_co_u32 v45, s0, s12, v45
	v_add_co_ci_u32_e64 v46, s0, s13, v46, s0
	s_delay_alu instid0(TRANS32_DEP_1) | instskip(SKIP_1) | instid1(VALU_DEP_1)
	v_ldexp_f32 v2, v52, v2
	v_cmp_ngt_f32_e64 s0, 0xc2ce8ed0, v10
	v_cndmask_b32_e64 v2, 0, v2, s0
	s_waitcnt lgkmcnt(0)
	v_add_co_u32 v47, s0, s8, v47
	s_delay_alu instid0(VALU_DEP_1) | instskip(SKIP_1) | instid1(VALU_DEP_1)
	v_add_co_ci_u32_e64 v48, s0, s9, v48, s0
	v_cmp_nlt_f32_e64 s0, 0x42b17218, v10
	v_cndmask_b32_e64 v10, 0x7f800000, v2, s0
	v_add_co_u32 v49, s0, s10, v49
	s_delay_alu instid0(VALU_DEP_1)
	v_add_co_ci_u32_e64 v50, s0, s11, v50, s0
	global_store_b32 v[47:48], v4, off
	global_store_b32 v[45:46], v10, off
	;; [unrolled: 1-line block ×3, first 2 shown]
.LBB191_9:
	s_or_b32 exec_lo, exec_lo, s2
	v_ashrrev_i32_e32 v4, 31, v0
	s_mov_b32 s1, exec_lo
	s_delay_alu instid0(VALU_DEP_1) | instskip(NEXT) | instid1(VALU_DEP_1)
	v_lshrrev_b32_e32 v2, 28, v4
	v_add_nc_u32_e32 v2, v0, v2
	s_delay_alu instid0(VALU_DEP_1) | instskip(NEXT) | instid1(VALU_DEP_1)
	v_ashrrev_i32_e32 v2, 4, v2
	v_lshrrev_b32_e32 v6, 28, v2
	s_delay_alu instid0(VALU_DEP_1) | instskip(NEXT) | instid1(VALU_DEP_1)
	v_add_nc_u32_e32 v6, v2, v6
	v_and_b32_e32 v6, -16, v6
	s_delay_alu instid0(VALU_DEP_1) | instskip(NEXT) | instid1(VALU_DEP_1)
	v_sub_nc_u32_e32 v6, v2, v6
	v_cmpx_eq_u32_e64 v9, v6
	s_cbranch_execz .LBB191_11
; %bb.10:
	v_lshrrev_b32_e32 v4, 24, v4
	v_lshlrev_b32_e32 v2, 4, v2
	s_delay_alu instid0(VALU_DEP_2) | instskip(NEXT) | instid1(VALU_DEP_2)
	v_add_nc_u32_e32 v4, v0, v4
	v_sub_nc_u32_e32 v0, v0, v2
	s_delay_alu instid0(VALU_DEP_2) | instskip(NEXT) | instid1(VALU_DEP_1)
	v_ashrrev_i32_e32 v2, 8, v4
	v_lshl_add_u32 v0, v2, 4, v0
	s_delay_alu instid0(VALU_DEP_1) | instskip(NEXT) | instid1(VALU_DEP_1)
	v_cmp_ne_u32_e64 s0, 15, v0
	v_cndmask_b32_e64 v7, 0xff800000, v7, s0
	v_cmp_ne_u32_e64 s0, 14, v0
	s_delay_alu instid0(VALU_DEP_1) | instskip(SKIP_1) | instid1(VALU_DEP_1)
	v_cndmask_b32_e64 v11, 0xff800000, v11, s0
	v_cmp_ne_u32_e64 s0, 13, v0
	v_cndmask_b32_e64 v12, 0xff800000, v12, s0
	v_cmp_ne_u32_e64 s0, 12, v0
	s_delay_alu instid0(VALU_DEP_1) | instskip(SKIP_1) | instid1(VALU_DEP_1)
	v_cndmask_b32_e64 v13, 0xff800000, v13, s0
	v_cmp_ne_u32_e64 s0, 11, v0
	v_cndmask_b32_e64 v15, 0xff800000, v15, s0
	v_cmp_ne_u32_e64 s0, 10, v0
	s_delay_alu instid0(VALU_DEP_1) | instskip(SKIP_1) | instid1(VALU_DEP_1)
	v_cndmask_b32_e64 v16, 0xff800000, v16, s0
	v_cmp_ne_u32_e64 s0, 9, v0
	v_cndmask_b32_e64 v17, 0xff800000, v17, s0
	v_cmp_ne_u32_e64 s0, 8, v0
	s_delay_alu instid0(VALU_DEP_1) | instskip(SKIP_1) | instid1(VALU_DEP_1)
	v_cndmask_b32_e64 v18, 0xff800000, v18, s0
	v_cmp_ne_u32_e64 s0, 7, v0
	v_cndmask_b32_e64 v19, 0xff800000, v19, s0
	v_cmp_ne_u32_e64 s0, 6, v0
	s_delay_alu instid0(VALU_DEP_1) | instskip(SKIP_1) | instid1(VALU_DEP_1)
	v_cndmask_b32_e64 v20, 0xff800000, v20, s0
	v_cmp_ne_u32_e64 s0, 5, v0
	v_cndmask_b32_e64 v21, 0xff800000, v21, s0
	v_cmp_ne_u32_e64 s0, 4, v0
	s_delay_alu instid0(VALU_DEP_1) | instskip(SKIP_1) | instid1(VALU_DEP_1)
	v_cndmask_b32_e64 v23, 0xff800000, v23, s0
	v_cmp_ne_u32_e64 s0, 3, v0
	v_cndmask_b32_e64 v25, 0xff800000, v25, s0
	v_cmp_ne_u32_e64 s0, 2, v0
	s_delay_alu instid0(VALU_DEP_1) | instskip(SKIP_1) | instid1(VALU_DEP_1)
	v_cndmask_b32_e64 v26, 0xff800000, v26, s0
	v_cmp_ne_u32_e64 s0, 1, v0
	v_cndmask_b32_e64 v27, 0xff800000, v27, s0
	v_cmp_ne_u32_e64 s0, 0, v0
	s_delay_alu instid0(VALU_DEP_1)
	v_cndmask_b32_e64 v24, 0xff800000, v24, s0
.LBB191_11:
	s_or_b32 exec_lo, exec_lo, s1
	s_cmp_eq_u32 s4, 1
	s_cbranch_scc1 .LBB191_18
; %bb.12:
	s_add_i32 s18, s18, s16
	v_add_nc_u32_e32 v0, 1, v5
	v_add3_u32 v6, s18, v44, v43
	v_add_nc_u32_e32 v2, 1, v3
	v_add_nc_u32_e32 v4, 1, v1
	s_add_i32 s14, s4, -1
	s_branch .LBB191_14
.LBB191_13:                             ;   in Loop: Header=BB191_14 Depth=1
	s_or_b32 exec_lo, exec_lo, s1
	v_add_nc_u32_e32 v6, s16, v6
	v_add_nc_u32_e32 v0, 1, v0
	;; [unrolled: 1-line block ×4, first 2 shown]
	s_add_i32 s14, s14, -1
	s_delay_alu instid0(SALU_CYCLE_1)
	s_cmp_eq_u32 s14, 0
	s_cbranch_scc1 .LBB191_18
.LBB191_14:                             ; =>This Inner Loop Header: Depth=1
	v_cmp_gt_f32_e64 s0, v27, v24
	s_delay_alu instid0(VALU_DEP_1) | instskip(SKIP_1) | instid1(VALU_DEP_2)
	v_cndmask_b32_e64 v3, v24, v27, s0
	v_cndmask_b32_e64 v1, v22, v28, s0
	v_cmp_gt_f32_e64 s0, v26, v3
	s_delay_alu instid0(VALU_DEP_1) | instskip(NEXT) | instid1(VALU_DEP_3)
	v_cndmask_b32_e64 v3, v3, v26, s0
	v_cndmask_b32_e64 v1, v1, v29, s0
	s_delay_alu instid0(VALU_DEP_2) | instskip(NEXT) | instid1(VALU_DEP_1)
	v_cmp_gt_f32_e64 s0, v25, v3
	v_cndmask_b32_e64 v3, v3, v25, s0
	s_delay_alu instid0(VALU_DEP_3) | instskip(NEXT) | instid1(VALU_DEP_2)
	v_cndmask_b32_e64 v1, v1, v30, s0
	v_cmp_gt_f32_e64 s0, v23, v3
	s_delay_alu instid0(VALU_DEP_1) | instskip(NEXT) | instid1(VALU_DEP_3)
	v_cndmask_b32_e64 v3, v3, v23, s0
	v_cndmask_b32_e64 v1, v1, v31, s0
	s_delay_alu instid0(VALU_DEP_2) | instskip(NEXT) | instid1(VALU_DEP_1)
	v_cmp_gt_f32_e64 s0, v21, v3
	v_cndmask_b32_e64 v3, v3, v21, s0
	s_delay_alu instid0(VALU_DEP_3) | instskip(NEXT) | instid1(VALU_DEP_2)
	;; [unrolled: 9-line block ×6, first 2 shown]
	v_cndmask_b32_e64 v1, v1, v40, s0
	v_cmp_gt_f32_e64 s0, v11, v3
	s_delay_alu instid0(VALU_DEP_1) | instskip(NEXT) | instid1(VALU_DEP_3)
	v_cndmask_b32_e64 v3, v3, v11, s0
	v_cndmask_b32_e64 v1, v1, v41, s0
	s_delay_alu instid0(VALU_DEP_2) | instskip(NEXT) | instid1(VALU_DEP_1)
	v_cmp_gt_f32_e64 s0, v7, v3
	v_cndmask_b32_e64 v1, v1, v42, s0
	v_cndmask_b32_e64 v3, v3, v7, s0
	s_delay_alu instid0(VALU_DEP_2) | instskip(NEXT) | instid1(VALU_DEP_2)
	v_mov_b32_dpp v5, v1 quad_perm:[1,0,3,2] row_mask:0xf bank_mask:0xf
	v_mov_b32_dpp v43, v3 quad_perm:[1,0,3,2] row_mask:0xf bank_mask:0xf
	s_delay_alu instid0(VALU_DEP_2) | instskip(NEXT) | instid1(VALU_DEP_2)
	v_cmp_lt_i32_e64 s0, v5, v1
	v_cmp_eq_f32_e64 s1, v3, v43
	v_cmp_lt_f32_e64 s2, v3, v43
	s_delay_alu instid0(VALU_DEP_2)
	s_and_b32 s0, s1, s0
	s_delay_alu instid0(VALU_DEP_1) | instid1(SALU_CYCLE_1)
	s_or_b32 s0, s2, s0
	s_delay_alu instid0(SALU_CYCLE_1) | instskip(SKIP_1) | instid1(VALU_DEP_2)
	v_cndmask_b32_e64 v3, v3, v43, s0
	v_cndmask_b32_e64 v1, v1, v5, s0
	v_mov_b32_dpp v5, v3 quad_perm:[2,3,0,1] row_mask:0xf bank_mask:0xf
	s_delay_alu instid0(VALU_DEP_2) | instskip(NEXT) | instid1(VALU_DEP_2)
	v_mov_b32_dpp v43, v1 quad_perm:[2,3,0,1] row_mask:0xf bank_mask:0xf
	v_cmp_eq_f32_e64 s0, v3, v5
	s_delay_alu instid0(VALU_DEP_2) | instskip(SKIP_1) | instid1(VALU_DEP_2)
	v_cmp_lt_i32_e64 s1, v43, v1
	v_cmp_lt_f32_e64 s2, v3, v5
	s_and_b32 s0, s0, s1
	s_delay_alu instid0(VALU_DEP_1) | instid1(SALU_CYCLE_1)
	s_or_b32 s0, s2, s0
	s_delay_alu instid0(SALU_CYCLE_1) | instskip(SKIP_1) | instid1(VALU_DEP_2)
	v_cndmask_b32_e64 v3, v3, v5, s0
	v_cndmask_b32_e64 v5, v1, v43, s0
	v_mov_b32_dpp v1, v3 row_half_mirror row_mask:0xf bank_mask:0xf
	s_delay_alu instid0(VALU_DEP_2) | instskip(NEXT) | instid1(VALU_DEP_2)
	v_mov_b32_dpp v43, v5 row_half_mirror row_mask:0xf bank_mask:0xf
	v_cmp_eq_f32_e64 s0, v3, v1
	s_delay_alu instid0(VALU_DEP_2) | instskip(SKIP_1) | instid1(VALU_DEP_2)
	v_cmp_lt_i32_e64 s1, v43, v5
	v_cmp_lt_f32_e64 s2, v3, v1
	s_and_b32 s0, s0, s1
	s_delay_alu instid0(VALU_DEP_1) | instid1(SALU_CYCLE_1)
	s_or_b32 s0, s2, s0
	s_delay_alu instid0(SALU_CYCLE_1) | instskip(SKIP_1) | instid1(VALU_DEP_2)
	v_cndmask_b32_e64 v1, v3, v1, s0
	v_cndmask_b32_e64 v5, v5, v43, s0
	v_mov_b32_dpp v3, v1 row_mirror row_mask:0xf bank_mask:0xf
	s_delay_alu instid0(VALU_DEP_2) | instskip(NEXT) | instid1(VALU_DEP_2)
	v_mov_b32_dpp v43, v5 row_mirror row_mask:0xf bank_mask:0xf
	v_cmp_eq_f32_e64 s0, v1, v3
	s_delay_alu instid0(VALU_DEP_2) | instskip(SKIP_1) | instid1(VALU_DEP_2)
	v_cmp_lt_i32_e64 s1, v43, v5
	v_cmp_lt_f32_e64 s2, v1, v3
	s_and_b32 s0, s0, s1
	s_delay_alu instid0(VALU_DEP_1) | instid1(SALU_CYCLE_1)
	s_or_b32 s0, s2, s0
	s_delay_alu instid0(SALU_CYCLE_1)
	v_cndmask_b32_e64 v43, v5, v43, s0
	s_and_saveexec_b32 s2, vcc_lo
	s_cbranch_execz .LBB191_16
; %bb.15:                               ;   in Loop: Header=BB191_14 Depth=1
	v_cndmask_b32_e64 v1, v1, v3, s0
	s_delay_alu instid0(VALU_DEP_2) | instskip(SKIP_4) | instid1(VALU_DEP_4)
	v_cmp_le_i32_e64 s0, s5, v43
	v_cmp_gt_i32_e64 s1, s6, v43
	v_ashrrev_i32_e32 v5, 31, v4
	v_subrev_nc_u32_e32 v51, s5, v43
	v_sub_f32_e32 v50, v1, v14
	s_and_b32 s0, s0, s1
	s_delay_alu instid0(SALU_CYCLE_1) | instskip(NEXT) | instid1(VALU_DEP_1)
	s_and_b32 s0, s17, s0
	v_mul_f32_e32 v1, 0x3fb8aa3b, v50
	s_delay_alu instid0(VALU_DEP_1) | instskip(SKIP_1) | instid1(VALU_DEP_2)
	v_fma_f32 v3, 0x3fb8aa3b, v50, -v1
	v_rndne_f32_e32 v44, v1
	v_fmac_f32_e32 v3, 0x32a5705f, v50
	s_delay_alu instid0(VALU_DEP_2) | instskip(SKIP_2) | instid1(VALU_DEP_3)
	v_sub_f32_e32 v1, v1, v44
	v_cvt_i32_f32_e32 v49, v44
	v_lshlrev_b64 v[44:45], 2, v[4:5]
	v_add_f32_e32 v1, v1, v3
	v_ashrrev_i32_e32 v3, 31, v2
	s_delay_alu instid0(VALU_DEP_2) | instskip(SKIP_1) | instid1(VALU_DEP_2)
	v_exp_f32_e32 v48, v1
	v_ashrrev_i32_e32 v1, 31, v0
	v_lshlrev_b64 v[46:47], 2, v[2:3]
	s_waitcnt_depctr 0xfff
	v_ldexp_f32 v3, v48, v49
	v_lshlrev_b64 v[48:49], 2, v[0:1]
	v_cndmask_b32_e64 v1, 0x100, v51, s0
	v_cmp_ngt_f32_e64 s0, 0xc2ce8ed0, v50
	s_delay_alu instid0(VALU_DEP_1) | instskip(SKIP_1) | instid1(VALU_DEP_1)
	v_cndmask_b32_e64 v3, 0, v3, s0
	v_add_co_u32 v44, s0, s12, v44
	v_add_co_ci_u32_e64 v45, s0, s13, v45, s0
	v_cmp_nlt_f32_e64 s0, 0x42b17218, v50
	s_delay_alu instid0(VALU_DEP_1) | instskip(SKIP_2) | instid1(VALU_DEP_1)
	v_cndmask_b32_e64 v3, 0x7f800000, v3, s0
	s_waitcnt lgkmcnt(0)
	v_add_co_u32 v46, s0, s8, v46
	v_add_co_ci_u32_e64 v47, s0, s9, v47, s0
	s_delay_alu instid0(VALU_DEP_3) | instskip(SKIP_1) | instid1(VALU_DEP_1)
	v_add_f32_e32 v10, v10, v3
	v_add_co_u32 v48, s0, s10, v48
	v_add_co_ci_u32_e64 v49, s0, s11, v49, s0
	global_store_b32 v[44:45], v3, off
	global_store_b32 v[46:47], v1, off
	;; [unrolled: 1-line block ×3, first 2 shown]
.LBB191_16:                             ;   in Loop: Header=BB191_14 Depth=1
	s_or_b32 exec_lo, exec_lo, s2
	s_delay_alu instid0(VALU_DEP_1) | instskip(SKIP_1) | instid1(VALU_DEP_1)
	v_ashrrev_i32_e32 v3, 31, v43
	s_mov_b32 s1, exec_lo
	v_lshrrev_b32_e32 v1, 28, v3
	s_delay_alu instid0(VALU_DEP_1) | instskip(NEXT) | instid1(VALU_DEP_1)
	v_add_nc_u32_e32 v1, v43, v1
	v_ashrrev_i32_e32 v1, 4, v1
	s_delay_alu instid0(VALU_DEP_1) | instskip(NEXT) | instid1(VALU_DEP_1)
	v_lshrrev_b32_e32 v5, 28, v1
	v_add_nc_u32_e32 v5, v1, v5
	s_delay_alu instid0(VALU_DEP_1) | instskip(NEXT) | instid1(VALU_DEP_1)
	v_and_b32_e32 v5, -16, v5
	v_sub_nc_u32_e32 v5, v1, v5
	s_delay_alu instid0(VALU_DEP_1)
	v_cmpx_eq_u32_e64 v9, v5
	s_cbranch_execz .LBB191_13
; %bb.17:                               ;   in Loop: Header=BB191_14 Depth=1
	v_lshrrev_b32_e32 v3, 24, v3
	v_lshlrev_b32_e32 v1, 4, v1
	s_delay_alu instid0(VALU_DEP_2) | instskip(NEXT) | instid1(VALU_DEP_2)
	v_add_nc_u32_e32 v3, v43, v3
	v_sub_nc_u32_e32 v1, v43, v1
	s_delay_alu instid0(VALU_DEP_2) | instskip(NEXT) | instid1(VALU_DEP_1)
	v_ashrrev_i32_e32 v3, 8, v3
	v_lshl_add_u32 v1, v3, 4, v1
	s_delay_alu instid0(VALU_DEP_1) | instskip(NEXT) | instid1(VALU_DEP_1)
	v_cmp_ne_u32_e64 s0, 15, v1
	v_cndmask_b32_e64 v7, 0xff800000, v7, s0
	v_cmp_ne_u32_e64 s0, 14, v1
	s_delay_alu instid0(VALU_DEP_1) | instskip(SKIP_1) | instid1(VALU_DEP_1)
	v_cndmask_b32_e64 v11, 0xff800000, v11, s0
	v_cmp_ne_u32_e64 s0, 13, v1
	v_cndmask_b32_e64 v12, 0xff800000, v12, s0
	v_cmp_ne_u32_e64 s0, 12, v1
	s_delay_alu instid0(VALU_DEP_1) | instskip(SKIP_1) | instid1(VALU_DEP_1)
	v_cndmask_b32_e64 v13, 0xff800000, v13, s0
	;; [unrolled: 5-line block ×7, first 2 shown]
	v_cmp_ne_u32_e64 s0, 1, v1
	v_cndmask_b32_e64 v27, 0xff800000, v27, s0
	v_cmp_ne_u32_e64 s0, 0, v1
	s_delay_alu instid0(VALU_DEP_1)
	v_cndmask_b32_e64 v24, 0xff800000, v24, s0
	s_branch .LBB191_13
.LBB191_18:
	s_delay_alu instid0(VALU_DEP_1) | instskip(SKIP_4) | instid1(VALU_DEP_4)
	v_sub_f32_e32 v5, v25, v14
	v_sub_f32_e32 v0, v24, v14
	;; [unrolled: 1-line block ×5, first 2 shown]
	v_dual_mul_f32 v27, 0x3fb8aa3b, v5 :: v_dual_mul_f32 v2, 0x3fb8aa3b, v0
	s_delay_alu instid0(VALU_DEP_4) | instskip(SKIP_1) | instid1(VALU_DEP_3)
	v_dual_sub_f32 v3, v26, v14 :: v_dual_mul_f32 v4, 0x3fb8aa3b, v1
	v_cmp_ngt_f32_e32 vcc_lo, 0xc2ce8ed0, v0
	v_rndne_f32_e32 v30, v27
	s_delay_alu instid0(VALU_DEP_4) | instskip(NEXT) | instid1(VALU_DEP_4)
	v_fma_f32 v22, 0x3fb8aa3b, v0, -v2
	v_mul_f32_e32 v26, 0x3fb8aa3b, v3
	v_fma_f32 v29, 0x3fb8aa3b, v5, -v27
	v_sub_f32_e32 v6, v23, v14
	v_rndne_f32_e32 v23, v2
	v_fma_f32 v24, 0x3fb8aa3b, v1, -v4
	v_rndne_f32_e32 v25, v4
	v_dual_fmac_f32 v29, 0x32a5705f, v5 :: v_dual_fmac_f32 v22, 0x32a5705f, v0
	s_delay_alu instid0(VALU_DEP_4) | instskip(NEXT) | instid1(VALU_DEP_4)
	v_sub_f32_e32 v2, v2, v23
	v_fmac_f32_e32 v24, 0x32a5705f, v1
	s_delay_alu instid0(VALU_DEP_4) | instskip(SKIP_1) | instid1(VALU_DEP_4)
	v_dual_sub_f32 v4, v4, v25 :: v_dual_sub_f32 v21, v21, v14
	v_cvt_i32_f32_e32 v23, v23
	v_add_f32_e32 v2, v2, v22
	v_fma_f32 v22, 0x3fb8aa3b, v3, -v26
	s_delay_alu instid0(VALU_DEP_4)
	v_add_f32_e32 v4, v4, v24
	v_rndne_f32_e32 v24, v26
	v_cvt_i32_f32_e32 v25, v25
	v_exp_f32_e32 v2, v2
	v_fmac_f32_e32 v22, 0x32a5705f, v3
	v_exp_f32_e32 v4, v4
	v_sub_f32_e32 v26, v26, v24
	v_cvt_i32_f32_e32 v24, v24
	v_sub_f32_e32 v19, v19, v14
	v_sub_f32_e32 v15, v15, v14
	;; [unrolled: 1-line block ×3, first 2 shown]
	v_add_f32_e32 v22, v26, v22
	s_delay_alu instid0(TRANS32_DEP_2) | instskip(SKIP_1) | instid1(TRANS32_DEP_1)
	v_ldexp_f32 v2, v2, v23
	v_sub_f32_e32 v23, v27, v30
	v_ldexp_f32 v4, v4, v25
	s_delay_alu instid0(VALU_DEP_4) | instskip(NEXT) | instid1(VALU_DEP_3)
	v_exp_f32_e32 v22, v22
	v_cndmask_b32_e32 v2, 0, v2, vcc_lo
	v_cmp_ngt_f32_e32 vcc_lo, 0xc2ce8ed0, v1
	s_delay_alu instid0(VALU_DEP_3) | instskip(SKIP_1) | instid1(VALU_DEP_2)
	v_dual_add_f32 v23, v23, v29 :: v_dual_cndmask_b32 v4, 0, v4
	v_cmp_nlt_f32_e32 vcc_lo, 0x42b17218, v0
	v_exp_f32_e32 v23, v23
	v_cndmask_b32_e32 v0, 0x7f800000, v2, vcc_lo
	v_cmp_nlt_f32_e32 vcc_lo, 0x42b17218, v1
	v_cndmask_b32_e32 v1, 0x7f800000, v4, vcc_lo
	s_delay_alu instid0(TRANS32_DEP_2) | instskip(SKIP_1) | instid1(VALU_DEP_2)
	v_ldexp_f32 v4, v22, v24
	v_cmp_ngt_f32_e32 vcc_lo, 0xc2ce8ed0, v3
	v_dual_add_f32 v0, v0, v1 :: v_dual_cndmask_b32 v1, 0, v4
	v_cvt_i32_f32_e32 v4, v30
	v_cmp_nlt_f32_e32 vcc_lo, 0x42b17218, v3
	s_delay_alu instid0(TRANS32_DEP_1) | instid1(VALU_DEP_2)
	v_ldexp_f32 v3, v23, v4
	s_delay_alu instid0(VALU_DEP_4) | instskip(SKIP_3) | instid1(VALU_DEP_4)
	v_cndmask_b32_e32 v1, 0x7f800000, v1, vcc_lo
	v_cmp_ngt_f32_e32 vcc_lo, 0xc2ce8ed0, v5
	v_mul_f32_e32 v28, 0x3fb8aa3b, v6
	v_mul_f32_e32 v4, 0x3fb8aa3b, v21
	v_dual_add_f32 v0, v0, v1 :: v_dual_cndmask_b32 v1, 0, v3
	s_delay_alu instid0(VALU_DEP_3) | instskip(SKIP_1) | instid1(VALU_DEP_4)
	v_fma_f32 v2, 0x3fb8aa3b, v6, -v28
	v_rndne_f32_e32 v22, v28
	v_fma_f32 v3, 0x3fb8aa3b, v21, -v4
	v_rndne_f32_e32 v23, v4
	v_cmp_nlt_f32_e32 vcc_lo, 0x42b17218, v5
	v_fmac_f32_e32 v2, 0x32a5705f, v6
	v_sub_f32_e32 v24, v28, v22
	v_cvt_i32_f32_e32 v5, v22
	v_fmac_f32_e32 v3, 0x32a5705f, v21
	v_dual_cndmask_b32 v1, 0x7f800000, v1 :: v_dual_sub_f32 v4, v4, v23
	s_delay_alu instid0(VALU_DEP_4) | instskip(SKIP_1) | instid1(VALU_DEP_3)
	v_add_f32_e32 v2, v24, v2
	v_cmp_ngt_f32_e32 vcc_lo, 0xc2ce8ed0, v6
	v_add_f32_e32 v0, v0, v1
	s_delay_alu instid0(VALU_DEP_3) | instskip(SKIP_2) | instid1(VALU_DEP_1)
	v_exp_f32_e32 v2, v2
	s_waitcnt_depctr 0xfff
	v_ldexp_f32 v1, v2, v5
	v_dual_add_f32 v2, v4, v3 :: v_dual_cndmask_b32 v1, 0, v1
	s_delay_alu instid0(VALU_DEP_1) | instskip(SKIP_2) | instid1(VALU_DEP_3)
	v_exp_f32_e32 v2, v2
	v_cmp_nlt_f32_e32 vcc_lo, 0x42b17218, v6
	v_cvt_i32_f32_e32 v6, v23
	v_cndmask_b32_e32 v1, 0x7f800000, v1, vcc_lo
	v_cmp_ngt_f32_e32 vcc_lo, 0xc2ce8ed0, v21
	s_delay_alu instid0(VALU_DEP_2) | instskip(SKIP_2) | instid1(VALU_DEP_1)
	v_add_f32_e32 v0, v0, v1
	s_waitcnt_depctr 0xfff
	v_ldexp_f32 v1, v2, v6
	v_cndmask_b32_e32 v1, 0, v1, vcc_lo
	v_cmp_nlt_f32_e32 vcc_lo, 0x42b17218, v21
	v_mul_f32_e32 v21, 0x3fb8aa3b, v15
	s_delay_alu instid0(VALU_DEP_3) | instskip(SKIP_2) | instid1(VALU_DEP_3)
	v_cndmask_b32_e32 v1, 0x7f800000, v1, vcc_lo
	v_mul_f32_e32 v22, 0x3fb8aa3b, v20
	v_cmp_ngt_f32_e32 vcc_lo, 0xc2ce8ed0, v20
	v_add_f32_e32 v0, v0, v1
	s_delay_alu instid0(VALU_DEP_3) | instskip(SKIP_1) | instid1(VALU_DEP_2)
	v_fma_f32 v3, 0x3fb8aa3b, v20, -v22
	v_rndne_f32_e32 v4, v22
	v_fmac_f32_e32 v3, 0x32a5705f, v20
	s_delay_alu instid0(VALU_DEP_2) | instskip(SKIP_1) | instid1(VALU_DEP_2)
	v_sub_f32_e32 v5, v22, v4
	v_cvt_i32_f32_e32 v4, v4
	v_add_f32_e32 v3, v5, v3
	v_mul_f32_e32 v5, 0x3fb8aa3b, v19
	s_delay_alu instid0(VALU_DEP_2) | instskip(NEXT) | instid1(VALU_DEP_1)
	v_exp_f32_e32 v2, v3
	v_fma_f32 v3, 0x3fb8aa3b, v19, -v5
	v_rndne_f32_e32 v6, v5
	s_delay_alu instid0(VALU_DEP_2) | instskip(NEXT) | instid1(VALU_DEP_2)
	v_fmac_f32_e32 v3, 0x32a5705f, v19
	v_sub_f32_e32 v5, v5, v6
	v_cvt_i32_f32_e32 v6, v6
	s_waitcnt_depctr 0xfff
	v_ldexp_f32 v2, v2, v4
	v_add_f32_e32 v3, v5, v3
	v_sub_f32_e32 v5, v17, v14
	v_sub_f32_e32 v16, v16, v14
	s_delay_alu instid0(VALU_DEP_4)
	v_cndmask_b32_e32 v1, 0, v2, vcc_lo
	v_cmp_nlt_f32_e32 vcc_lo, 0x42b17218, v20
	v_sub_f32_e32 v4, v18, v14
	v_exp_f32_e32 v2, v3
	v_mul_f32_e32 v20, 0x3fb8aa3b, v5
	v_cndmask_b32_e32 v1, 0x7f800000, v1, vcc_lo
	s_delay_alu instid0(VALU_DEP_3) | instskip(SKIP_1) | instid1(VALU_DEP_3)
	v_mul_f32_e32 v3, 0x3fb8aa3b, v4
	v_cmp_ngt_f32_e32 vcc_lo, 0xc2ce8ed0, v19
	v_add_f32_e32 v0, v0, v1
	s_delay_alu instid0(VALU_DEP_3) | instskip(SKIP_1) | instid1(TRANS32_DEP_1)
	v_fma_f32 v17, 0x3fb8aa3b, v4, -v3
	v_rndne_f32_e32 v18, v3
	v_ldexp_f32 v1, v2, v6
	v_rndne_f32_e32 v6, v20
	s_delay_alu instid0(VALU_DEP_3) | instskip(NEXT) | instid1(VALU_DEP_3)
	v_dual_fmac_f32 v17, 0x32a5705f, v4 :: v_dual_sub_f32 v2, v3, v18
	v_cndmask_b32_e32 v1, 0, v1, vcc_lo
	v_fma_f32 v3, 0x3fb8aa3b, v5, -v20
	v_cmp_nlt_f32_e32 vcc_lo, 0x42b17218, v19
	v_cvt_i32_f32_e32 v18, v18
	v_dual_add_f32 v2, v2, v17 :: v_dual_sub_f32 v17, v20, v6
	s_delay_alu instid0(VALU_DEP_4) | instskip(SKIP_1) | instid1(VALU_DEP_3)
	v_fmac_f32_e32 v3, 0x32a5705f, v5
	v_mul_f32_e32 v20, 0x3fb8aa3b, v16
	v_exp_f32_e32 v2, v2
	s_delay_alu instid0(VALU_DEP_2) | instskip(NEXT) | instid1(VALU_DEP_2)
	v_add_f32_e32 v3, v17, v3
	v_fma_f32 v17, 0x3fb8aa3b, v16, -v20
	v_rndne_f32_e32 v19, v20
	v_cndmask_b32_e32 v1, 0x7f800000, v1, vcc_lo
	v_cmp_ngt_f32_e32 vcc_lo, 0xc2ce8ed0, v4
	v_exp_f32_e32 v3, v3
	s_delay_alu instid0(VALU_DEP_3) | instskip(NEXT) | instid1(VALU_DEP_3)
	v_dual_fmac_f32 v17, 0x32a5705f, v16 :: v_dual_sub_f32 v20, v20, v19
	v_add_f32_e32 v0, v0, v1
	s_delay_alu instid0(TRANS32_DEP_2)
	v_ldexp_f32 v1, v2, v18
	v_cvt_i32_f32_e32 v2, v6
	v_rndne_f32_e32 v18, v21
	v_add_f32_e32 v6, v20, v17
	v_fma_f32 v17, 0x3fb8aa3b, v15, -v21
	v_cndmask_b32_e32 v1, 0, v1, vcc_lo
	s_delay_alu instid0(TRANS32_DEP_1)
	v_ldexp_f32 v2, v3, v2
	v_cmp_nlt_f32_e32 vcc_lo, 0x42b17218, v4
	v_exp_f32_e32 v3, v6
	v_sub_f32_e32 v6, v21, v18
	v_cvt_i32_f32_e32 v4, v19
	v_fmac_f32_e32 v17, 0x32a5705f, v15
	v_cndmask_b32_e32 v1, 0x7f800000, v1, vcc_lo
	v_cmp_ngt_f32_e32 vcc_lo, 0xc2ce8ed0, v5
	s_delay_alu instid0(VALU_DEP_2) | instskip(NEXT) | instid1(TRANS32_DEP_1)
	v_add_f32_e32 v0, v0, v1
	v_ldexp_f32 v1, v3, v4
	v_cndmask_b32_e32 v2, 0, v2, vcc_lo
	v_cmp_nlt_f32_e32 vcc_lo, 0x42b17218, v5
	v_dual_sub_f32 v4, v13, v14 :: v_dual_mul_f32 v13, 0x3fb8aa3b, v11
	s_delay_alu instid0(VALU_DEP_3) | instskip(SKIP_1) | instid1(VALU_DEP_3)
	v_cndmask_b32_e32 v2, 0x7f800000, v2, vcc_lo
	v_cmp_ngt_f32_e32 vcc_lo, 0xc2ce8ed0, v16
	v_mul_f32_e32 v5, 0x3fb8aa3b, v4
	v_cndmask_b32_e32 v1, 0, v1, vcc_lo
	v_cmp_nlt_f32_e32 vcc_lo, 0x42b17218, v16
	v_add_f32_e32 v0, v0, v2
	v_cvt_i32_f32_e32 v2, v18
	s_delay_alu instid0(VALU_DEP_4) | instskip(SKIP_1) | instid1(VALU_DEP_2)
	v_cndmask_b32_e32 v1, 0x7f800000, v1, vcc_lo
	v_cmp_ngt_f32_e32 vcc_lo, 0xc2ce8ed0, v15
	v_add_f32_e32 v0, v0, v1
	v_fma_f32 v1, 0x3fb8aa3b, v4, -v5
	s_delay_alu instid0(VALU_DEP_1) | instskip(NEXT) | instid1(VALU_DEP_1)
	v_dual_add_f32 v6, v6, v17 :: v_dual_fmac_f32 v1, 0x32a5705f, v4
	v_exp_f32_e32 v3, v6
	v_sub_f32_e32 v6, v12, v14
	v_fma_f32 v14, 0x3fb8aa3b, v11, -v13
	s_delay_alu instid0(VALU_DEP_1) | instskip(SKIP_3) | instid1(VALU_DEP_1)
	v_fmac_f32_e32 v14, 0x32a5705f, v11
	s_waitcnt_depctr 0xfff
	v_ldexp_f32 v2, v3, v2
	v_rndne_f32_e32 v3, v5
	v_dual_cndmask_b32 v2, 0, v2 :: v_dual_sub_f32 v5, v5, v3
	v_cmp_nlt_f32_e32 vcc_lo, 0x42b17218, v15
	v_cvt_i32_f32_e32 v3, v3
	v_rndne_f32_e32 v15, v13
	s_delay_alu instid0(VALU_DEP_4) | instskip(SKIP_1) | instid1(VALU_DEP_2)
	v_dual_add_f32 v1, v5, v1 :: v_dual_cndmask_b32 v2, 0x7f800000, v2
	v_cmp_ngt_f32_e32 vcc_lo, 0xc2ce8ed0, v4
	v_exp_f32_e32 v1, v1
	s_waitcnt_depctr 0xfff
	v_ldexp_f32 v1, v1, v3
	s_delay_alu instid0(VALU_DEP_1) | instskip(NEXT) | instid1(VALU_DEP_1)
	v_dual_mul_f32 v12, 0x3fb8aa3b, v6 :: v_dual_cndmask_b32 v1, 0, v1
	v_rndne_f32_e32 v5, v12
	v_cmp_nlt_f32_e32 vcc_lo, 0x42b17218, v4
	v_add_f32_e32 v0, v0, v2
	v_fma_f32 v2, 0x3fb8aa3b, v6, -v12
	v_cvt_i32_f32_e32 v4, v15
	v_sub_f32_e32 v12, v12, v5
	v_cndmask_b32_e32 v1, 0x7f800000, v1, vcc_lo
	v_cvt_i32_f32_e32 v5, v5
	v_fmac_f32_e32 v2, 0x32a5705f, v6
	s_delay_alu instid0(VALU_DEP_3) | instskip(NEXT) | instid1(VALU_DEP_2)
	v_add_f32_e32 v0, v0, v1
	v_add_f32_e32 v2, v12, v2
	v_sub_f32_e32 v12, v13, v15
	v_mul_f32_e32 v16, 0x3fb8aa3b, v7
	s_delay_alu instid0(VALU_DEP_3) | instskip(NEXT) | instid1(VALU_DEP_2)
	v_exp_f32_e32 v2, v2
	v_add_f32_e32 v3, v12, v14
	s_delay_alu instid0(VALU_DEP_2) | instskip(SKIP_1) | instid1(VALU_DEP_3)
	v_fma_f32 v13, 0x3fb8aa3b, v7, -v16
	v_rndne_f32_e32 v17, v16
	v_exp_f32_e32 v3, v3
	s_delay_alu instid0(VALU_DEP_1) | instskip(SKIP_1) | instid1(TRANS32_DEP_2)
	v_dual_fmac_f32 v13, 0x32a5705f, v7 :: v_dual_sub_f32 v12, v16, v17
	v_cmp_ngt_f32_e32 vcc_lo, 0xc2ce8ed0, v6
	v_ldexp_f32 v2, v2, v5
	s_delay_alu instid0(VALU_DEP_3) | instskip(NEXT) | instid1(VALU_DEP_2)
	v_add_f32_e32 v12, v12, v13
	v_cndmask_b32_e32 v2, 0, v2, vcc_lo
	v_cmp_nlt_f32_e32 vcc_lo, 0x42b17218, v6
	s_delay_alu instid0(TRANS32_DEP_1) | instskip(NEXT) | instid1(VALU_DEP_4)
	v_ldexp_f32 v1, v3, v4
	v_exp_f32_e32 v5, v12
	v_cvt_i32_f32_e32 v3, v17
	v_cndmask_b32_e32 v2, 0x7f800000, v2, vcc_lo
	v_cmp_ngt_f32_e32 vcc_lo, 0xc2ce8ed0, v11
	s_delay_alu instid0(VALU_DEP_2)
	v_dual_add_f32 v0, v0, v2 :: v_dual_cndmask_b32 v1, 0, v1
	v_cmp_nlt_f32_e32 vcc_lo, 0x42b17218, v11
	s_waitcnt_depctr 0xfff
	v_ldexp_f32 v3, v5, v3
	v_cndmask_b32_e32 v1, 0x7f800000, v1, vcc_lo
	v_cmp_ngt_f32_e32 vcc_lo, 0xc2ce8ed0, v7
	s_delay_alu instid0(VALU_DEP_2) | instskip(NEXT) | instid1(VALU_DEP_4)
	v_add_f32_e32 v0, v0, v1
	v_cndmask_b32_e32 v2, 0, v3, vcc_lo
	v_cmp_nlt_f32_e32 vcc_lo, 0x42b17218, v7
	s_delay_alu instid0(VALU_DEP_2) | instskip(SKIP_1) | instid1(VALU_DEP_2)
	v_cndmask_b32_e32 v1, 0x7f800000, v2, vcc_lo
	v_cmp_eq_u32_e32 vcc_lo, 0, v9
	v_add_f32_e32 v0, v0, v1
	s_delay_alu instid0(VALU_DEP_1) | instskip(NEXT) | instid1(VALU_DEP_1)
	v_mov_b32_dpp v1, v0 quad_perm:[1,0,3,2] row_mask:0xf bank_mask:0xf
	v_add_f32_e32 v0, v0, v1
	s_delay_alu instid0(VALU_DEP_1) | instskip(NEXT) | instid1(VALU_DEP_1)
	v_mov_b32_dpp v1, v0 quad_perm:[2,3,0,1] row_mask:0xf bank_mask:0xf
	v_add_f32_e32 v0, v0, v1
	s_delay_alu instid0(VALU_DEP_1) | instskip(NEXT) | instid1(VALU_DEP_1)
	v_mov_b32_dpp v1, v0 row_half_mirror row_mask:0xf bank_mask:0xf
	v_add_f32_e32 v0, v0, v1
	s_delay_alu instid0(VALU_DEP_1)
	v_mov_b32_dpp v1, v0 row_mirror row_mask:0xf bank_mask:0xf
	s_and_b32 exec_lo, exec_lo, vcc_lo
	s_cbranch_execz .LBB191_23
; %bb.19:
	s_delay_alu instid0(VALU_DEP_1) | instskip(NEXT) | instid1(VALU_DEP_1)
	v_add_f32_e32 v0, v0, v1
	v_add_f32_e32 v0, v10, v0
	s_delay_alu instid0(VALU_DEP_1)
	v_cmp_neq_f32_e32 vcc_lo, 0, v0
	s_and_b32 exec_lo, exec_lo, vcc_lo
	s_cbranch_execz .LBB191_23
; %bb.20:
	s_and_not1_b32 vcc_lo, exec_lo, s3
	s_cbranch_vccnz .LBB191_23
; %bb.21:
	v_div_scale_f32 v2, null, v0, v0, 1.0
	v_div_scale_f32 v4, vcc_lo, 1.0, v0, 1.0
	s_delay_alu instid0(VALU_DEP_2) | instskip(SKIP_2) | instid1(VALU_DEP_1)
	v_rcp_f32_e32 v3, v2
	s_waitcnt_depctr 0xfff
	v_fma_f32 v1, -v2, v3, 1.0
	v_fmac_f32_e32 v3, v1, v3
	v_mul_lo_u32 v1, v8, s7
	s_delay_alu instid0(VALU_DEP_2) | instskip(NEXT) | instid1(VALU_DEP_1)
	v_mul_f32_e32 v5, v4, v3
	v_fma_f32 v6, -v2, v5, v4
	s_delay_alu instid0(VALU_DEP_1) | instskip(NEXT) | instid1(VALU_DEP_1)
	v_fmac_f32_e32 v5, v6, v3
	v_fma_f32 v4, -v2, v5, v4
	v_ashrrev_i32_e32 v2, 31, v1
	s_delay_alu instid0(VALU_DEP_2) | instskip(NEXT) | instid1(VALU_DEP_2)
	v_div_fmas_f32 v5, v4, v3, v5
	v_lshlrev_b64 v[3:4], 2, v[1:2]
	s_delay_alu instid0(VALU_DEP_2) | instskip(NEXT) | instid1(VALU_DEP_2)
	v_div_fixup_f32 v2, v5, v0, 1.0
	v_add_co_u32 v0, vcc_lo, s12, v3
	s_delay_alu instid0(VALU_DEP_3)
	v_add_co_ci_u32_e32 v1, vcc_lo, s13, v4, vcc_lo
.LBB191_22:                             ; =>This Inner Loop Header: Depth=1
	global_load_b32 v3, v[0:1], off
	s_add_i32 s4, s4, -1
	s_delay_alu instid0(SALU_CYCLE_1)
	s_cmp_lg_u32 s4, 0
	s_waitcnt vmcnt(0)
	v_mul_f32_e32 v3, v2, v3
	global_store_b32 v[0:1], v3, off
	v_add_co_u32 v0, vcc_lo, v0, 4
	v_add_co_ci_u32_e32 v1, vcc_lo, 0, v1, vcc_lo
	s_cbranch_scc1 .LBB191_22
.LBB191_23:
	s_nop 0
	s_sendmsg sendmsg(MSG_DEALLOC_VGPRS)
	s_endpgm
	.section	.rodata,"a",@progbits
	.p2align	6, 0x0
	.amdhsa_kernel _ZN4vllm3moe17topkGatingSoftmaxIDF16_Li16ELi256ELi8ELi32ELb0ELi2ELNS0_23SharedExpertScoringFuncE1EEEvPKT_PKbPfiPiS9_iiiiii
		.amdhsa_group_segment_fixed_size 0
		.amdhsa_private_segment_fixed_size 0
		.amdhsa_kernarg_size 72
		.amdhsa_user_sgpr_count 15
		.amdhsa_user_sgpr_dispatch_ptr 0
		.amdhsa_user_sgpr_queue_ptr 0
		.amdhsa_user_sgpr_kernarg_segment_ptr 1
		.amdhsa_user_sgpr_dispatch_id 0
		.amdhsa_user_sgpr_private_segment_size 0
		.amdhsa_wavefront_size32 1
		.amdhsa_uses_dynamic_stack 0
		.amdhsa_enable_private_segment 0
		.amdhsa_system_sgpr_workgroup_id_x 1
		.amdhsa_system_sgpr_workgroup_id_y 0
		.amdhsa_system_sgpr_workgroup_id_z 0
		.amdhsa_system_sgpr_workgroup_info 0
		.amdhsa_system_vgpr_workitem_id 1
		.amdhsa_next_free_vgpr 53
		.amdhsa_next_free_sgpr 19
		.amdhsa_reserve_vcc 1
		.amdhsa_float_round_mode_32 0
		.amdhsa_float_round_mode_16_64 0
		.amdhsa_float_denorm_mode_32 3
		.amdhsa_float_denorm_mode_16_64 3
		.amdhsa_dx10_clamp 1
		.amdhsa_ieee_mode 1
		.amdhsa_fp16_overflow 0
		.amdhsa_workgroup_processor_mode 1
		.amdhsa_memory_ordered 1
		.amdhsa_forward_progress 0
		.amdhsa_shared_vgpr_count 0
		.amdhsa_exception_fp_ieee_invalid_op 0
		.amdhsa_exception_fp_denorm_src 0
		.amdhsa_exception_fp_ieee_div_zero 0
		.amdhsa_exception_fp_ieee_overflow 0
		.amdhsa_exception_fp_ieee_underflow 0
		.amdhsa_exception_fp_ieee_inexact 0
		.amdhsa_exception_int_div_zero 0
	.end_amdhsa_kernel
	.section	.text._ZN4vllm3moe17topkGatingSoftmaxIDF16_Li16ELi256ELi8ELi32ELb0ELi2ELNS0_23SharedExpertScoringFuncE1EEEvPKT_PKbPfiPiS9_iiiiii,"axG",@progbits,_ZN4vllm3moe17topkGatingSoftmaxIDF16_Li16ELi256ELi8ELi32ELb0ELi2ELNS0_23SharedExpertScoringFuncE1EEEvPKT_PKbPfiPiS9_iiiiii,comdat
.Lfunc_end191:
	.size	_ZN4vllm3moe17topkGatingSoftmaxIDF16_Li16ELi256ELi8ELi32ELb0ELi2ELNS0_23SharedExpertScoringFuncE1EEEvPKT_PKbPfiPiS9_iiiiii, .Lfunc_end191-_ZN4vllm3moe17topkGatingSoftmaxIDF16_Li16ELi256ELi8ELi32ELb0ELi2ELNS0_23SharedExpertScoringFuncE1EEEvPKT_PKbPfiPiS9_iiiiii
                                        ; -- End function
	.section	.AMDGPU.csdata,"",@progbits
; Kernel info:
; codeLenInByte = 5688
; NumSgprs: 21
; NumVgprs: 53
; ScratchSize: 0
; MemoryBound: 0
; FloatMode: 240
; IeeeMode: 1
; LDSByteSize: 0 bytes/workgroup (compile time only)
; SGPRBlocks: 2
; VGPRBlocks: 6
; NumSGPRsForWavesPerEU: 21
; NumVGPRsForWavesPerEU: 53
; Occupancy: 16
; WaveLimiterHint : 0
; COMPUTE_PGM_RSRC2:SCRATCH_EN: 0
; COMPUTE_PGM_RSRC2:USER_SGPR: 15
; COMPUTE_PGM_RSRC2:TRAP_HANDLER: 0
; COMPUTE_PGM_RSRC2:TGID_X_EN: 1
; COMPUTE_PGM_RSRC2:TGID_Y_EN: 0
; COMPUTE_PGM_RSRC2:TGID_Z_EN: 0
; COMPUTE_PGM_RSRC2:TIDIG_COMP_CNT: 1
	.section	.text._ZN4vllm3moe17topkGatingSoftmaxIDF16_Li16ELi256ELi8ELi32ELb1ELi4ELNS0_23SharedExpertScoringFuncE1EEEvPKT_PKbPfiPiS9_iiiiii,"axG",@progbits,_ZN4vllm3moe17topkGatingSoftmaxIDF16_Li16ELi256ELi8ELi32ELb1ELi4ELNS0_23SharedExpertScoringFuncE1EEEvPKT_PKbPfiPiS9_iiiiii,comdat
	.protected	_ZN4vllm3moe17topkGatingSoftmaxIDF16_Li16ELi256ELi8ELi32ELb1ELi4ELNS0_23SharedExpertScoringFuncE1EEEvPKT_PKbPfiPiS9_iiiiii ; -- Begin function _ZN4vllm3moe17topkGatingSoftmaxIDF16_Li16ELi256ELi8ELi32ELb1ELi4ELNS0_23SharedExpertScoringFuncE1EEEvPKT_PKbPfiPiS9_iiiiii
	.globl	_ZN4vllm3moe17topkGatingSoftmaxIDF16_Li16ELi256ELi8ELi32ELb1ELi4ELNS0_23SharedExpertScoringFuncE1EEEvPKT_PKbPfiPiS9_iiiiii
	.p2align	8
	.type	_ZN4vllm3moe17topkGatingSoftmaxIDF16_Li16ELi256ELi8ELi32ELb1ELi4ELNS0_23SharedExpertScoringFuncE1EEEvPKT_PKbPfiPiS9_iiiiii,@function
_ZN4vllm3moe17topkGatingSoftmaxIDF16_Li16ELi256ELi8ELi32ELb1ELi4ELNS0_23SharedExpertScoringFuncE1EEEvPKT_PKbPfiPiS9_iiiiii: ; @_ZN4vllm3moe17topkGatingSoftmaxIDF16_Li16ELi256ELi8ELi32ELb1ELi4ELNS0_23SharedExpertScoringFuncE1EEEvPKT_PKbPfiPiS9_iiiiii
; %bb.0:
	s_load_b32 s16, s[0:1], 0x18
	v_bfe_u32 v1, v0, 10, 10
	v_and_b32_e32 v0, 0x3ff, v0
	s_lshl_b32 s18, s15, 4
	s_mov_b32 s2, exec_lo
	s_delay_alu instid0(VALU_DEP_2) | instskip(NEXT) | instid1(VALU_DEP_2)
	v_lshlrev_b32_e32 v42, 1, v1
	v_lshrrev_b32_e32 v43, 4, v0
	s_delay_alu instid0(VALU_DEP_1) | instskip(SKIP_1) | instid1(VALU_DEP_1)
	v_add3_u32 v8, s18, v42, v43
	s_waitcnt lgkmcnt(0)
	v_cmpx_gt_i32_e64 s16, v8
	s_cbranch_execz .LBB192_22
; %bb.1:
	s_clause 0x1
	s_load_b128 s[4:7], s[0:1], 0x0
	s_load_b64 s[12:13], s[0:1], 0x10
	s_waitcnt lgkmcnt(0)
	s_cmp_eq_u64 s[6:7], 0
	s_cbranch_scc1 .LBB192_3
; %bb.2:
	v_ashrrev_i32_e32 v2, 31, v8
	v_add_co_u32 v1, vcc_lo, s6, v8
	s_delay_alu instid0(VALU_DEP_2) | instskip(SKIP_3) | instid1(VALU_DEP_1)
	v_add_co_ci_u32_e32 v2, vcc_lo, s7, v2, vcc_lo
	global_load_u8 v1, v[1:2], off
	s_waitcnt vmcnt(0)
	v_and_b32_e32 v1, 1, v1
	v_cmp_eq_u32_e32 vcc_lo, 1, v1
	s_xor_b32 s2, vcc_lo, -1
	s_delay_alu instid0(SALU_CYCLE_1)
	s_or_not1_b32 s17, s2, exec_lo
	s_branch .LBB192_4
.LBB192_3:
	s_mov_b32 s17, -1
.LBB192_4:
	s_load_b64 s[14:15], s[0:1], 0x40
	v_and_b32_e32 v9, 15, v0
	s_mov_b32 s2, exec_lo
	s_delay_alu instid0(VALU_DEP_1) | instskip(SKIP_2) | instid1(VALU_DEP_1)
	v_dual_mov_b32 v11, 0 :: v_dual_lshlrev_b32 v10, 4, v9
	s_waitcnt lgkmcnt(0)
	v_mul_lo_u32 v1, v8, s15
	v_ashrrev_i32_e32 v2, 31, v1
	s_delay_alu instid0(VALU_DEP_1) | instskip(SKIP_1) | instid1(VALU_DEP_2)
	v_lshlrev_b64 v[0:1], 1, v[1:2]
	v_lshlrev_b32_e32 v2, 5, v9
	v_add_co_u32 v12, vcc_lo, s4, v0
	s_delay_alu instid0(VALU_DEP_3) | instskip(SKIP_1) | instid1(VALU_DEP_2)
	v_add_co_ci_u32_e32 v13, vcc_lo, s5, v1, vcc_lo
	s_load_b128 s[4:7], s[0:1], 0x30
	v_add_co_u32 v4, vcc_lo, v12, v2
	s_delay_alu instid0(VALU_DEP_2)
	v_add_co_ci_u32_e32 v5, vcc_lo, 0, v13, vcc_lo
	s_clause 0x1
	global_load_b128 v[0:3], v[4:5], off offset:16
	global_load_b128 v[4:7], v[4:5], off
	v_cmpx_gt_u32_e32 4, v9
	s_cbranch_execz .LBB192_6
; %bb.5:
	v_lshlrev_b32_e32 v14, 1, v9
	s_mov_b32 s3, 0x3fb8aa3b
	s_delay_alu instid0(VALU_DEP_1) | instskip(SKIP_4) | instid1(VALU_DEP_1)
	v_add_co_u32 v12, vcc_lo, v12, v14
	v_add_co_ci_u32_e32 v13, vcc_lo, 0, v13, vcc_lo
	global_load_u16 v12, v[12:13], off offset:512
	s_waitcnt vmcnt(0)
	v_cvt_f32_f16_e64 v13, -v12
	v_mul_f32_e32 v14, 0x3fb8aa3b, v13
	v_cmp_ngt_f32_e32 vcc_lo, 0xc2ce8ed0, v13
	s_delay_alu instid0(VALU_DEP_2)
	v_fma_mix_f32 v15, -v12, s3, -v14 op_sel_hi:[1,0,0]
	v_rndne_f32_e32 v16, v14
	s_mov_b32 s3, 0x32a5705f
	s_delay_alu instid0(VALU_DEP_2) | instid1(SALU_CYCLE_1)
	v_fma_mix_f32 v12, -v12, s3, v15 op_sel_hi:[1,0,0]
	s_delay_alu instid0(VALU_DEP_2) | instskip(NEXT) | instid1(VALU_DEP_1)
	v_sub_f32_e32 v14, v14, v16
	v_add_f32_e32 v12, v14, v12
	v_cvt_i32_f32_e32 v14, v16
	s_delay_alu instid0(VALU_DEP_2) | instskip(SKIP_2) | instid1(VALU_DEP_1)
	v_exp_f32_e32 v12, v12
	s_waitcnt_depctr 0xfff
	v_ldexp_f32 v12, v12, v14
	v_cndmask_b32_e32 v12, 0, v12, vcc_lo
	v_cmp_nlt_f32_e32 vcc_lo, 0x42b17218, v13
	s_delay_alu instid0(VALU_DEP_2) | instskip(NEXT) | instid1(VALU_DEP_1)
	v_cndmask_b32_e32 v12, 0x7f800000, v12, vcc_lo
	v_add_f32_e32 v14, 1.0, v12
	s_delay_alu instid0(VALU_DEP_1) | instskip(SKIP_1) | instid1(VALU_DEP_2)
	v_div_scale_f32 v13, null, v14, v14, 1.0
	v_div_scale_f32 v16, vcc_lo, 1.0, v14, 1.0
	v_rcp_f32_e32 v15, v13
	s_waitcnt_depctr 0xfff
	v_fma_f32 v12, -v13, v15, 1.0
	s_delay_alu instid0(VALU_DEP_1) | instskip(SKIP_2) | instid1(VALU_DEP_2)
	v_fmac_f32_e32 v15, v12, v15
	s_waitcnt lgkmcnt(0)
	v_mul_lo_u32 v12, v8, s7
	v_mul_f32_e32 v17, v16, v15
	s_delay_alu instid0(VALU_DEP_2) | instskip(NEXT) | instid1(VALU_DEP_2)
	v_add3_u32 v12, v12, s4, v9
	v_fma_f32 v18, -v13, v17, v16
	s_delay_alu instid0(VALU_DEP_1) | instskip(NEXT) | instid1(VALU_DEP_1)
	v_fmac_f32_e32 v17, v18, v15
	v_fma_f32 v16, -v13, v17, v16
	s_delay_alu instid0(VALU_DEP_4) | instskip(NEXT) | instid1(VALU_DEP_2)
	v_ashrrev_i32_e32 v13, 31, v12
	v_div_fmas_f32 v15, v16, v15, v17
	s_delay_alu instid0(VALU_DEP_2) | instskip(NEXT) | instid1(VALU_DEP_2)
	v_lshlrev_b64 v[12:13], 2, v[12:13]
	v_div_fixup_f32 v14, v15, v14, 1.0
	s_delay_alu instid0(VALU_DEP_2) | instskip(NEXT) | instid1(VALU_DEP_3)
	v_add_co_u32 v12, vcc_lo, s12, v12
	v_add_co_ci_u32_e32 v13, vcc_lo, s13, v13, vcc_lo
	global_store_b32 v[12:13], v14, off
.LBB192_6:
	s_or_b32 exec_lo, exec_lo, s2
	s_waitcnt vmcnt(0)
	v_lshrrev_b32_e32 v15, 16, v4
	v_cvt_f32_f16_e32 v12, v4
	v_or_b32_e32 v13, 1, v10
	v_or_b32_e32 v16, 2, v10
	v_cvt_f32_f16_e32 v19, v6
	v_cvt_f32_f16_e32 v14, v15
	v_cmp_lt_f16_e32 vcc_lo, v4, v15
	v_cvt_f32_f16_e32 v15, v5
	v_lshrrev_b32_e32 v5, 16, v5
	v_lshrrev_b32_e32 v6, 16, v6
	v_or_b32_e32 v20, 4, v10
	v_cndmask_b32_e32 v4, v10, v13, vcc_lo
	v_cvt_f32_f16_e32 v23, v7
	v_cvt_f32_f16_e32 v17, v5
	v_cndmask_b32_e32 v18, v12, v14, vcc_lo
	v_cvt_f32_f16_e32 v21, v6
	v_or_b32_e32 v22, 5, v10
	v_lshrrev_b32_e32 v6, 16, v7
	v_or_b32_e32 v7, 6, v10
	v_cmp_lt_f32_e32 vcc_lo, v18, v15
	v_cvt_f32_f16_e32 v30, v1
	v_lshrrev_b32_e32 v1, 16, v1
	v_cvt_f32_f16_e32 v24, v6
	v_or_b32_e32 v25, 7, v10
	v_dual_cndmask_b32 v4, v4, v16 :: v_dual_cndmask_b32 v5, v18, v15
	v_or_b32_e32 v18, 3, v10
	v_cvt_f32_f16_e32 v32, v1
	v_cvt_f32_f16_e32 v26, v0
	v_lshrrev_b32_e32 v0, 16, v0
	v_cmp_lt_f32_e32 vcc_lo, v5, v17
	v_or_b32_e32 v27, 8, v10
	v_cvt_f32_f16_e32 v34, v2
	v_lshrrev_b32_e32 v2, 16, v2
	v_cvt_f32_f16_e32 v28, v0
	v_dual_cndmask_b32 v5, v5, v17 :: v_dual_cndmask_b32 v4, v4, v18
	v_or_b32_e32 v29, 9, v10
	s_delay_alu instid0(VALU_DEP_4) | instskip(SKIP_1) | instid1(VALU_DEP_4)
	v_cvt_f32_f16_e32 v36, v2
	v_cvt_f32_f16_e32 v38, v3
	v_cmp_lt_f32_e32 vcc_lo, v5, v19
	v_or_b32_e32 v31, 10, v10
	v_lshrrev_b32_e32 v2, 16, v3
	v_or_b32_e32 v33, 11, v10
	v_or_b32_e32 v35, 12, v10
	v_dual_cndmask_b32 v5, v5, v19 :: v_dual_cndmask_b32 v4, v4, v20
	s_delay_alu instid0(VALU_DEP_4) | instskip(SKIP_2) | instid1(VALU_DEP_4)
	v_cvt_f32_f16_e32 v40, v2
	v_or_b32_e32 v37, 13, v10
	v_or_b32_e32 v39, 14, v10
	v_cmp_lt_f32_e32 vcc_lo, v5, v21
	v_or_b32_e32 v41, 15, v10
	v_dual_cndmask_b32 v5, v5, v21 :: v_dual_cndmask_b32 v4, v4, v22
	s_delay_alu instid0(VALU_DEP_1) | instskip(SKIP_1) | instid1(VALU_DEP_3)
	v_cmp_lt_f32_e32 vcc_lo, v5, v23
	v_cndmask_b32_e32 v5, v5, v23, vcc_lo
	v_cndmask_b32_e32 v4, v4, v7, vcc_lo
	s_delay_alu instid0(VALU_DEP_2) | instskip(NEXT) | instid1(VALU_DEP_2)
	v_cmp_lt_f32_e32 vcc_lo, v5, v24
	v_dual_cndmask_b32 v5, v5, v24 :: v_dual_cndmask_b32 v4, v4, v25
	s_delay_alu instid0(VALU_DEP_1) | instskip(NEXT) | instid1(VALU_DEP_2)
	v_cmp_lt_f32_e32 vcc_lo, v5, v26
	v_cndmask_b32_e32 v0, v4, v27, vcc_lo
	v_cndmask_b32_e32 v4, v5, v26, vcc_lo
	s_delay_alu instid0(VALU_DEP_1) | instskip(SKIP_1) | instid1(VALU_DEP_4)
	v_cmp_lt_f32_e32 vcc_lo, v4, v28
	v_cndmask_b32_e32 v4, v4, v28, vcc_lo
	v_cndmask_b32_e32 v0, v0, v29, vcc_lo
	s_delay_alu instid0(VALU_DEP_2) | instskip(SKIP_1) | instid1(VALU_DEP_3)
	v_cmp_lt_f32_e32 vcc_lo, v4, v30
	v_cndmask_b32_e32 v1, v4, v30, vcc_lo
	v_cndmask_b32_e32 v0, v0, v31, vcc_lo
	s_delay_alu instid0(VALU_DEP_2) | instskip(NEXT) | instid1(VALU_DEP_2)
	v_cmp_lt_f32_e32 vcc_lo, v1, v32
	v_dual_cndmask_b32 v1, v1, v32 :: v_dual_cndmask_b32 v0, v0, v33
	s_delay_alu instid0(VALU_DEP_1) | instskip(NEXT) | instid1(VALU_DEP_2)
	v_cmp_lt_f32_e32 vcc_lo, v1, v34
	v_dual_cndmask_b32 v1, v1, v34 :: v_dual_cndmask_b32 v0, v0, v35
	s_delay_alu instid0(VALU_DEP_1) | instskip(NEXT) | instid1(VALU_DEP_2)
	;; [unrolled: 3-line block ×5, first 2 shown]
	v_mov_b32_dpp v2, v0 quad_perm:[1,0,3,2] row_mask:0xf bank_mask:0xf
	v_mov_b32_dpp v3, v1 quad_perm:[1,0,3,2] row_mask:0xf bank_mask:0xf
	s_delay_alu instid0(VALU_DEP_2) | instskip(NEXT) | instid1(VALU_DEP_2)
	v_cmp_lt_i32_e32 vcc_lo, v2, v0
	v_cmp_eq_f32_e64 s2, v1, v3
	v_cmp_lt_f32_e64 s3, v1, v3
	s_delay_alu instid0(VALU_DEP_2)
	s_and_b32 s2, s2, vcc_lo
	s_delay_alu instid0(VALU_DEP_1) | instid1(SALU_CYCLE_1)
	s_or_b32 vcc_lo, s3, s2
	v_dual_cndmask_b32 v1, v1, v3 :: v_dual_cndmask_b32 v0, v0, v2
	s_delay_alu instid0(VALU_DEP_1) | instskip(NEXT) | instid1(VALU_DEP_2)
	v_mov_b32_dpp v2, v1 quad_perm:[2,3,0,1] row_mask:0xf bank_mask:0xf
	v_mov_b32_dpp v3, v0 quad_perm:[2,3,0,1] row_mask:0xf bank_mask:0xf
	s_delay_alu instid0(VALU_DEP_2) | instskip(NEXT) | instid1(VALU_DEP_2)
	v_cmp_eq_f32_e32 vcc_lo, v1, v2
	v_cmp_lt_i32_e64 s2, v3, v0
	v_cmp_lt_f32_e64 s3, v1, v2
	s_delay_alu instid0(VALU_DEP_2)
	s_and_b32 s2, vcc_lo, s2
	s_delay_alu instid0(VALU_DEP_1) | instid1(SALU_CYCLE_1)
	s_or_b32 vcc_lo, s3, s2
	v_dual_cndmask_b32 v1, v1, v2 :: v_dual_cndmask_b32 v0, v0, v3
	s_delay_alu instid0(VALU_DEP_1) | instskip(NEXT) | instid1(VALU_DEP_2)
	v_mov_b32_dpp v2, v1 row_half_mirror row_mask:0xf bank_mask:0xf
	v_mov_b32_dpp v3, v0 row_half_mirror row_mask:0xf bank_mask:0xf
	s_delay_alu instid0(VALU_DEP_2) | instskip(NEXT) | instid1(VALU_DEP_2)
	v_cmp_eq_f32_e32 vcc_lo, v1, v2
	v_cmp_lt_i32_e64 s2, v3, v0
	v_cmp_lt_f32_e64 s3, v1, v2
	s_delay_alu instid0(VALU_DEP_2)
	s_and_b32 s2, vcc_lo, s2
	s_delay_alu instid0(VALU_DEP_1) | instid1(SALU_CYCLE_1)
	s_or_b32 vcc_lo, s3, s2
	s_waitcnt lgkmcnt(0)
	s_cmp_gt_i32 s4, 0
	v_cndmask_b32_e32 v2, v1, v2, vcc_lo
	v_cndmask_b32_e32 v0, v0, v3, vcc_lo
	v_cmp_eq_u32_e32 vcc_lo, 0, v9
	s_cselect_b32 s3, -1, 0
	s_cmp_lt_i32 s4, 1
	v_mov_b32_dpp v4, v2 row_mirror row_mask:0xf bank_mask:0xf
	v_mov_b32_dpp v6, v0 row_mirror row_mask:0xf bank_mask:0xf
	s_cbranch_scc1 .LBB192_18
; %bb.7:
	s_load_b128 s[8:11], s[0:1], 0x20
	s_delay_alu instid0(VALU_DEP_2) | instskip(NEXT) | instid1(VALU_DEP_2)
	v_cmp_eq_f32_e64 s0, v2, v4
	v_cmp_lt_i32_e64 s1, v6, v0
	v_cmp_lt_f32_e64 s2, v2, v4
	v_mul_lo_u32 v1, v8, s7
	v_mul_lo_u32 v3, v8, s14
	;; [unrolled: 1-line block ×3, first 2 shown]
	s_and_b32 s0, s0, s1
	v_mov_b32_e32 v11, 0
	s_or_b32 s0, s2, s0
	s_delay_alu instid0(SALU_CYCLE_1)
	v_cndmask_b32_e64 v0, v0, v6, s0
	v_cndmask_b32_e64 v44, v2, v4, s0
	s_and_saveexec_b32 s2, vcc_lo
	s_cbranch_execz .LBB192_9
; %bb.8:
	s_delay_alu instid0(VALU_DEP_1)
	v_sub_f32_e32 v11, v44, v44
	v_cmp_le_i32_e64 s0, s5, v0
	v_cmp_gt_i32_e64 s1, s6, v0
	v_subrev_nc_u32_e32 v51, s5, v0
	v_ashrrev_i32_e32 v6, 31, v5
	v_mul_f32_e32 v2, 0x3fb8aa3b, v11
	s_delay_alu instid0(VALU_DEP_4) | instskip(NEXT) | instid1(SALU_CYCLE_1)
	s_and_b32 s0, s0, s1
	s_and_b32 s0, s17, s0
	s_delay_alu instid0(VALU_DEP_1) | instskip(SKIP_2) | instid1(VALU_DEP_3)
	v_rndne_f32_e32 v47, v2
	v_fma_f32 v4, 0x3fb8aa3b, v11, -v2
	v_lshlrev_b64 v[49:50], 2, v[5:6]
	v_sub_f32_e32 v2, v2, v47
	s_delay_alu instid0(VALU_DEP_3) | instskip(NEXT) | instid1(VALU_DEP_1)
	v_fmamk_f32 v4, v11, 0x32a5705f, v4
	v_add_f32_e32 v4, v2, v4
	v_ashrrev_i32_e32 v2, 31, v1
	s_delay_alu instid0(VALU_DEP_2) | instskip(NEXT) | instid1(VALU_DEP_1)
	v_exp_f32_e32 v52, v4
	v_lshlrev_b64 v[45:46], 2, v[1:2]
	v_ashrrev_i32_e32 v4, 31, v3
	v_cvt_i32_f32_e32 v2, v47
	s_delay_alu instid0(VALU_DEP_2) | instskip(SKIP_2) | instid1(VALU_DEP_1)
	v_lshlrev_b64 v[47:48], 2, v[3:4]
	v_cndmask_b32_e64 v4, 0x100, v51, s0
	v_add_co_u32 v45, s0, s12, v45
	v_add_co_ci_u32_e64 v46, s0, s13, v46, s0
	s_delay_alu instid0(TRANS32_DEP_1) | instskip(SKIP_1) | instid1(VALU_DEP_1)
	v_ldexp_f32 v2, v52, v2
	v_cmp_ngt_f32_e64 s0, 0xc2ce8ed0, v11
	v_cndmask_b32_e64 v2, 0, v2, s0
	s_waitcnt lgkmcnt(0)
	v_add_co_u32 v47, s0, s8, v47
	s_delay_alu instid0(VALU_DEP_1) | instskip(SKIP_1) | instid1(VALU_DEP_1)
	v_add_co_ci_u32_e64 v48, s0, s9, v48, s0
	v_cmp_nlt_f32_e64 s0, 0x42b17218, v11
	v_cndmask_b32_e64 v11, 0x7f800000, v2, s0
	v_add_co_u32 v49, s0, s10, v49
	s_delay_alu instid0(VALU_DEP_1)
	v_add_co_ci_u32_e64 v50, s0, s11, v50, s0
	global_store_b32 v[47:48], v4, off
	global_store_b32 v[45:46], v11, off
	;; [unrolled: 1-line block ×3, first 2 shown]
.LBB192_9:
	s_or_b32 exec_lo, exec_lo, s2
	v_ashrrev_i32_e32 v4, 31, v0
	s_mov_b32 s1, exec_lo
	s_delay_alu instid0(VALU_DEP_1) | instskip(NEXT) | instid1(VALU_DEP_1)
	v_lshrrev_b32_e32 v2, 28, v4
	v_add_nc_u32_e32 v2, v0, v2
	s_delay_alu instid0(VALU_DEP_1) | instskip(NEXT) | instid1(VALU_DEP_1)
	v_ashrrev_i32_e32 v2, 4, v2
	v_lshrrev_b32_e32 v6, 28, v2
	s_delay_alu instid0(VALU_DEP_1) | instskip(NEXT) | instid1(VALU_DEP_1)
	v_add_nc_u32_e32 v6, v2, v6
	v_and_b32_e32 v6, -16, v6
	s_delay_alu instid0(VALU_DEP_1) | instskip(NEXT) | instid1(VALU_DEP_1)
	v_sub_nc_u32_e32 v6, v2, v6
	v_cmpx_eq_u32_e64 v9, v6
	s_cbranch_execz .LBB192_11
; %bb.10:
	v_lshrrev_b32_e32 v4, 24, v4
	v_lshlrev_b32_e32 v2, 4, v2
	s_delay_alu instid0(VALU_DEP_2) | instskip(NEXT) | instid1(VALU_DEP_2)
	v_add_nc_u32_e32 v4, v0, v4
	v_sub_nc_u32_e32 v0, v0, v2
	s_delay_alu instid0(VALU_DEP_2) | instskip(NEXT) | instid1(VALU_DEP_1)
	v_ashrrev_i32_e32 v2, 8, v4
	v_lshl_add_u32 v0, v2, 4, v0
	s_delay_alu instid0(VALU_DEP_1) | instskip(NEXT) | instid1(VALU_DEP_1)
	v_cmp_ne_u32_e64 s0, 15, v0
	v_cndmask_b32_e64 v40, 0xff800000, v40, s0
	v_cmp_ne_u32_e64 s0, 14, v0
	s_delay_alu instid0(VALU_DEP_1) | instskip(SKIP_1) | instid1(VALU_DEP_1)
	v_cndmask_b32_e64 v38, 0xff800000, v38, s0
	v_cmp_ne_u32_e64 s0, 13, v0
	v_cndmask_b32_e64 v36, 0xff800000, v36, s0
	v_cmp_ne_u32_e64 s0, 12, v0
	s_delay_alu instid0(VALU_DEP_1) | instskip(SKIP_1) | instid1(VALU_DEP_1)
	v_cndmask_b32_e64 v34, 0xff800000, v34, s0
	;; [unrolled: 5-line block ×7, first 2 shown]
	v_cmp_ne_u32_e64 s0, 1, v0
	v_cndmask_b32_e64 v14, 0xff800000, v14, s0
	v_cmp_ne_u32_e64 s0, 0, v0
	s_delay_alu instid0(VALU_DEP_1)
	v_cndmask_b32_e64 v12, 0xff800000, v12, s0
.LBB192_11:
	s_or_b32 exec_lo, exec_lo, s1
	s_cmp_eq_u32 s4, 1
	s_cbranch_scc1 .LBB192_18
; %bb.12:
	s_add_i32 s18, s18, s16
	v_add_nc_u32_e32 v0, 1, v5
	v_add3_u32 v6, s18, v43, v42
	v_add_nc_u32_e32 v2, 1, v3
	v_add_nc_u32_e32 v4, 1, v1
	s_add_i32 s14, s4, -1
	s_branch .LBB192_14
.LBB192_13:                             ;   in Loop: Header=BB192_14 Depth=1
	s_or_b32 exec_lo, exec_lo, s1
	v_add_nc_u32_e32 v6, s16, v6
	v_add_nc_u32_e32 v0, 1, v0
	;; [unrolled: 1-line block ×4, first 2 shown]
	s_add_i32 s14, s14, -1
	s_delay_alu instid0(SALU_CYCLE_1)
	s_cmp_eq_u32 s14, 0
	s_cbranch_scc1 .LBB192_18
.LBB192_14:                             ; =>This Inner Loop Header: Depth=1
	v_cmp_gt_f32_e64 s0, v14, v12
	s_delay_alu instid0(VALU_DEP_1) | instskip(SKIP_1) | instid1(VALU_DEP_2)
	v_cndmask_b32_e64 v3, v12, v14, s0
	v_cndmask_b32_e64 v1, v10, v13, s0
	v_cmp_gt_f32_e64 s0, v15, v3
	s_delay_alu instid0(VALU_DEP_1) | instskip(NEXT) | instid1(VALU_DEP_3)
	v_cndmask_b32_e64 v3, v3, v15, s0
	v_cndmask_b32_e64 v1, v1, v16, s0
	s_delay_alu instid0(VALU_DEP_2) | instskip(NEXT) | instid1(VALU_DEP_1)
	v_cmp_gt_f32_e64 s0, v17, v3
	v_cndmask_b32_e64 v3, v3, v17, s0
	s_delay_alu instid0(VALU_DEP_3) | instskip(NEXT) | instid1(VALU_DEP_2)
	v_cndmask_b32_e64 v1, v1, v18, s0
	v_cmp_gt_f32_e64 s0, v19, v3
	s_delay_alu instid0(VALU_DEP_1) | instskip(NEXT) | instid1(VALU_DEP_3)
	v_cndmask_b32_e64 v3, v3, v19, s0
	v_cndmask_b32_e64 v1, v1, v20, s0
	s_delay_alu instid0(VALU_DEP_2) | instskip(NEXT) | instid1(VALU_DEP_1)
	v_cmp_gt_f32_e64 s0, v21, v3
	v_cndmask_b32_e64 v3, v3, v21, s0
	s_delay_alu instid0(VALU_DEP_3) | instskip(NEXT) | instid1(VALU_DEP_2)
	;; [unrolled: 9-line block ×6, first 2 shown]
	v_cndmask_b32_e64 v1, v1, v37, s0
	v_cmp_gt_f32_e64 s0, v38, v3
	s_delay_alu instid0(VALU_DEP_1) | instskip(NEXT) | instid1(VALU_DEP_3)
	v_cndmask_b32_e64 v3, v3, v38, s0
	v_cndmask_b32_e64 v1, v1, v39, s0
	s_delay_alu instid0(VALU_DEP_2) | instskip(NEXT) | instid1(VALU_DEP_1)
	v_cmp_gt_f32_e64 s0, v40, v3
	v_cndmask_b32_e64 v1, v1, v41, s0
	v_cndmask_b32_e64 v3, v3, v40, s0
	s_delay_alu instid0(VALU_DEP_2) | instskip(NEXT) | instid1(VALU_DEP_2)
	v_mov_b32_dpp v5, v1 quad_perm:[1,0,3,2] row_mask:0xf bank_mask:0xf
	v_mov_b32_dpp v42, v3 quad_perm:[1,0,3,2] row_mask:0xf bank_mask:0xf
	s_delay_alu instid0(VALU_DEP_2) | instskip(NEXT) | instid1(VALU_DEP_2)
	v_cmp_lt_i32_e64 s0, v5, v1
	v_cmp_eq_f32_e64 s1, v3, v42
	v_cmp_lt_f32_e64 s2, v3, v42
	s_delay_alu instid0(VALU_DEP_2)
	s_and_b32 s0, s1, s0
	s_delay_alu instid0(VALU_DEP_1) | instid1(SALU_CYCLE_1)
	s_or_b32 s0, s2, s0
	s_delay_alu instid0(SALU_CYCLE_1) | instskip(SKIP_1) | instid1(VALU_DEP_2)
	v_cndmask_b32_e64 v3, v3, v42, s0
	v_cndmask_b32_e64 v1, v1, v5, s0
	v_mov_b32_dpp v5, v3 quad_perm:[2,3,0,1] row_mask:0xf bank_mask:0xf
	s_delay_alu instid0(VALU_DEP_2) | instskip(NEXT) | instid1(VALU_DEP_2)
	v_mov_b32_dpp v42, v1 quad_perm:[2,3,0,1] row_mask:0xf bank_mask:0xf
	v_cmp_eq_f32_e64 s0, v3, v5
	s_delay_alu instid0(VALU_DEP_2) | instskip(SKIP_1) | instid1(VALU_DEP_2)
	v_cmp_lt_i32_e64 s1, v42, v1
	v_cmp_lt_f32_e64 s2, v3, v5
	s_and_b32 s0, s0, s1
	s_delay_alu instid0(VALU_DEP_1) | instid1(SALU_CYCLE_1)
	s_or_b32 s0, s2, s0
	s_delay_alu instid0(SALU_CYCLE_1) | instskip(SKIP_1) | instid1(VALU_DEP_2)
	v_cndmask_b32_e64 v3, v3, v5, s0
	v_cndmask_b32_e64 v5, v1, v42, s0
	v_mov_b32_dpp v1, v3 row_half_mirror row_mask:0xf bank_mask:0xf
	s_delay_alu instid0(VALU_DEP_2) | instskip(NEXT) | instid1(VALU_DEP_2)
	v_mov_b32_dpp v42, v5 row_half_mirror row_mask:0xf bank_mask:0xf
	v_cmp_eq_f32_e64 s0, v3, v1
	s_delay_alu instid0(VALU_DEP_2) | instskip(SKIP_1) | instid1(VALU_DEP_2)
	v_cmp_lt_i32_e64 s1, v42, v5
	v_cmp_lt_f32_e64 s2, v3, v1
	s_and_b32 s0, s0, s1
	s_delay_alu instid0(VALU_DEP_1) | instid1(SALU_CYCLE_1)
	s_or_b32 s0, s2, s0
	s_delay_alu instid0(SALU_CYCLE_1) | instskip(SKIP_1) | instid1(VALU_DEP_2)
	v_cndmask_b32_e64 v1, v3, v1, s0
	v_cndmask_b32_e64 v5, v5, v42, s0
	v_mov_b32_dpp v3, v1 row_mirror row_mask:0xf bank_mask:0xf
	s_delay_alu instid0(VALU_DEP_2) | instskip(NEXT) | instid1(VALU_DEP_2)
	v_mov_b32_dpp v42, v5 row_mirror row_mask:0xf bank_mask:0xf
	v_cmp_eq_f32_e64 s0, v1, v3
	s_delay_alu instid0(VALU_DEP_2) | instskip(SKIP_1) | instid1(VALU_DEP_2)
	v_cmp_lt_i32_e64 s1, v42, v5
	v_cmp_lt_f32_e64 s2, v1, v3
	s_and_b32 s0, s0, s1
	s_delay_alu instid0(VALU_DEP_1) | instid1(SALU_CYCLE_1)
	s_or_b32 s0, s2, s0
	s_delay_alu instid0(SALU_CYCLE_1)
	v_cndmask_b32_e64 v42, v5, v42, s0
	s_and_saveexec_b32 s2, vcc_lo
	s_cbranch_execz .LBB192_16
; %bb.15:                               ;   in Loop: Header=BB192_14 Depth=1
	v_cndmask_b32_e64 v1, v1, v3, s0
	s_delay_alu instid0(VALU_DEP_2) | instskip(SKIP_4) | instid1(VALU_DEP_4)
	v_cmp_le_i32_e64 s0, s5, v42
	v_cmp_gt_i32_e64 s1, s6, v42
	v_ashrrev_i32_e32 v5, 31, v4
	v_subrev_nc_u32_e32 v51, s5, v42
	v_sub_f32_e32 v43, v1, v44
	s_and_b32 s0, s0, s1
	s_delay_alu instid0(SALU_CYCLE_1) | instskip(NEXT) | instid1(VALU_DEP_1)
	s_and_b32 s0, s17, s0
	v_mul_f32_e32 v1, 0x3fb8aa3b, v43
	s_delay_alu instid0(VALU_DEP_1) | instskip(SKIP_1) | instid1(VALU_DEP_2)
	v_fma_f32 v3, 0x3fb8aa3b, v43, -v1
	v_rndne_f32_e32 v45, v1
	v_fmac_f32_e32 v3, 0x32a5705f, v43
	s_delay_alu instid0(VALU_DEP_2) | instskip(SKIP_2) | instid1(VALU_DEP_3)
	v_sub_f32_e32 v1, v1, v45
	v_cvt_i32_f32_e32 v50, v45
	v_lshlrev_b64 v[45:46], 2, v[4:5]
	v_add_f32_e32 v1, v1, v3
	v_ashrrev_i32_e32 v3, 31, v2
	s_delay_alu instid0(VALU_DEP_2) | instskip(SKIP_1) | instid1(VALU_DEP_2)
	v_exp_f32_e32 v49, v1
	v_ashrrev_i32_e32 v1, 31, v0
	v_lshlrev_b64 v[47:48], 2, v[2:3]
	s_waitcnt_depctr 0xfff
	v_ldexp_f32 v3, v49, v50
	v_lshlrev_b64 v[49:50], 2, v[0:1]
	v_cndmask_b32_e64 v1, 0x100, v51, s0
	v_cmp_ngt_f32_e64 s0, 0xc2ce8ed0, v43
	s_delay_alu instid0(VALU_DEP_1) | instskip(SKIP_1) | instid1(VALU_DEP_1)
	v_cndmask_b32_e64 v3, 0, v3, s0
	v_add_co_u32 v45, s0, s12, v45
	v_add_co_ci_u32_e64 v46, s0, s13, v46, s0
	v_cmp_nlt_f32_e64 s0, 0x42b17218, v43
	s_delay_alu instid0(VALU_DEP_1) | instskip(SKIP_2) | instid1(VALU_DEP_1)
	v_cndmask_b32_e64 v3, 0x7f800000, v3, s0
	s_waitcnt lgkmcnt(0)
	v_add_co_u32 v47, s0, s8, v47
	v_add_co_ci_u32_e64 v48, s0, s9, v48, s0
	v_add_co_u32 v49, s0, s10, v49
	v_add_f32_e32 v11, v11, v3
	v_add_co_ci_u32_e64 v50, s0, s11, v50, s0
	global_store_b32 v[45:46], v3, off
	global_store_b32 v[47:48], v1, off
	;; [unrolled: 1-line block ×3, first 2 shown]
.LBB192_16:                             ;   in Loop: Header=BB192_14 Depth=1
	s_or_b32 exec_lo, exec_lo, s2
	s_delay_alu instid0(VALU_DEP_1) | instskip(SKIP_1) | instid1(VALU_DEP_1)
	v_ashrrev_i32_e32 v3, 31, v42
	s_mov_b32 s1, exec_lo
	v_lshrrev_b32_e32 v1, 28, v3
	s_delay_alu instid0(VALU_DEP_1) | instskip(NEXT) | instid1(VALU_DEP_1)
	v_add_nc_u32_e32 v1, v42, v1
	v_ashrrev_i32_e32 v1, 4, v1
	s_delay_alu instid0(VALU_DEP_1) | instskip(NEXT) | instid1(VALU_DEP_1)
	v_lshrrev_b32_e32 v5, 28, v1
	v_add_nc_u32_e32 v5, v1, v5
	s_delay_alu instid0(VALU_DEP_1) | instskip(NEXT) | instid1(VALU_DEP_1)
	v_and_b32_e32 v5, -16, v5
	v_sub_nc_u32_e32 v5, v1, v5
	s_delay_alu instid0(VALU_DEP_1)
	v_cmpx_eq_u32_e64 v9, v5
	s_cbranch_execz .LBB192_13
; %bb.17:                               ;   in Loop: Header=BB192_14 Depth=1
	v_lshrrev_b32_e32 v3, 24, v3
	v_lshlrev_b32_e32 v1, 4, v1
	s_delay_alu instid0(VALU_DEP_2) | instskip(NEXT) | instid1(VALU_DEP_2)
	v_add_nc_u32_e32 v3, v42, v3
	v_sub_nc_u32_e32 v1, v42, v1
	s_delay_alu instid0(VALU_DEP_2) | instskip(NEXT) | instid1(VALU_DEP_1)
	v_ashrrev_i32_e32 v3, 8, v3
	v_lshl_add_u32 v1, v3, 4, v1
	s_delay_alu instid0(VALU_DEP_1) | instskip(NEXT) | instid1(VALU_DEP_1)
	v_cmp_ne_u32_e64 s0, 15, v1
	v_cndmask_b32_e64 v40, 0xff800000, v40, s0
	v_cmp_ne_u32_e64 s0, 14, v1
	s_delay_alu instid0(VALU_DEP_1) | instskip(SKIP_1) | instid1(VALU_DEP_1)
	v_cndmask_b32_e64 v38, 0xff800000, v38, s0
	v_cmp_ne_u32_e64 s0, 13, v1
	v_cndmask_b32_e64 v36, 0xff800000, v36, s0
	v_cmp_ne_u32_e64 s0, 12, v1
	s_delay_alu instid0(VALU_DEP_1) | instskip(SKIP_1) | instid1(VALU_DEP_1)
	v_cndmask_b32_e64 v34, 0xff800000, v34, s0
	;; [unrolled: 5-line block ×7, first 2 shown]
	v_cmp_ne_u32_e64 s0, 1, v1
	v_cndmask_b32_e64 v14, 0xff800000, v14, s0
	v_cmp_ne_u32_e64 s0, 0, v1
	s_delay_alu instid0(VALU_DEP_1)
	v_cndmask_b32_e64 v12, 0xff800000, v12, s0
	s_branch .LBB192_13
.LBB192_18:
	v_cmp_eq_u32_e32 vcc_lo, 0, v9
	v_cmp_neq_f32_e64 s0, 0, v11
	s_delay_alu instid0(VALU_DEP_1) | instskip(NEXT) | instid1(SALU_CYCLE_1)
	s_and_b32 s0, vcc_lo, s0
	s_and_b32 exec_lo, exec_lo, s0
	s_cbranch_execz .LBB192_22
; %bb.19:
	s_and_not1_b32 vcc_lo, exec_lo, s3
	s_cbranch_vccnz .LBB192_22
; %bb.20:
	v_div_scale_f32 v1, null, v11, v11, 1.0
	v_div_scale_f32 v3, vcc_lo, 1.0, v11, 1.0
	s_delay_alu instid0(VALU_DEP_2) | instskip(SKIP_2) | instid1(VALU_DEP_1)
	v_rcp_f32_e32 v2, v1
	s_waitcnt_depctr 0xfff
	v_fma_f32 v0, -v1, v2, 1.0
	v_fmac_f32_e32 v2, v0, v2
	v_mul_lo_u32 v0, v8, s7
	s_delay_alu instid0(VALU_DEP_2) | instskip(NEXT) | instid1(VALU_DEP_1)
	v_mul_f32_e32 v4, v3, v2
	v_fma_f32 v5, -v1, v4, v3
	s_delay_alu instid0(VALU_DEP_1) | instskip(NEXT) | instid1(VALU_DEP_1)
	v_fmac_f32_e32 v4, v5, v2
	v_fma_f32 v3, -v1, v4, v3
	v_ashrrev_i32_e32 v1, 31, v0
	s_delay_alu instid0(VALU_DEP_2) | instskip(NEXT) | instid1(VALU_DEP_2)
	v_div_fmas_f32 v2, v3, v2, v4
	v_lshlrev_b64 v[0:1], 2, v[0:1]
	s_delay_alu instid0(VALU_DEP_2) | instskip(NEXT) | instid1(VALU_DEP_2)
	v_div_fixup_f32 v2, v2, v11, 1.0
	v_add_co_u32 v0, vcc_lo, s12, v0
	s_delay_alu instid0(VALU_DEP_3)
	v_add_co_ci_u32_e32 v1, vcc_lo, s13, v1, vcc_lo
.LBB192_21:                             ; =>This Inner Loop Header: Depth=1
	global_load_b32 v3, v[0:1], off
	s_add_i32 s4, s4, -1
	s_delay_alu instid0(SALU_CYCLE_1)
	s_cmp_lg_u32 s4, 0
	s_waitcnt vmcnt(0)
	v_mul_f32_e32 v3, v2, v3
	global_store_b32 v[0:1], v3, off
	v_add_co_u32 v0, vcc_lo, v0, 4
	v_add_co_ci_u32_e32 v1, vcc_lo, 0, v1, vcc_lo
	s_cbranch_scc1 .LBB192_21
.LBB192_22:
	s_nop 0
	s_sendmsg sendmsg(MSG_DEALLOC_VGPRS)
	s_endpgm
	.section	.rodata,"a",@progbits
	.p2align	6, 0x0
	.amdhsa_kernel _ZN4vllm3moe17topkGatingSoftmaxIDF16_Li16ELi256ELi8ELi32ELb1ELi4ELNS0_23SharedExpertScoringFuncE1EEEvPKT_PKbPfiPiS9_iiiiii
		.amdhsa_group_segment_fixed_size 0
		.amdhsa_private_segment_fixed_size 0
		.amdhsa_kernarg_size 72
		.amdhsa_user_sgpr_count 15
		.amdhsa_user_sgpr_dispatch_ptr 0
		.amdhsa_user_sgpr_queue_ptr 0
		.amdhsa_user_sgpr_kernarg_segment_ptr 1
		.amdhsa_user_sgpr_dispatch_id 0
		.amdhsa_user_sgpr_private_segment_size 0
		.amdhsa_wavefront_size32 1
		.amdhsa_uses_dynamic_stack 0
		.amdhsa_enable_private_segment 0
		.amdhsa_system_sgpr_workgroup_id_x 1
		.amdhsa_system_sgpr_workgroup_id_y 0
		.amdhsa_system_sgpr_workgroup_id_z 0
		.amdhsa_system_sgpr_workgroup_info 0
		.amdhsa_system_vgpr_workitem_id 1
		.amdhsa_next_free_vgpr 53
		.amdhsa_next_free_sgpr 19
		.amdhsa_reserve_vcc 1
		.amdhsa_float_round_mode_32 0
		.amdhsa_float_round_mode_16_64 0
		.amdhsa_float_denorm_mode_32 3
		.amdhsa_float_denorm_mode_16_64 3
		.amdhsa_dx10_clamp 1
		.amdhsa_ieee_mode 1
		.amdhsa_fp16_overflow 0
		.amdhsa_workgroup_processor_mode 1
		.amdhsa_memory_ordered 1
		.amdhsa_forward_progress 0
		.amdhsa_shared_vgpr_count 0
		.amdhsa_exception_fp_ieee_invalid_op 0
		.amdhsa_exception_fp_denorm_src 0
		.amdhsa_exception_fp_ieee_div_zero 0
		.amdhsa_exception_fp_ieee_overflow 0
		.amdhsa_exception_fp_ieee_underflow 0
		.amdhsa_exception_fp_ieee_inexact 0
		.amdhsa_exception_int_div_zero 0
	.end_amdhsa_kernel
	.section	.text._ZN4vllm3moe17topkGatingSoftmaxIDF16_Li16ELi256ELi8ELi32ELb1ELi4ELNS0_23SharedExpertScoringFuncE1EEEvPKT_PKbPfiPiS9_iiiiii,"axG",@progbits,_ZN4vllm3moe17topkGatingSoftmaxIDF16_Li16ELi256ELi8ELi32ELb1ELi4ELNS0_23SharedExpertScoringFuncE1EEEvPKT_PKbPfiPiS9_iiiiii,comdat
.Lfunc_end192:
	.size	_ZN4vllm3moe17topkGatingSoftmaxIDF16_Li16ELi256ELi8ELi32ELb1ELi4ELNS0_23SharedExpertScoringFuncE1EEEvPKT_PKbPfiPiS9_iiiiii, .Lfunc_end192-_ZN4vllm3moe17topkGatingSoftmaxIDF16_Li16ELi256ELi8ELi32ELb1ELi4ELNS0_23SharedExpertScoringFuncE1EEEvPKT_PKbPfiPiS9_iiiiii
                                        ; -- End function
	.section	.AMDGPU.csdata,"",@progbits
; Kernel info:
; codeLenInByte = 3948
; NumSgprs: 21
; NumVgprs: 53
; ScratchSize: 0
; MemoryBound: 0
; FloatMode: 240
; IeeeMode: 1
; LDSByteSize: 0 bytes/workgroup (compile time only)
; SGPRBlocks: 2
; VGPRBlocks: 6
; NumSGPRsForWavesPerEU: 21
; NumVGPRsForWavesPerEU: 53
; Occupancy: 16
; WaveLimiterHint : 0
; COMPUTE_PGM_RSRC2:SCRATCH_EN: 0
; COMPUTE_PGM_RSRC2:USER_SGPR: 15
; COMPUTE_PGM_RSRC2:TRAP_HANDLER: 0
; COMPUTE_PGM_RSRC2:TGID_X_EN: 1
; COMPUTE_PGM_RSRC2:TGID_Y_EN: 0
; COMPUTE_PGM_RSRC2:TGID_Z_EN: 0
; COMPUTE_PGM_RSRC2:TIDIG_COMP_CNT: 1
	.section	.text._ZN4vllm3moe17topkGatingSoftmaxIDF16_Li16ELi256ELi8ELi32ELb0ELi4ELNS0_23SharedExpertScoringFuncE1EEEvPKT_PKbPfiPiS9_iiiiii,"axG",@progbits,_ZN4vllm3moe17topkGatingSoftmaxIDF16_Li16ELi256ELi8ELi32ELb0ELi4ELNS0_23SharedExpertScoringFuncE1EEEvPKT_PKbPfiPiS9_iiiiii,comdat
	.protected	_ZN4vllm3moe17topkGatingSoftmaxIDF16_Li16ELi256ELi8ELi32ELb0ELi4ELNS0_23SharedExpertScoringFuncE1EEEvPKT_PKbPfiPiS9_iiiiii ; -- Begin function _ZN4vllm3moe17topkGatingSoftmaxIDF16_Li16ELi256ELi8ELi32ELb0ELi4ELNS0_23SharedExpertScoringFuncE1EEEvPKT_PKbPfiPiS9_iiiiii
	.globl	_ZN4vllm3moe17topkGatingSoftmaxIDF16_Li16ELi256ELi8ELi32ELb0ELi4ELNS0_23SharedExpertScoringFuncE1EEEvPKT_PKbPfiPiS9_iiiiii
	.p2align	8
	.type	_ZN4vllm3moe17topkGatingSoftmaxIDF16_Li16ELi256ELi8ELi32ELb0ELi4ELNS0_23SharedExpertScoringFuncE1EEEvPKT_PKbPfiPiS9_iiiiii,@function
_ZN4vllm3moe17topkGatingSoftmaxIDF16_Li16ELi256ELi8ELi32ELb0ELi4ELNS0_23SharedExpertScoringFuncE1EEEvPKT_PKbPfiPiS9_iiiiii: ; @_ZN4vllm3moe17topkGatingSoftmaxIDF16_Li16ELi256ELi8ELi32ELb0ELi4ELNS0_23SharedExpertScoringFuncE1EEEvPKT_PKbPfiPiS9_iiiiii
; %bb.0:
	s_load_b32 s16, s[0:1], 0x18
	v_bfe_u32 v1, v0, 10, 10
	v_and_b32_e32 v0, 0x3ff, v0
	s_lshl_b32 s18, s15, 4
	s_mov_b32 s2, exec_lo
	s_delay_alu instid0(VALU_DEP_2) | instskip(NEXT) | instid1(VALU_DEP_2)
	v_lshlrev_b32_e32 v43, 1, v1
	v_lshrrev_b32_e32 v44, 4, v0
	s_delay_alu instid0(VALU_DEP_1) | instskip(SKIP_1) | instid1(VALU_DEP_1)
	v_add3_u32 v8, s18, v43, v44
	s_waitcnt lgkmcnt(0)
	v_cmpx_gt_i32_e64 s16, v8
	s_cbranch_execz .LBB193_23
; %bb.1:
	s_clause 0x1
	s_load_b128 s[4:7], s[0:1], 0x0
	s_load_b64 s[12:13], s[0:1], 0x10
	s_waitcnt lgkmcnt(0)
	s_cmp_eq_u64 s[6:7], 0
	s_cbranch_scc1 .LBB193_3
; %bb.2:
	v_ashrrev_i32_e32 v2, 31, v8
	v_add_co_u32 v1, vcc_lo, s6, v8
	s_delay_alu instid0(VALU_DEP_2) | instskip(SKIP_3) | instid1(VALU_DEP_1)
	v_add_co_ci_u32_e32 v2, vcc_lo, s7, v2, vcc_lo
	global_load_u8 v1, v[1:2], off
	s_waitcnt vmcnt(0)
	v_and_b32_e32 v1, 1, v1
	v_cmp_eq_u32_e32 vcc_lo, 1, v1
	s_xor_b32 s2, vcc_lo, -1
	s_delay_alu instid0(SALU_CYCLE_1)
	s_or_not1_b32 s17, s2, exec_lo
	s_branch .LBB193_4
.LBB193_3:
	s_mov_b32 s17, -1
.LBB193_4:
	s_load_b64 s[14:15], s[0:1], 0x40
	v_dual_mov_b32 v10, 0 :: v_dual_and_b32 v9, 15, v0
	s_mov_b32 s2, exec_lo
	s_delay_alu instid0(VALU_DEP_1) | instskip(SKIP_2) | instid1(VALU_DEP_1)
	v_lshlrev_b32_e32 v22, 4, v9
	s_waitcnt lgkmcnt(0)
	v_mul_lo_u32 v1, v8, s15
	v_ashrrev_i32_e32 v2, 31, v1
	s_delay_alu instid0(VALU_DEP_1) | instskip(SKIP_1) | instid1(VALU_DEP_2)
	v_lshlrev_b64 v[0:1], 1, v[1:2]
	v_lshlrev_b32_e32 v2, 5, v9
	v_add_co_u32 v11, vcc_lo, s4, v0
	s_delay_alu instid0(VALU_DEP_3) | instskip(SKIP_1) | instid1(VALU_DEP_2)
	v_add_co_ci_u32_e32 v12, vcc_lo, s5, v1, vcc_lo
	s_load_b128 s[4:7], s[0:1], 0x30
	v_add_co_u32 v4, vcc_lo, v11, v2
	s_delay_alu instid0(VALU_DEP_2)
	v_add_co_ci_u32_e32 v5, vcc_lo, 0, v12, vcc_lo
	s_clause 0x1
	global_load_b128 v[0:3], v[4:5], off offset:16
	global_load_b128 v[4:7], v[4:5], off
	v_cmpx_gt_u32_e32 4, v9
	s_cbranch_execz .LBB193_6
; %bb.5:
	v_lshlrev_b32_e32 v13, 1, v9
	s_mov_b32 s3, 0x3fb8aa3b
	s_delay_alu instid0(VALU_DEP_1) | instskip(SKIP_4) | instid1(VALU_DEP_1)
	v_add_co_u32 v11, vcc_lo, v11, v13
	v_add_co_ci_u32_e32 v12, vcc_lo, 0, v12, vcc_lo
	global_load_u16 v11, v[11:12], off offset:512
	s_waitcnt vmcnt(0)
	v_cvt_f32_f16_e64 v12, -v11
	v_mul_f32_e32 v13, 0x3fb8aa3b, v12
	v_cmp_ngt_f32_e32 vcc_lo, 0xc2ce8ed0, v12
	s_delay_alu instid0(VALU_DEP_2)
	v_fma_mix_f32 v14, -v11, s3, -v13 op_sel_hi:[1,0,0]
	v_rndne_f32_e32 v15, v13
	s_mov_b32 s3, 0x32a5705f
	s_delay_alu instid0(VALU_DEP_2) | instid1(SALU_CYCLE_1)
	v_fma_mix_f32 v11, -v11, s3, v14 op_sel_hi:[1,0,0]
	s_delay_alu instid0(VALU_DEP_2) | instskip(NEXT) | instid1(VALU_DEP_1)
	v_sub_f32_e32 v13, v13, v15
	v_add_f32_e32 v11, v13, v11
	v_cvt_i32_f32_e32 v13, v15
	s_delay_alu instid0(VALU_DEP_2) | instskip(SKIP_2) | instid1(VALU_DEP_1)
	v_exp_f32_e32 v11, v11
	s_waitcnt_depctr 0xfff
	v_ldexp_f32 v11, v11, v13
	v_cndmask_b32_e32 v11, 0, v11, vcc_lo
	v_cmp_nlt_f32_e32 vcc_lo, 0x42b17218, v12
	s_delay_alu instid0(VALU_DEP_2) | instskip(NEXT) | instid1(VALU_DEP_1)
	v_cndmask_b32_e32 v11, 0x7f800000, v11, vcc_lo
	v_add_f32_e32 v13, 1.0, v11
	s_delay_alu instid0(VALU_DEP_1) | instskip(SKIP_1) | instid1(VALU_DEP_2)
	v_div_scale_f32 v12, null, v13, v13, 1.0
	v_div_scale_f32 v15, vcc_lo, 1.0, v13, 1.0
	v_rcp_f32_e32 v14, v12
	s_waitcnt_depctr 0xfff
	v_fma_f32 v11, -v12, v14, 1.0
	s_delay_alu instid0(VALU_DEP_1) | instskip(SKIP_2) | instid1(VALU_DEP_2)
	v_fmac_f32_e32 v14, v11, v14
	s_waitcnt lgkmcnt(0)
	v_mul_lo_u32 v11, v8, s7
	v_mul_f32_e32 v16, v15, v14
	s_delay_alu instid0(VALU_DEP_2) | instskip(NEXT) | instid1(VALU_DEP_2)
	v_add3_u32 v11, v11, s4, v9
	v_fma_f32 v17, -v12, v16, v15
	s_delay_alu instid0(VALU_DEP_1) | instskip(NEXT) | instid1(VALU_DEP_1)
	v_fmac_f32_e32 v16, v17, v14
	v_fma_f32 v15, -v12, v16, v15
	s_delay_alu instid0(VALU_DEP_4) | instskip(NEXT) | instid1(VALU_DEP_2)
	v_ashrrev_i32_e32 v12, 31, v11
	v_div_fmas_f32 v14, v15, v14, v16
	s_delay_alu instid0(VALU_DEP_2) | instskip(NEXT) | instid1(VALU_DEP_2)
	v_lshlrev_b64 v[11:12], 2, v[11:12]
	v_div_fixup_f32 v13, v14, v13, 1.0
	s_delay_alu instid0(VALU_DEP_2) | instskip(NEXT) | instid1(VALU_DEP_3)
	v_add_co_u32 v11, vcc_lo, s12, v11
	v_add_co_ci_u32_e32 v12, vcc_lo, s13, v12, vcc_lo
	global_store_b32 v[11:12], v13, off
.LBB193_6:
	s_or_b32 exec_lo, exec_lo, s2
	s_waitcnt vmcnt(0)
	v_lshrrev_b32_e32 v11, 16, v4
	v_cvt_f32_f16_e32 v24, v4
	v_or_b32_e32 v28, 1, v22
	v_cvt_f32_f16_e32 v26, v5
	v_lshrrev_b32_e32 v5, 16, v5
	v_cvt_f32_f16_e32 v27, v11
	v_cmp_lt_f16_e32 vcc_lo, v4, v11
	v_or_b32_e32 v29, 2, v22
	v_or_b32_e32 v30, 3, v22
	v_cvt_f32_f16_e32 v25, v5
	v_cvt_f32_f16_e32 v23, v6
	v_dual_cndmask_b32 v4, v22, v28 :: v_dual_cndmask_b32 v11, v24, v27
	v_lshrrev_b32_e32 v6, 16, v6
	v_or_b32_e32 v31, 4, v22
	v_or_b32_e32 v32, 5, v22
	v_cvt_f32_f16_e32 v20, v7
	v_cmp_lt_f32_e32 vcc_lo, v11, v26
	v_cvt_f32_f16_e32 v21, v6
	v_lshrrev_b32_e32 v6, 16, v7
	v_or_b32_e32 v33, 6, v22
	v_or_b32_e32 v34, 7, v22
	v_dual_cndmask_b32 v4, v4, v29 :: v_dual_cndmask_b32 v5, v11, v26
	s_delay_alu instid0(VALU_DEP_4)
	v_cvt_f32_f16_e32 v19, v6
	v_cvt_f32_f16_e32 v18, v0
	v_lshrrev_b32_e32 v0, 16, v0
	v_or_b32_e32 v35, 8, v22
	v_cmp_lt_f32_e32 vcc_lo, v5, v25
	v_cvt_f32_f16_e32 v13, v2
	v_lshrrev_b32_e32 v2, 16, v2
	v_cvt_f32_f16_e32 v17, v0
	v_or_b32_e32 v36, 9, v22
	v_dual_cndmask_b32 v4, v4, v30 :: v_dual_cndmask_b32 v5, v5, v25
	v_cvt_f32_f16_e32 v16, v1
	v_lshrrev_b32_e32 v1, 16, v1
	v_cvt_f32_f16_e32 v12, v2
	v_or_b32_e32 v37, 10, v22
	v_cmp_lt_f32_e32 vcc_lo, v5, v23
	v_cvt_f32_f16_e32 v11, v3
	v_cvt_f32_f16_e32 v15, v1
	v_or_b32_e32 v38, 11, v22
	v_lshrrev_b32_e32 v2, 16, v3
	v_cndmask_b32_e32 v5, v5, v23, vcc_lo
	v_cndmask_b32_e32 v4, v4, v31, vcc_lo
	v_or_b32_e32 v39, 12, v22
	v_or_b32_e32 v40, 13, v22
	v_cvt_f32_f16_e32 v7, v2
	v_cmp_lt_f32_e32 vcc_lo, v5, v21
	v_or_b32_e32 v41, 14, v22
	v_or_b32_e32 v42, 15, v22
	v_dual_cndmask_b32 v5, v5, v21 :: v_dual_cndmask_b32 v4, v4, v32
	s_delay_alu instid0(VALU_DEP_1) | instskip(NEXT) | instid1(VALU_DEP_2)
	v_cmp_lt_f32_e32 vcc_lo, v5, v20
	v_dual_cndmask_b32 v4, v4, v33 :: v_dual_cndmask_b32 v5, v5, v20
	s_delay_alu instid0(VALU_DEP_1) | instskip(NEXT) | instid1(VALU_DEP_2)
	v_cmp_lt_f32_e32 vcc_lo, v5, v19
	;; [unrolled: 3-line block ×3, first 2 shown]
	v_cndmask_b32_e32 v0, v4, v35, vcc_lo
	v_cndmask_b32_e32 v4, v5, v18, vcc_lo
	s_delay_alu instid0(VALU_DEP_1) | instskip(SKIP_1) | instid1(VALU_DEP_4)
	v_cmp_lt_f32_e32 vcc_lo, v4, v17
	v_cndmask_b32_e32 v4, v4, v17, vcc_lo
	v_cndmask_b32_e32 v0, v0, v36, vcc_lo
	s_delay_alu instid0(VALU_DEP_2) | instskip(SKIP_1) | instid1(VALU_DEP_3)
	v_cmp_lt_f32_e32 vcc_lo, v4, v16
	v_cndmask_b32_e32 v1, v4, v16, vcc_lo
	v_cndmask_b32_e32 v0, v0, v37, vcc_lo
	s_delay_alu instid0(VALU_DEP_2) | instskip(NEXT) | instid1(VALU_DEP_2)
	v_cmp_lt_f32_e32 vcc_lo, v1, v15
	v_dual_cndmask_b32 v1, v1, v15 :: v_dual_cndmask_b32 v0, v0, v38
	s_delay_alu instid0(VALU_DEP_1) | instskip(NEXT) | instid1(VALU_DEP_2)
	v_cmp_lt_f32_e32 vcc_lo, v1, v13
	v_dual_cndmask_b32 v1, v1, v13 :: v_dual_cndmask_b32 v0, v0, v39
	s_delay_alu instid0(VALU_DEP_1) | instskip(SKIP_1) | instid1(VALU_DEP_3)
	v_cmp_lt_f32_e32 vcc_lo, v1, v12
	v_cndmask_b32_e32 v1, v1, v12, vcc_lo
	v_cndmask_b32_e32 v0, v0, v40, vcc_lo
	s_delay_alu instid0(VALU_DEP_2) | instskip(NEXT) | instid1(VALU_DEP_2)
	v_cmp_lt_f32_e32 vcc_lo, v1, v11
	v_dual_cndmask_b32 v1, v1, v11 :: v_dual_cndmask_b32 v0, v0, v41
	s_delay_alu instid0(VALU_DEP_1) | instskip(NEXT) | instid1(VALU_DEP_2)
	v_cmp_lt_f32_e32 vcc_lo, v1, v7
	v_dual_cndmask_b32 v0, v0, v42 :: v_dual_cndmask_b32 v1, v1, v7
	s_delay_alu instid0(VALU_DEP_1) | instskip(NEXT) | instid1(VALU_DEP_2)
	v_mov_b32_dpp v2, v0 quad_perm:[1,0,3,2] row_mask:0xf bank_mask:0xf
	v_mov_b32_dpp v3, v1 quad_perm:[1,0,3,2] row_mask:0xf bank_mask:0xf
	s_delay_alu instid0(VALU_DEP_2) | instskip(NEXT) | instid1(VALU_DEP_2)
	v_cmp_lt_i32_e32 vcc_lo, v2, v0
	v_cmp_eq_f32_e64 s2, v1, v3
	v_cmp_lt_f32_e64 s3, v1, v3
	s_delay_alu instid0(VALU_DEP_2)
	s_and_b32 s2, s2, vcc_lo
	s_delay_alu instid0(VALU_DEP_1) | instid1(SALU_CYCLE_1)
	s_or_b32 vcc_lo, s3, s2
	v_dual_cndmask_b32 v1, v1, v3 :: v_dual_cndmask_b32 v0, v0, v2
	s_delay_alu instid0(VALU_DEP_1) | instskip(NEXT) | instid1(VALU_DEP_2)
	v_mov_b32_dpp v2, v1 quad_perm:[2,3,0,1] row_mask:0xf bank_mask:0xf
	v_mov_b32_dpp v3, v0 quad_perm:[2,3,0,1] row_mask:0xf bank_mask:0xf
	s_delay_alu instid0(VALU_DEP_2) | instskip(NEXT) | instid1(VALU_DEP_2)
	v_cmp_eq_f32_e32 vcc_lo, v1, v2
	v_cmp_lt_i32_e64 s2, v3, v0
	v_cmp_lt_f32_e64 s3, v1, v2
	s_delay_alu instid0(VALU_DEP_2)
	s_and_b32 s2, vcc_lo, s2
	s_delay_alu instid0(VALU_DEP_1) | instid1(SALU_CYCLE_1)
	s_or_b32 vcc_lo, s3, s2
	v_dual_cndmask_b32 v1, v1, v2 :: v_dual_cndmask_b32 v0, v0, v3
	s_delay_alu instid0(VALU_DEP_1) | instskip(NEXT) | instid1(VALU_DEP_2)
	v_mov_b32_dpp v2, v1 row_half_mirror row_mask:0xf bank_mask:0xf
	v_mov_b32_dpp v3, v0 row_half_mirror row_mask:0xf bank_mask:0xf
	s_delay_alu instid0(VALU_DEP_2) | instskip(NEXT) | instid1(VALU_DEP_2)
	v_cmp_eq_f32_e32 vcc_lo, v1, v2
	v_cmp_lt_i32_e64 s2, v3, v0
	v_cmp_lt_f32_e64 s3, v1, v2
	s_delay_alu instid0(VALU_DEP_2)
	s_and_b32 s2, vcc_lo, s2
	s_delay_alu instid0(VALU_DEP_1) | instid1(SALU_CYCLE_1)
	s_or_b32 vcc_lo, s3, s2
	v_dual_cndmask_b32 v1, v1, v2 :: v_dual_cndmask_b32 v0, v0, v3
	s_delay_alu instid0(VALU_DEP_1) | instskip(NEXT) | instid1(VALU_DEP_2)
	v_mov_b32_dpp v3, v1 row_mirror row_mask:0xf bank_mask:0xf
	v_mov_b32_dpp v2, v0 row_mirror row_mask:0xf bank_mask:0xf
	s_delay_alu instid0(VALU_DEP_2) | instskip(NEXT) | instid1(VALU_DEP_2)
	v_cmp_eq_f32_e32 vcc_lo, v1, v3
	v_cmp_lt_i32_e64 s2, v2, v0
	v_cmp_lt_f32_e64 s3, v1, v3
	s_delay_alu instid0(VALU_DEP_2) | instskip(SKIP_1) | instid1(VALU_DEP_2)
	s_and_b32 s2, vcc_lo, s2
	v_cmp_eq_u32_e32 vcc_lo, 0, v9
	s_or_b32 s2, s3, s2
	s_waitcnt lgkmcnt(0)
	s_cmp_gt_i32 s4, 0
	v_cndmask_b32_e64 v14, v1, v3, s2
	s_cselect_b32 s3, -1, 0
	s_cmp_lt_i32 s4, 1
	s_cbranch_scc1 .LBB193_18
; %bb.7:
	s_load_b128 s[8:11], s[0:1], 0x20
	v_mul_lo_u32 v1, v8, s7
	v_mul_lo_u32 v3, v8, s14
	;; [unrolled: 1-line block ×3, first 2 shown]
	v_cndmask_b32_e64 v0, v0, v2, s2
	v_mov_b32_e32 v10, 0
	s_and_saveexec_b32 s2, vcc_lo
	s_cbranch_execz .LBB193_9
; %bb.8:
	v_sub_f32_e32 v10, v14, v14
	v_cmp_le_i32_e64 s0, s5, v0
	v_cmp_gt_i32_e64 s1, s6, v0
	v_subrev_nc_u32_e32 v51, s5, v0
	v_ashrrev_i32_e32 v6, 31, v5
	v_mul_f32_e32 v2, 0x3fb8aa3b, v10
	s_delay_alu instid0(VALU_DEP_4) | instskip(NEXT) | instid1(SALU_CYCLE_1)
	s_and_b32 s0, s0, s1
	s_and_b32 s0, s17, s0
	s_delay_alu instid0(VALU_DEP_1) | instskip(SKIP_2) | instid1(VALU_DEP_3)
	v_rndne_f32_e32 v47, v2
	v_fma_f32 v4, 0x3fb8aa3b, v10, -v2
	v_lshlrev_b64 v[49:50], 2, v[5:6]
	v_sub_f32_e32 v2, v2, v47
	s_delay_alu instid0(VALU_DEP_3) | instskip(NEXT) | instid1(VALU_DEP_1)
	v_fmamk_f32 v4, v10, 0x32a5705f, v4
	v_add_f32_e32 v4, v2, v4
	v_ashrrev_i32_e32 v2, 31, v1
	s_delay_alu instid0(VALU_DEP_2) | instskip(NEXT) | instid1(VALU_DEP_1)
	v_exp_f32_e32 v52, v4
	v_lshlrev_b64 v[45:46], 2, v[1:2]
	v_ashrrev_i32_e32 v4, 31, v3
	v_cvt_i32_f32_e32 v2, v47
	s_delay_alu instid0(VALU_DEP_2) | instskip(SKIP_2) | instid1(VALU_DEP_1)
	v_lshlrev_b64 v[47:48], 2, v[3:4]
	v_cndmask_b32_e64 v4, 0x100, v51, s0
	v_add_co_u32 v45, s0, s12, v45
	v_add_co_ci_u32_e64 v46, s0, s13, v46, s0
	s_delay_alu instid0(TRANS32_DEP_1) | instskip(SKIP_1) | instid1(VALU_DEP_1)
	v_ldexp_f32 v2, v52, v2
	v_cmp_ngt_f32_e64 s0, 0xc2ce8ed0, v10
	v_cndmask_b32_e64 v2, 0, v2, s0
	s_waitcnt lgkmcnt(0)
	v_add_co_u32 v47, s0, s8, v47
	s_delay_alu instid0(VALU_DEP_1) | instskip(SKIP_1) | instid1(VALU_DEP_1)
	v_add_co_ci_u32_e64 v48, s0, s9, v48, s0
	v_cmp_nlt_f32_e64 s0, 0x42b17218, v10
	v_cndmask_b32_e64 v10, 0x7f800000, v2, s0
	v_add_co_u32 v49, s0, s10, v49
	s_delay_alu instid0(VALU_DEP_1)
	v_add_co_ci_u32_e64 v50, s0, s11, v50, s0
	global_store_b32 v[47:48], v4, off
	global_store_b32 v[45:46], v10, off
	global_store_b32 v[49:50], v8, off
.LBB193_9:
	s_or_b32 exec_lo, exec_lo, s2
	v_ashrrev_i32_e32 v4, 31, v0
	s_mov_b32 s1, exec_lo
	s_delay_alu instid0(VALU_DEP_1) | instskip(NEXT) | instid1(VALU_DEP_1)
	v_lshrrev_b32_e32 v2, 28, v4
	v_add_nc_u32_e32 v2, v0, v2
	s_delay_alu instid0(VALU_DEP_1) | instskip(NEXT) | instid1(VALU_DEP_1)
	v_ashrrev_i32_e32 v2, 4, v2
	v_lshrrev_b32_e32 v6, 28, v2
	s_delay_alu instid0(VALU_DEP_1) | instskip(NEXT) | instid1(VALU_DEP_1)
	v_add_nc_u32_e32 v6, v2, v6
	v_and_b32_e32 v6, -16, v6
	s_delay_alu instid0(VALU_DEP_1) | instskip(NEXT) | instid1(VALU_DEP_1)
	v_sub_nc_u32_e32 v6, v2, v6
	v_cmpx_eq_u32_e64 v9, v6
	s_cbranch_execz .LBB193_11
; %bb.10:
	v_lshrrev_b32_e32 v4, 24, v4
	v_lshlrev_b32_e32 v2, 4, v2
	s_delay_alu instid0(VALU_DEP_2) | instskip(NEXT) | instid1(VALU_DEP_2)
	v_add_nc_u32_e32 v4, v0, v4
	v_sub_nc_u32_e32 v0, v0, v2
	s_delay_alu instid0(VALU_DEP_2) | instskip(NEXT) | instid1(VALU_DEP_1)
	v_ashrrev_i32_e32 v2, 8, v4
	v_lshl_add_u32 v0, v2, 4, v0
	s_delay_alu instid0(VALU_DEP_1) | instskip(NEXT) | instid1(VALU_DEP_1)
	v_cmp_ne_u32_e64 s0, 15, v0
	v_cndmask_b32_e64 v7, 0xff800000, v7, s0
	v_cmp_ne_u32_e64 s0, 14, v0
	s_delay_alu instid0(VALU_DEP_1) | instskip(SKIP_1) | instid1(VALU_DEP_1)
	v_cndmask_b32_e64 v11, 0xff800000, v11, s0
	v_cmp_ne_u32_e64 s0, 13, v0
	v_cndmask_b32_e64 v12, 0xff800000, v12, s0
	v_cmp_ne_u32_e64 s0, 12, v0
	s_delay_alu instid0(VALU_DEP_1) | instskip(SKIP_1) | instid1(VALU_DEP_1)
	v_cndmask_b32_e64 v13, 0xff800000, v13, s0
	v_cmp_ne_u32_e64 s0, 11, v0
	v_cndmask_b32_e64 v15, 0xff800000, v15, s0
	v_cmp_ne_u32_e64 s0, 10, v0
	s_delay_alu instid0(VALU_DEP_1) | instskip(SKIP_1) | instid1(VALU_DEP_1)
	v_cndmask_b32_e64 v16, 0xff800000, v16, s0
	v_cmp_ne_u32_e64 s0, 9, v0
	v_cndmask_b32_e64 v17, 0xff800000, v17, s0
	v_cmp_ne_u32_e64 s0, 8, v0
	s_delay_alu instid0(VALU_DEP_1) | instskip(SKIP_1) | instid1(VALU_DEP_1)
	v_cndmask_b32_e64 v18, 0xff800000, v18, s0
	v_cmp_ne_u32_e64 s0, 7, v0
	v_cndmask_b32_e64 v19, 0xff800000, v19, s0
	v_cmp_ne_u32_e64 s0, 6, v0
	s_delay_alu instid0(VALU_DEP_1) | instskip(SKIP_1) | instid1(VALU_DEP_1)
	v_cndmask_b32_e64 v20, 0xff800000, v20, s0
	v_cmp_ne_u32_e64 s0, 5, v0
	v_cndmask_b32_e64 v21, 0xff800000, v21, s0
	v_cmp_ne_u32_e64 s0, 4, v0
	s_delay_alu instid0(VALU_DEP_1) | instskip(SKIP_1) | instid1(VALU_DEP_1)
	v_cndmask_b32_e64 v23, 0xff800000, v23, s0
	v_cmp_ne_u32_e64 s0, 3, v0
	v_cndmask_b32_e64 v25, 0xff800000, v25, s0
	v_cmp_ne_u32_e64 s0, 2, v0
	s_delay_alu instid0(VALU_DEP_1) | instskip(SKIP_1) | instid1(VALU_DEP_1)
	v_cndmask_b32_e64 v26, 0xff800000, v26, s0
	v_cmp_ne_u32_e64 s0, 1, v0
	v_cndmask_b32_e64 v27, 0xff800000, v27, s0
	v_cmp_ne_u32_e64 s0, 0, v0
	s_delay_alu instid0(VALU_DEP_1)
	v_cndmask_b32_e64 v24, 0xff800000, v24, s0
.LBB193_11:
	s_or_b32 exec_lo, exec_lo, s1
	s_cmp_eq_u32 s4, 1
	s_cbranch_scc1 .LBB193_18
; %bb.12:
	s_add_i32 s18, s18, s16
	v_add_nc_u32_e32 v0, 1, v5
	v_add3_u32 v6, s18, v44, v43
	v_add_nc_u32_e32 v2, 1, v3
	v_add_nc_u32_e32 v4, 1, v1
	s_add_i32 s14, s4, -1
	s_branch .LBB193_14
.LBB193_13:                             ;   in Loop: Header=BB193_14 Depth=1
	s_or_b32 exec_lo, exec_lo, s1
	v_add_nc_u32_e32 v6, s16, v6
	v_add_nc_u32_e32 v0, 1, v0
	;; [unrolled: 1-line block ×4, first 2 shown]
	s_add_i32 s14, s14, -1
	s_delay_alu instid0(SALU_CYCLE_1)
	s_cmp_eq_u32 s14, 0
	s_cbranch_scc1 .LBB193_18
.LBB193_14:                             ; =>This Inner Loop Header: Depth=1
	v_cmp_gt_f32_e64 s0, v27, v24
	s_delay_alu instid0(VALU_DEP_1) | instskip(SKIP_1) | instid1(VALU_DEP_2)
	v_cndmask_b32_e64 v3, v24, v27, s0
	v_cndmask_b32_e64 v1, v22, v28, s0
	v_cmp_gt_f32_e64 s0, v26, v3
	s_delay_alu instid0(VALU_DEP_1) | instskip(NEXT) | instid1(VALU_DEP_3)
	v_cndmask_b32_e64 v3, v3, v26, s0
	v_cndmask_b32_e64 v1, v1, v29, s0
	s_delay_alu instid0(VALU_DEP_2) | instskip(NEXT) | instid1(VALU_DEP_1)
	v_cmp_gt_f32_e64 s0, v25, v3
	v_cndmask_b32_e64 v3, v3, v25, s0
	s_delay_alu instid0(VALU_DEP_3) | instskip(NEXT) | instid1(VALU_DEP_2)
	v_cndmask_b32_e64 v1, v1, v30, s0
	v_cmp_gt_f32_e64 s0, v23, v3
	s_delay_alu instid0(VALU_DEP_1) | instskip(NEXT) | instid1(VALU_DEP_3)
	v_cndmask_b32_e64 v3, v3, v23, s0
	v_cndmask_b32_e64 v1, v1, v31, s0
	s_delay_alu instid0(VALU_DEP_2) | instskip(NEXT) | instid1(VALU_DEP_1)
	v_cmp_gt_f32_e64 s0, v21, v3
	v_cndmask_b32_e64 v3, v3, v21, s0
	s_delay_alu instid0(VALU_DEP_3) | instskip(NEXT) | instid1(VALU_DEP_2)
	;; [unrolled: 9-line block ×6, first 2 shown]
	v_cndmask_b32_e64 v1, v1, v40, s0
	v_cmp_gt_f32_e64 s0, v11, v3
	s_delay_alu instid0(VALU_DEP_1) | instskip(NEXT) | instid1(VALU_DEP_3)
	v_cndmask_b32_e64 v3, v3, v11, s0
	v_cndmask_b32_e64 v1, v1, v41, s0
	s_delay_alu instid0(VALU_DEP_2) | instskip(NEXT) | instid1(VALU_DEP_1)
	v_cmp_gt_f32_e64 s0, v7, v3
	v_cndmask_b32_e64 v1, v1, v42, s0
	v_cndmask_b32_e64 v3, v3, v7, s0
	s_delay_alu instid0(VALU_DEP_2) | instskip(NEXT) | instid1(VALU_DEP_2)
	v_mov_b32_dpp v5, v1 quad_perm:[1,0,3,2] row_mask:0xf bank_mask:0xf
	v_mov_b32_dpp v43, v3 quad_perm:[1,0,3,2] row_mask:0xf bank_mask:0xf
	s_delay_alu instid0(VALU_DEP_2) | instskip(NEXT) | instid1(VALU_DEP_2)
	v_cmp_lt_i32_e64 s0, v5, v1
	v_cmp_eq_f32_e64 s1, v3, v43
	v_cmp_lt_f32_e64 s2, v3, v43
	s_delay_alu instid0(VALU_DEP_2)
	s_and_b32 s0, s1, s0
	s_delay_alu instid0(VALU_DEP_1) | instid1(SALU_CYCLE_1)
	s_or_b32 s0, s2, s0
	s_delay_alu instid0(SALU_CYCLE_1) | instskip(SKIP_1) | instid1(VALU_DEP_2)
	v_cndmask_b32_e64 v3, v3, v43, s0
	v_cndmask_b32_e64 v1, v1, v5, s0
	v_mov_b32_dpp v5, v3 quad_perm:[2,3,0,1] row_mask:0xf bank_mask:0xf
	s_delay_alu instid0(VALU_DEP_2) | instskip(NEXT) | instid1(VALU_DEP_2)
	v_mov_b32_dpp v43, v1 quad_perm:[2,3,0,1] row_mask:0xf bank_mask:0xf
	v_cmp_eq_f32_e64 s0, v3, v5
	s_delay_alu instid0(VALU_DEP_2) | instskip(SKIP_1) | instid1(VALU_DEP_2)
	v_cmp_lt_i32_e64 s1, v43, v1
	v_cmp_lt_f32_e64 s2, v3, v5
	s_and_b32 s0, s0, s1
	s_delay_alu instid0(VALU_DEP_1) | instid1(SALU_CYCLE_1)
	s_or_b32 s0, s2, s0
	s_delay_alu instid0(SALU_CYCLE_1) | instskip(SKIP_1) | instid1(VALU_DEP_2)
	v_cndmask_b32_e64 v3, v3, v5, s0
	v_cndmask_b32_e64 v5, v1, v43, s0
	v_mov_b32_dpp v1, v3 row_half_mirror row_mask:0xf bank_mask:0xf
	s_delay_alu instid0(VALU_DEP_2) | instskip(NEXT) | instid1(VALU_DEP_2)
	v_mov_b32_dpp v43, v5 row_half_mirror row_mask:0xf bank_mask:0xf
	v_cmp_eq_f32_e64 s0, v3, v1
	s_delay_alu instid0(VALU_DEP_2) | instskip(SKIP_1) | instid1(VALU_DEP_2)
	v_cmp_lt_i32_e64 s1, v43, v5
	v_cmp_lt_f32_e64 s2, v3, v1
	s_and_b32 s0, s0, s1
	s_delay_alu instid0(VALU_DEP_1) | instid1(SALU_CYCLE_1)
	s_or_b32 s0, s2, s0
	s_delay_alu instid0(SALU_CYCLE_1) | instskip(SKIP_1) | instid1(VALU_DEP_2)
	v_cndmask_b32_e64 v1, v3, v1, s0
	v_cndmask_b32_e64 v5, v5, v43, s0
	v_mov_b32_dpp v3, v1 row_mirror row_mask:0xf bank_mask:0xf
	s_delay_alu instid0(VALU_DEP_2) | instskip(NEXT) | instid1(VALU_DEP_2)
	v_mov_b32_dpp v43, v5 row_mirror row_mask:0xf bank_mask:0xf
	v_cmp_eq_f32_e64 s0, v1, v3
	s_delay_alu instid0(VALU_DEP_2) | instskip(SKIP_1) | instid1(VALU_DEP_2)
	v_cmp_lt_i32_e64 s1, v43, v5
	v_cmp_lt_f32_e64 s2, v1, v3
	s_and_b32 s0, s0, s1
	s_delay_alu instid0(VALU_DEP_1) | instid1(SALU_CYCLE_1)
	s_or_b32 s0, s2, s0
	s_delay_alu instid0(SALU_CYCLE_1)
	v_cndmask_b32_e64 v43, v5, v43, s0
	s_and_saveexec_b32 s2, vcc_lo
	s_cbranch_execz .LBB193_16
; %bb.15:                               ;   in Loop: Header=BB193_14 Depth=1
	v_cndmask_b32_e64 v1, v1, v3, s0
	s_delay_alu instid0(VALU_DEP_2) | instskip(SKIP_4) | instid1(VALU_DEP_4)
	v_cmp_le_i32_e64 s0, s5, v43
	v_cmp_gt_i32_e64 s1, s6, v43
	v_ashrrev_i32_e32 v5, 31, v4
	v_subrev_nc_u32_e32 v51, s5, v43
	v_sub_f32_e32 v50, v1, v14
	s_and_b32 s0, s0, s1
	s_delay_alu instid0(SALU_CYCLE_1) | instskip(NEXT) | instid1(VALU_DEP_1)
	s_and_b32 s0, s17, s0
	v_mul_f32_e32 v1, 0x3fb8aa3b, v50
	s_delay_alu instid0(VALU_DEP_1) | instskip(SKIP_1) | instid1(VALU_DEP_2)
	v_fma_f32 v3, 0x3fb8aa3b, v50, -v1
	v_rndne_f32_e32 v44, v1
	v_fmac_f32_e32 v3, 0x32a5705f, v50
	s_delay_alu instid0(VALU_DEP_2) | instskip(SKIP_2) | instid1(VALU_DEP_3)
	v_sub_f32_e32 v1, v1, v44
	v_cvt_i32_f32_e32 v49, v44
	v_lshlrev_b64 v[44:45], 2, v[4:5]
	v_add_f32_e32 v1, v1, v3
	v_ashrrev_i32_e32 v3, 31, v2
	s_delay_alu instid0(VALU_DEP_2) | instskip(SKIP_1) | instid1(VALU_DEP_2)
	v_exp_f32_e32 v48, v1
	v_ashrrev_i32_e32 v1, 31, v0
	v_lshlrev_b64 v[46:47], 2, v[2:3]
	s_waitcnt_depctr 0xfff
	v_ldexp_f32 v3, v48, v49
	v_lshlrev_b64 v[48:49], 2, v[0:1]
	v_cndmask_b32_e64 v1, 0x100, v51, s0
	v_cmp_ngt_f32_e64 s0, 0xc2ce8ed0, v50
	s_delay_alu instid0(VALU_DEP_1) | instskip(SKIP_1) | instid1(VALU_DEP_1)
	v_cndmask_b32_e64 v3, 0, v3, s0
	v_add_co_u32 v44, s0, s12, v44
	v_add_co_ci_u32_e64 v45, s0, s13, v45, s0
	v_cmp_nlt_f32_e64 s0, 0x42b17218, v50
	s_delay_alu instid0(VALU_DEP_1) | instskip(SKIP_2) | instid1(VALU_DEP_1)
	v_cndmask_b32_e64 v3, 0x7f800000, v3, s0
	s_waitcnt lgkmcnt(0)
	v_add_co_u32 v46, s0, s8, v46
	v_add_co_ci_u32_e64 v47, s0, s9, v47, s0
	s_delay_alu instid0(VALU_DEP_3) | instskip(SKIP_1) | instid1(VALU_DEP_1)
	v_add_f32_e32 v10, v10, v3
	v_add_co_u32 v48, s0, s10, v48
	v_add_co_ci_u32_e64 v49, s0, s11, v49, s0
	global_store_b32 v[44:45], v3, off
	global_store_b32 v[46:47], v1, off
	;; [unrolled: 1-line block ×3, first 2 shown]
.LBB193_16:                             ;   in Loop: Header=BB193_14 Depth=1
	s_or_b32 exec_lo, exec_lo, s2
	s_delay_alu instid0(VALU_DEP_1) | instskip(SKIP_1) | instid1(VALU_DEP_1)
	v_ashrrev_i32_e32 v3, 31, v43
	s_mov_b32 s1, exec_lo
	v_lshrrev_b32_e32 v1, 28, v3
	s_delay_alu instid0(VALU_DEP_1) | instskip(NEXT) | instid1(VALU_DEP_1)
	v_add_nc_u32_e32 v1, v43, v1
	v_ashrrev_i32_e32 v1, 4, v1
	s_delay_alu instid0(VALU_DEP_1) | instskip(NEXT) | instid1(VALU_DEP_1)
	v_lshrrev_b32_e32 v5, 28, v1
	v_add_nc_u32_e32 v5, v1, v5
	s_delay_alu instid0(VALU_DEP_1) | instskip(NEXT) | instid1(VALU_DEP_1)
	v_and_b32_e32 v5, -16, v5
	v_sub_nc_u32_e32 v5, v1, v5
	s_delay_alu instid0(VALU_DEP_1)
	v_cmpx_eq_u32_e64 v9, v5
	s_cbranch_execz .LBB193_13
; %bb.17:                               ;   in Loop: Header=BB193_14 Depth=1
	v_lshrrev_b32_e32 v3, 24, v3
	v_lshlrev_b32_e32 v1, 4, v1
	s_delay_alu instid0(VALU_DEP_2) | instskip(NEXT) | instid1(VALU_DEP_2)
	v_add_nc_u32_e32 v3, v43, v3
	v_sub_nc_u32_e32 v1, v43, v1
	s_delay_alu instid0(VALU_DEP_2) | instskip(NEXT) | instid1(VALU_DEP_1)
	v_ashrrev_i32_e32 v3, 8, v3
	v_lshl_add_u32 v1, v3, 4, v1
	s_delay_alu instid0(VALU_DEP_1) | instskip(NEXT) | instid1(VALU_DEP_1)
	v_cmp_ne_u32_e64 s0, 15, v1
	v_cndmask_b32_e64 v7, 0xff800000, v7, s0
	v_cmp_ne_u32_e64 s0, 14, v1
	s_delay_alu instid0(VALU_DEP_1) | instskip(SKIP_1) | instid1(VALU_DEP_1)
	v_cndmask_b32_e64 v11, 0xff800000, v11, s0
	v_cmp_ne_u32_e64 s0, 13, v1
	v_cndmask_b32_e64 v12, 0xff800000, v12, s0
	v_cmp_ne_u32_e64 s0, 12, v1
	s_delay_alu instid0(VALU_DEP_1) | instskip(SKIP_1) | instid1(VALU_DEP_1)
	v_cndmask_b32_e64 v13, 0xff800000, v13, s0
	v_cmp_ne_u32_e64 s0, 11, v1
	v_cndmask_b32_e64 v15, 0xff800000, v15, s0
	v_cmp_ne_u32_e64 s0, 10, v1
	s_delay_alu instid0(VALU_DEP_1) | instskip(SKIP_1) | instid1(VALU_DEP_1)
	v_cndmask_b32_e64 v16, 0xff800000, v16, s0
	v_cmp_ne_u32_e64 s0, 9, v1
	v_cndmask_b32_e64 v17, 0xff800000, v17, s0
	v_cmp_ne_u32_e64 s0, 8, v1
	s_delay_alu instid0(VALU_DEP_1) | instskip(SKIP_1) | instid1(VALU_DEP_1)
	v_cndmask_b32_e64 v18, 0xff800000, v18, s0
	v_cmp_ne_u32_e64 s0, 7, v1
	v_cndmask_b32_e64 v19, 0xff800000, v19, s0
	v_cmp_ne_u32_e64 s0, 6, v1
	s_delay_alu instid0(VALU_DEP_1) | instskip(SKIP_1) | instid1(VALU_DEP_1)
	v_cndmask_b32_e64 v20, 0xff800000, v20, s0
	v_cmp_ne_u32_e64 s0, 5, v1
	v_cndmask_b32_e64 v21, 0xff800000, v21, s0
	v_cmp_ne_u32_e64 s0, 4, v1
	s_delay_alu instid0(VALU_DEP_1) | instskip(SKIP_1) | instid1(VALU_DEP_1)
	v_cndmask_b32_e64 v23, 0xff800000, v23, s0
	v_cmp_ne_u32_e64 s0, 3, v1
	v_cndmask_b32_e64 v25, 0xff800000, v25, s0
	v_cmp_ne_u32_e64 s0, 2, v1
	s_delay_alu instid0(VALU_DEP_1) | instskip(SKIP_1) | instid1(VALU_DEP_1)
	v_cndmask_b32_e64 v26, 0xff800000, v26, s0
	v_cmp_ne_u32_e64 s0, 1, v1
	v_cndmask_b32_e64 v27, 0xff800000, v27, s0
	v_cmp_ne_u32_e64 s0, 0, v1
	s_delay_alu instid0(VALU_DEP_1)
	v_cndmask_b32_e64 v24, 0xff800000, v24, s0
	s_branch .LBB193_13
.LBB193_18:
	s_delay_alu instid0(VALU_DEP_1) | instskip(SKIP_4) | instid1(VALU_DEP_4)
	v_sub_f32_e32 v5, v25, v14
	v_sub_f32_e32 v0, v24, v14
	;; [unrolled: 1-line block ×5, first 2 shown]
	v_dual_mul_f32 v27, 0x3fb8aa3b, v5 :: v_dual_mul_f32 v2, 0x3fb8aa3b, v0
	s_delay_alu instid0(VALU_DEP_4) | instskip(SKIP_1) | instid1(VALU_DEP_3)
	v_dual_sub_f32 v3, v26, v14 :: v_dual_mul_f32 v4, 0x3fb8aa3b, v1
	v_cmp_ngt_f32_e32 vcc_lo, 0xc2ce8ed0, v0
	v_rndne_f32_e32 v30, v27
	s_delay_alu instid0(VALU_DEP_4) | instskip(NEXT) | instid1(VALU_DEP_4)
	v_fma_f32 v22, 0x3fb8aa3b, v0, -v2
	v_mul_f32_e32 v26, 0x3fb8aa3b, v3
	v_fma_f32 v29, 0x3fb8aa3b, v5, -v27
	v_sub_f32_e32 v6, v23, v14
	v_rndne_f32_e32 v23, v2
	v_fma_f32 v24, 0x3fb8aa3b, v1, -v4
	v_rndne_f32_e32 v25, v4
	v_dual_fmac_f32 v29, 0x32a5705f, v5 :: v_dual_fmac_f32 v22, 0x32a5705f, v0
	s_delay_alu instid0(VALU_DEP_4) | instskip(NEXT) | instid1(VALU_DEP_4)
	v_sub_f32_e32 v2, v2, v23
	v_fmac_f32_e32 v24, 0x32a5705f, v1
	s_delay_alu instid0(VALU_DEP_4) | instskip(SKIP_1) | instid1(VALU_DEP_4)
	v_dual_sub_f32 v4, v4, v25 :: v_dual_sub_f32 v21, v21, v14
	v_cvt_i32_f32_e32 v23, v23
	v_add_f32_e32 v2, v2, v22
	v_fma_f32 v22, 0x3fb8aa3b, v3, -v26
	s_delay_alu instid0(VALU_DEP_4)
	v_add_f32_e32 v4, v4, v24
	v_rndne_f32_e32 v24, v26
	v_cvt_i32_f32_e32 v25, v25
	v_exp_f32_e32 v2, v2
	v_fmac_f32_e32 v22, 0x32a5705f, v3
	v_exp_f32_e32 v4, v4
	v_sub_f32_e32 v26, v26, v24
	v_cvt_i32_f32_e32 v24, v24
	v_sub_f32_e32 v19, v19, v14
	v_sub_f32_e32 v15, v15, v14
	v_sub_f32_e32 v11, v11, v14
	v_add_f32_e32 v22, v26, v22
	s_delay_alu instid0(TRANS32_DEP_2) | instskip(SKIP_1) | instid1(TRANS32_DEP_1)
	v_ldexp_f32 v2, v2, v23
	v_sub_f32_e32 v23, v27, v30
	v_ldexp_f32 v4, v4, v25
	s_delay_alu instid0(VALU_DEP_4) | instskip(NEXT) | instid1(VALU_DEP_3)
	v_exp_f32_e32 v22, v22
	v_cndmask_b32_e32 v2, 0, v2, vcc_lo
	v_cmp_ngt_f32_e32 vcc_lo, 0xc2ce8ed0, v1
	s_delay_alu instid0(VALU_DEP_3) | instskip(SKIP_1) | instid1(VALU_DEP_2)
	v_dual_add_f32 v23, v23, v29 :: v_dual_cndmask_b32 v4, 0, v4
	v_cmp_nlt_f32_e32 vcc_lo, 0x42b17218, v0
	v_exp_f32_e32 v23, v23
	v_cndmask_b32_e32 v0, 0x7f800000, v2, vcc_lo
	v_cmp_nlt_f32_e32 vcc_lo, 0x42b17218, v1
	v_cndmask_b32_e32 v1, 0x7f800000, v4, vcc_lo
	s_delay_alu instid0(TRANS32_DEP_2) | instskip(SKIP_1) | instid1(VALU_DEP_2)
	v_ldexp_f32 v4, v22, v24
	v_cmp_ngt_f32_e32 vcc_lo, 0xc2ce8ed0, v3
	v_dual_add_f32 v0, v0, v1 :: v_dual_cndmask_b32 v1, 0, v4
	v_cvt_i32_f32_e32 v4, v30
	v_cmp_nlt_f32_e32 vcc_lo, 0x42b17218, v3
	s_delay_alu instid0(TRANS32_DEP_1) | instid1(VALU_DEP_2)
	v_ldexp_f32 v3, v23, v4
	s_delay_alu instid0(VALU_DEP_4) | instskip(SKIP_3) | instid1(VALU_DEP_4)
	v_cndmask_b32_e32 v1, 0x7f800000, v1, vcc_lo
	v_cmp_ngt_f32_e32 vcc_lo, 0xc2ce8ed0, v5
	v_mul_f32_e32 v28, 0x3fb8aa3b, v6
	v_mul_f32_e32 v4, 0x3fb8aa3b, v21
	v_dual_add_f32 v0, v0, v1 :: v_dual_cndmask_b32 v1, 0, v3
	s_delay_alu instid0(VALU_DEP_3) | instskip(SKIP_1) | instid1(VALU_DEP_4)
	v_fma_f32 v2, 0x3fb8aa3b, v6, -v28
	v_rndne_f32_e32 v22, v28
	v_fma_f32 v3, 0x3fb8aa3b, v21, -v4
	v_rndne_f32_e32 v23, v4
	v_cmp_nlt_f32_e32 vcc_lo, 0x42b17218, v5
	v_fmac_f32_e32 v2, 0x32a5705f, v6
	v_sub_f32_e32 v24, v28, v22
	v_cvt_i32_f32_e32 v5, v22
	v_fmac_f32_e32 v3, 0x32a5705f, v21
	v_dual_cndmask_b32 v1, 0x7f800000, v1 :: v_dual_sub_f32 v4, v4, v23
	s_delay_alu instid0(VALU_DEP_4) | instskip(SKIP_1) | instid1(VALU_DEP_3)
	v_add_f32_e32 v2, v24, v2
	v_cmp_ngt_f32_e32 vcc_lo, 0xc2ce8ed0, v6
	v_add_f32_e32 v0, v0, v1
	s_delay_alu instid0(VALU_DEP_3) | instskip(SKIP_2) | instid1(VALU_DEP_1)
	v_exp_f32_e32 v2, v2
	s_waitcnt_depctr 0xfff
	v_ldexp_f32 v1, v2, v5
	v_dual_add_f32 v2, v4, v3 :: v_dual_cndmask_b32 v1, 0, v1
	s_delay_alu instid0(VALU_DEP_1) | instskip(SKIP_2) | instid1(VALU_DEP_3)
	v_exp_f32_e32 v2, v2
	v_cmp_nlt_f32_e32 vcc_lo, 0x42b17218, v6
	v_cvt_i32_f32_e32 v6, v23
	v_cndmask_b32_e32 v1, 0x7f800000, v1, vcc_lo
	v_cmp_ngt_f32_e32 vcc_lo, 0xc2ce8ed0, v21
	s_delay_alu instid0(VALU_DEP_2) | instskip(SKIP_2) | instid1(VALU_DEP_1)
	v_add_f32_e32 v0, v0, v1
	s_waitcnt_depctr 0xfff
	v_ldexp_f32 v1, v2, v6
	v_cndmask_b32_e32 v1, 0, v1, vcc_lo
	v_cmp_nlt_f32_e32 vcc_lo, 0x42b17218, v21
	v_mul_f32_e32 v21, 0x3fb8aa3b, v15
	s_delay_alu instid0(VALU_DEP_3) | instskip(SKIP_2) | instid1(VALU_DEP_3)
	v_cndmask_b32_e32 v1, 0x7f800000, v1, vcc_lo
	v_mul_f32_e32 v22, 0x3fb8aa3b, v20
	v_cmp_ngt_f32_e32 vcc_lo, 0xc2ce8ed0, v20
	v_add_f32_e32 v0, v0, v1
	s_delay_alu instid0(VALU_DEP_3) | instskip(SKIP_1) | instid1(VALU_DEP_2)
	v_fma_f32 v3, 0x3fb8aa3b, v20, -v22
	v_rndne_f32_e32 v4, v22
	v_fmac_f32_e32 v3, 0x32a5705f, v20
	s_delay_alu instid0(VALU_DEP_2) | instskip(SKIP_1) | instid1(VALU_DEP_2)
	v_sub_f32_e32 v5, v22, v4
	v_cvt_i32_f32_e32 v4, v4
	v_add_f32_e32 v3, v5, v3
	v_mul_f32_e32 v5, 0x3fb8aa3b, v19
	s_delay_alu instid0(VALU_DEP_2) | instskip(NEXT) | instid1(VALU_DEP_1)
	v_exp_f32_e32 v2, v3
	v_fma_f32 v3, 0x3fb8aa3b, v19, -v5
	v_rndne_f32_e32 v6, v5
	s_delay_alu instid0(VALU_DEP_2) | instskip(NEXT) | instid1(VALU_DEP_2)
	v_fmac_f32_e32 v3, 0x32a5705f, v19
	v_sub_f32_e32 v5, v5, v6
	v_cvt_i32_f32_e32 v6, v6
	s_waitcnt_depctr 0xfff
	v_ldexp_f32 v2, v2, v4
	v_add_f32_e32 v3, v5, v3
	v_sub_f32_e32 v5, v17, v14
	v_sub_f32_e32 v16, v16, v14
	s_delay_alu instid0(VALU_DEP_4)
	v_cndmask_b32_e32 v1, 0, v2, vcc_lo
	v_cmp_nlt_f32_e32 vcc_lo, 0x42b17218, v20
	v_sub_f32_e32 v4, v18, v14
	v_exp_f32_e32 v2, v3
	v_mul_f32_e32 v20, 0x3fb8aa3b, v5
	v_cndmask_b32_e32 v1, 0x7f800000, v1, vcc_lo
	s_delay_alu instid0(VALU_DEP_3) | instskip(SKIP_1) | instid1(VALU_DEP_3)
	v_mul_f32_e32 v3, 0x3fb8aa3b, v4
	v_cmp_ngt_f32_e32 vcc_lo, 0xc2ce8ed0, v19
	v_add_f32_e32 v0, v0, v1
	s_delay_alu instid0(VALU_DEP_3) | instskip(SKIP_1) | instid1(TRANS32_DEP_1)
	v_fma_f32 v17, 0x3fb8aa3b, v4, -v3
	v_rndne_f32_e32 v18, v3
	v_ldexp_f32 v1, v2, v6
	v_rndne_f32_e32 v6, v20
	s_delay_alu instid0(VALU_DEP_3) | instskip(NEXT) | instid1(VALU_DEP_3)
	v_dual_fmac_f32 v17, 0x32a5705f, v4 :: v_dual_sub_f32 v2, v3, v18
	v_cndmask_b32_e32 v1, 0, v1, vcc_lo
	v_fma_f32 v3, 0x3fb8aa3b, v5, -v20
	v_cmp_nlt_f32_e32 vcc_lo, 0x42b17218, v19
	v_cvt_i32_f32_e32 v18, v18
	v_dual_add_f32 v2, v2, v17 :: v_dual_sub_f32 v17, v20, v6
	s_delay_alu instid0(VALU_DEP_4) | instskip(SKIP_1) | instid1(VALU_DEP_3)
	v_fmac_f32_e32 v3, 0x32a5705f, v5
	v_mul_f32_e32 v20, 0x3fb8aa3b, v16
	v_exp_f32_e32 v2, v2
	s_delay_alu instid0(VALU_DEP_2) | instskip(NEXT) | instid1(VALU_DEP_2)
	v_add_f32_e32 v3, v17, v3
	v_fma_f32 v17, 0x3fb8aa3b, v16, -v20
	v_rndne_f32_e32 v19, v20
	v_cndmask_b32_e32 v1, 0x7f800000, v1, vcc_lo
	v_cmp_ngt_f32_e32 vcc_lo, 0xc2ce8ed0, v4
	v_exp_f32_e32 v3, v3
	s_delay_alu instid0(VALU_DEP_3) | instskip(NEXT) | instid1(VALU_DEP_3)
	v_dual_fmac_f32 v17, 0x32a5705f, v16 :: v_dual_sub_f32 v20, v20, v19
	v_add_f32_e32 v0, v0, v1
	s_delay_alu instid0(TRANS32_DEP_2)
	v_ldexp_f32 v1, v2, v18
	v_cvt_i32_f32_e32 v2, v6
	v_rndne_f32_e32 v18, v21
	v_add_f32_e32 v6, v20, v17
	v_fma_f32 v17, 0x3fb8aa3b, v15, -v21
	v_cndmask_b32_e32 v1, 0, v1, vcc_lo
	s_delay_alu instid0(TRANS32_DEP_1)
	v_ldexp_f32 v2, v3, v2
	v_cmp_nlt_f32_e32 vcc_lo, 0x42b17218, v4
	v_exp_f32_e32 v3, v6
	v_sub_f32_e32 v6, v21, v18
	v_cvt_i32_f32_e32 v4, v19
	v_fmac_f32_e32 v17, 0x32a5705f, v15
	v_cndmask_b32_e32 v1, 0x7f800000, v1, vcc_lo
	v_cmp_ngt_f32_e32 vcc_lo, 0xc2ce8ed0, v5
	s_delay_alu instid0(VALU_DEP_2) | instskip(NEXT) | instid1(TRANS32_DEP_1)
	v_add_f32_e32 v0, v0, v1
	v_ldexp_f32 v1, v3, v4
	v_cndmask_b32_e32 v2, 0, v2, vcc_lo
	v_cmp_nlt_f32_e32 vcc_lo, 0x42b17218, v5
	v_dual_sub_f32 v4, v13, v14 :: v_dual_mul_f32 v13, 0x3fb8aa3b, v11
	s_delay_alu instid0(VALU_DEP_3) | instskip(SKIP_1) | instid1(VALU_DEP_3)
	v_cndmask_b32_e32 v2, 0x7f800000, v2, vcc_lo
	v_cmp_ngt_f32_e32 vcc_lo, 0xc2ce8ed0, v16
	v_mul_f32_e32 v5, 0x3fb8aa3b, v4
	v_cndmask_b32_e32 v1, 0, v1, vcc_lo
	v_cmp_nlt_f32_e32 vcc_lo, 0x42b17218, v16
	v_add_f32_e32 v0, v0, v2
	v_cvt_i32_f32_e32 v2, v18
	s_delay_alu instid0(VALU_DEP_4) | instskip(SKIP_1) | instid1(VALU_DEP_2)
	v_cndmask_b32_e32 v1, 0x7f800000, v1, vcc_lo
	v_cmp_ngt_f32_e32 vcc_lo, 0xc2ce8ed0, v15
	v_add_f32_e32 v0, v0, v1
	v_fma_f32 v1, 0x3fb8aa3b, v4, -v5
	s_delay_alu instid0(VALU_DEP_1) | instskip(NEXT) | instid1(VALU_DEP_1)
	v_dual_add_f32 v6, v6, v17 :: v_dual_fmac_f32 v1, 0x32a5705f, v4
	v_exp_f32_e32 v3, v6
	v_sub_f32_e32 v6, v12, v14
	v_fma_f32 v14, 0x3fb8aa3b, v11, -v13
	s_delay_alu instid0(VALU_DEP_1) | instskip(SKIP_3) | instid1(VALU_DEP_1)
	v_fmac_f32_e32 v14, 0x32a5705f, v11
	s_waitcnt_depctr 0xfff
	v_ldexp_f32 v2, v3, v2
	v_rndne_f32_e32 v3, v5
	v_dual_cndmask_b32 v2, 0, v2 :: v_dual_sub_f32 v5, v5, v3
	v_cmp_nlt_f32_e32 vcc_lo, 0x42b17218, v15
	v_cvt_i32_f32_e32 v3, v3
	v_rndne_f32_e32 v15, v13
	s_delay_alu instid0(VALU_DEP_4) | instskip(SKIP_1) | instid1(VALU_DEP_2)
	v_dual_add_f32 v1, v5, v1 :: v_dual_cndmask_b32 v2, 0x7f800000, v2
	v_cmp_ngt_f32_e32 vcc_lo, 0xc2ce8ed0, v4
	v_exp_f32_e32 v1, v1
	s_waitcnt_depctr 0xfff
	v_ldexp_f32 v1, v1, v3
	s_delay_alu instid0(VALU_DEP_1) | instskip(NEXT) | instid1(VALU_DEP_1)
	v_dual_mul_f32 v12, 0x3fb8aa3b, v6 :: v_dual_cndmask_b32 v1, 0, v1
	v_rndne_f32_e32 v5, v12
	v_cmp_nlt_f32_e32 vcc_lo, 0x42b17218, v4
	v_add_f32_e32 v0, v0, v2
	v_fma_f32 v2, 0x3fb8aa3b, v6, -v12
	v_cvt_i32_f32_e32 v4, v15
	v_sub_f32_e32 v12, v12, v5
	v_cndmask_b32_e32 v1, 0x7f800000, v1, vcc_lo
	v_cvt_i32_f32_e32 v5, v5
	v_fmac_f32_e32 v2, 0x32a5705f, v6
	s_delay_alu instid0(VALU_DEP_3) | instskip(NEXT) | instid1(VALU_DEP_2)
	v_add_f32_e32 v0, v0, v1
	v_add_f32_e32 v2, v12, v2
	v_sub_f32_e32 v12, v13, v15
	v_mul_f32_e32 v16, 0x3fb8aa3b, v7
	s_delay_alu instid0(VALU_DEP_3) | instskip(NEXT) | instid1(VALU_DEP_2)
	v_exp_f32_e32 v2, v2
	v_add_f32_e32 v3, v12, v14
	s_delay_alu instid0(VALU_DEP_2) | instskip(SKIP_1) | instid1(VALU_DEP_3)
	v_fma_f32 v13, 0x3fb8aa3b, v7, -v16
	v_rndne_f32_e32 v17, v16
	v_exp_f32_e32 v3, v3
	s_delay_alu instid0(VALU_DEP_1) | instskip(SKIP_1) | instid1(TRANS32_DEP_2)
	v_dual_fmac_f32 v13, 0x32a5705f, v7 :: v_dual_sub_f32 v12, v16, v17
	v_cmp_ngt_f32_e32 vcc_lo, 0xc2ce8ed0, v6
	v_ldexp_f32 v2, v2, v5
	s_delay_alu instid0(VALU_DEP_3) | instskip(NEXT) | instid1(VALU_DEP_2)
	v_add_f32_e32 v12, v12, v13
	v_cndmask_b32_e32 v2, 0, v2, vcc_lo
	v_cmp_nlt_f32_e32 vcc_lo, 0x42b17218, v6
	s_delay_alu instid0(TRANS32_DEP_1) | instskip(NEXT) | instid1(VALU_DEP_4)
	v_ldexp_f32 v1, v3, v4
	v_exp_f32_e32 v5, v12
	v_cvt_i32_f32_e32 v3, v17
	v_cndmask_b32_e32 v2, 0x7f800000, v2, vcc_lo
	v_cmp_ngt_f32_e32 vcc_lo, 0xc2ce8ed0, v11
	s_delay_alu instid0(VALU_DEP_2)
	v_dual_add_f32 v0, v0, v2 :: v_dual_cndmask_b32 v1, 0, v1
	v_cmp_nlt_f32_e32 vcc_lo, 0x42b17218, v11
	s_waitcnt_depctr 0xfff
	v_ldexp_f32 v3, v5, v3
	v_cndmask_b32_e32 v1, 0x7f800000, v1, vcc_lo
	v_cmp_ngt_f32_e32 vcc_lo, 0xc2ce8ed0, v7
	s_delay_alu instid0(VALU_DEP_2) | instskip(NEXT) | instid1(VALU_DEP_4)
	v_add_f32_e32 v0, v0, v1
	v_cndmask_b32_e32 v2, 0, v3, vcc_lo
	v_cmp_nlt_f32_e32 vcc_lo, 0x42b17218, v7
	s_delay_alu instid0(VALU_DEP_2) | instskip(SKIP_1) | instid1(VALU_DEP_2)
	v_cndmask_b32_e32 v1, 0x7f800000, v2, vcc_lo
	v_cmp_eq_u32_e32 vcc_lo, 0, v9
	v_add_f32_e32 v0, v0, v1
	s_delay_alu instid0(VALU_DEP_1) | instskip(NEXT) | instid1(VALU_DEP_1)
	v_mov_b32_dpp v1, v0 quad_perm:[1,0,3,2] row_mask:0xf bank_mask:0xf
	v_add_f32_e32 v0, v0, v1
	s_delay_alu instid0(VALU_DEP_1) | instskip(NEXT) | instid1(VALU_DEP_1)
	v_mov_b32_dpp v1, v0 quad_perm:[2,3,0,1] row_mask:0xf bank_mask:0xf
	v_add_f32_e32 v0, v0, v1
	s_delay_alu instid0(VALU_DEP_1) | instskip(NEXT) | instid1(VALU_DEP_1)
	v_mov_b32_dpp v1, v0 row_half_mirror row_mask:0xf bank_mask:0xf
	v_add_f32_e32 v0, v0, v1
	s_delay_alu instid0(VALU_DEP_1)
	v_mov_b32_dpp v1, v0 row_mirror row_mask:0xf bank_mask:0xf
	s_and_b32 exec_lo, exec_lo, vcc_lo
	s_cbranch_execz .LBB193_23
; %bb.19:
	s_delay_alu instid0(VALU_DEP_1) | instskip(NEXT) | instid1(VALU_DEP_1)
	v_add_f32_e32 v0, v0, v1
	v_add_f32_e32 v0, v10, v0
	s_delay_alu instid0(VALU_DEP_1)
	v_cmp_neq_f32_e32 vcc_lo, 0, v0
	s_and_b32 exec_lo, exec_lo, vcc_lo
	s_cbranch_execz .LBB193_23
; %bb.20:
	s_and_not1_b32 vcc_lo, exec_lo, s3
	s_cbranch_vccnz .LBB193_23
; %bb.21:
	v_div_scale_f32 v2, null, v0, v0, 1.0
	v_div_scale_f32 v4, vcc_lo, 1.0, v0, 1.0
	s_delay_alu instid0(VALU_DEP_2) | instskip(SKIP_2) | instid1(VALU_DEP_1)
	v_rcp_f32_e32 v3, v2
	s_waitcnt_depctr 0xfff
	v_fma_f32 v1, -v2, v3, 1.0
	v_fmac_f32_e32 v3, v1, v3
	v_mul_lo_u32 v1, v8, s7
	s_delay_alu instid0(VALU_DEP_2) | instskip(NEXT) | instid1(VALU_DEP_1)
	v_mul_f32_e32 v5, v4, v3
	v_fma_f32 v6, -v2, v5, v4
	s_delay_alu instid0(VALU_DEP_1) | instskip(NEXT) | instid1(VALU_DEP_1)
	v_fmac_f32_e32 v5, v6, v3
	v_fma_f32 v4, -v2, v5, v4
	v_ashrrev_i32_e32 v2, 31, v1
	s_delay_alu instid0(VALU_DEP_2) | instskip(NEXT) | instid1(VALU_DEP_2)
	v_div_fmas_f32 v5, v4, v3, v5
	v_lshlrev_b64 v[3:4], 2, v[1:2]
	s_delay_alu instid0(VALU_DEP_2) | instskip(NEXT) | instid1(VALU_DEP_2)
	v_div_fixup_f32 v2, v5, v0, 1.0
	v_add_co_u32 v0, vcc_lo, s12, v3
	s_delay_alu instid0(VALU_DEP_3)
	v_add_co_ci_u32_e32 v1, vcc_lo, s13, v4, vcc_lo
.LBB193_22:                             ; =>This Inner Loop Header: Depth=1
	global_load_b32 v3, v[0:1], off
	s_add_i32 s4, s4, -1
	s_delay_alu instid0(SALU_CYCLE_1)
	s_cmp_lg_u32 s4, 0
	s_waitcnt vmcnt(0)
	v_mul_f32_e32 v3, v2, v3
	global_store_b32 v[0:1], v3, off
	v_add_co_u32 v0, vcc_lo, v0, 4
	v_add_co_ci_u32_e32 v1, vcc_lo, 0, v1, vcc_lo
	s_cbranch_scc1 .LBB193_22
.LBB193_23:
	s_nop 0
	s_sendmsg sendmsg(MSG_DEALLOC_VGPRS)
	s_endpgm
	.section	.rodata,"a",@progbits
	.p2align	6, 0x0
	.amdhsa_kernel _ZN4vllm3moe17topkGatingSoftmaxIDF16_Li16ELi256ELi8ELi32ELb0ELi4ELNS0_23SharedExpertScoringFuncE1EEEvPKT_PKbPfiPiS9_iiiiii
		.amdhsa_group_segment_fixed_size 0
		.amdhsa_private_segment_fixed_size 0
		.amdhsa_kernarg_size 72
		.amdhsa_user_sgpr_count 15
		.amdhsa_user_sgpr_dispatch_ptr 0
		.amdhsa_user_sgpr_queue_ptr 0
		.amdhsa_user_sgpr_kernarg_segment_ptr 1
		.amdhsa_user_sgpr_dispatch_id 0
		.amdhsa_user_sgpr_private_segment_size 0
		.amdhsa_wavefront_size32 1
		.amdhsa_uses_dynamic_stack 0
		.amdhsa_enable_private_segment 0
		.amdhsa_system_sgpr_workgroup_id_x 1
		.amdhsa_system_sgpr_workgroup_id_y 0
		.amdhsa_system_sgpr_workgroup_id_z 0
		.amdhsa_system_sgpr_workgroup_info 0
		.amdhsa_system_vgpr_workitem_id 1
		.amdhsa_next_free_vgpr 53
		.amdhsa_next_free_sgpr 19
		.amdhsa_reserve_vcc 1
		.amdhsa_float_round_mode_32 0
		.amdhsa_float_round_mode_16_64 0
		.amdhsa_float_denorm_mode_32 3
		.amdhsa_float_denorm_mode_16_64 3
		.amdhsa_dx10_clamp 1
		.amdhsa_ieee_mode 1
		.amdhsa_fp16_overflow 0
		.amdhsa_workgroup_processor_mode 1
		.amdhsa_memory_ordered 1
		.amdhsa_forward_progress 0
		.amdhsa_shared_vgpr_count 0
		.amdhsa_exception_fp_ieee_invalid_op 0
		.amdhsa_exception_fp_denorm_src 0
		.amdhsa_exception_fp_ieee_div_zero 0
		.amdhsa_exception_fp_ieee_overflow 0
		.amdhsa_exception_fp_ieee_underflow 0
		.amdhsa_exception_fp_ieee_inexact 0
		.amdhsa_exception_int_div_zero 0
	.end_amdhsa_kernel
	.section	.text._ZN4vllm3moe17topkGatingSoftmaxIDF16_Li16ELi256ELi8ELi32ELb0ELi4ELNS0_23SharedExpertScoringFuncE1EEEvPKT_PKbPfiPiS9_iiiiii,"axG",@progbits,_ZN4vllm3moe17topkGatingSoftmaxIDF16_Li16ELi256ELi8ELi32ELb0ELi4ELNS0_23SharedExpertScoringFuncE1EEEvPKT_PKbPfiPiS9_iiiiii,comdat
.Lfunc_end193:
	.size	_ZN4vllm3moe17topkGatingSoftmaxIDF16_Li16ELi256ELi8ELi32ELb0ELi4ELNS0_23SharedExpertScoringFuncE1EEEvPKT_PKbPfiPiS9_iiiiii, .Lfunc_end193-_ZN4vllm3moe17topkGatingSoftmaxIDF16_Li16ELi256ELi8ELi32ELb0ELi4ELNS0_23SharedExpertScoringFuncE1EEEvPKT_PKbPfiPiS9_iiiiii
                                        ; -- End function
	.section	.AMDGPU.csdata,"",@progbits
; Kernel info:
; codeLenInByte = 5688
; NumSgprs: 21
; NumVgprs: 53
; ScratchSize: 0
; MemoryBound: 0
; FloatMode: 240
; IeeeMode: 1
; LDSByteSize: 0 bytes/workgroup (compile time only)
; SGPRBlocks: 2
; VGPRBlocks: 6
; NumSGPRsForWavesPerEU: 21
; NumVGPRsForWavesPerEU: 53
; Occupancy: 16
; WaveLimiterHint : 0
; COMPUTE_PGM_RSRC2:SCRATCH_EN: 0
; COMPUTE_PGM_RSRC2:USER_SGPR: 15
; COMPUTE_PGM_RSRC2:TRAP_HANDLER: 0
; COMPUTE_PGM_RSRC2:TGID_X_EN: 1
; COMPUTE_PGM_RSRC2:TGID_Y_EN: 0
; COMPUTE_PGM_RSRC2:TGID_Z_EN: 0
; COMPUTE_PGM_RSRC2:TIDIG_COMP_CNT: 1
	.section	.text._ZN4vllm3moe17topkGatingSoftmaxIDF16_Li16ELi256ELi8ELi32ELb1ELi8ELNS0_23SharedExpertScoringFuncE1EEEvPKT_PKbPfiPiS9_iiiiii,"axG",@progbits,_ZN4vllm3moe17topkGatingSoftmaxIDF16_Li16ELi256ELi8ELi32ELb1ELi8ELNS0_23SharedExpertScoringFuncE1EEEvPKT_PKbPfiPiS9_iiiiii,comdat
	.protected	_ZN4vllm3moe17topkGatingSoftmaxIDF16_Li16ELi256ELi8ELi32ELb1ELi8ELNS0_23SharedExpertScoringFuncE1EEEvPKT_PKbPfiPiS9_iiiiii ; -- Begin function _ZN4vllm3moe17topkGatingSoftmaxIDF16_Li16ELi256ELi8ELi32ELb1ELi8ELNS0_23SharedExpertScoringFuncE1EEEvPKT_PKbPfiPiS9_iiiiii
	.globl	_ZN4vllm3moe17topkGatingSoftmaxIDF16_Li16ELi256ELi8ELi32ELb1ELi8ELNS0_23SharedExpertScoringFuncE1EEEvPKT_PKbPfiPiS9_iiiiii
	.p2align	8
	.type	_ZN4vllm3moe17topkGatingSoftmaxIDF16_Li16ELi256ELi8ELi32ELb1ELi8ELNS0_23SharedExpertScoringFuncE1EEEvPKT_PKbPfiPiS9_iiiiii,@function
_ZN4vllm3moe17topkGatingSoftmaxIDF16_Li16ELi256ELi8ELi32ELb1ELi8ELNS0_23SharedExpertScoringFuncE1EEEvPKT_PKbPfiPiS9_iiiiii: ; @_ZN4vllm3moe17topkGatingSoftmaxIDF16_Li16ELi256ELi8ELi32ELb1ELi8ELNS0_23SharedExpertScoringFuncE1EEEvPKT_PKbPfiPiS9_iiiiii
; %bb.0:
	s_load_b32 s16, s[0:1], 0x18
	v_bfe_u32 v1, v0, 10, 10
	v_and_b32_e32 v0, 0x3ff, v0
	s_lshl_b32 s18, s15, 4
	s_mov_b32 s2, exec_lo
	s_delay_alu instid0(VALU_DEP_2) | instskip(NEXT) | instid1(VALU_DEP_2)
	v_lshlrev_b32_e32 v42, 1, v1
	v_lshrrev_b32_e32 v43, 4, v0
	s_delay_alu instid0(VALU_DEP_1) | instskip(SKIP_1) | instid1(VALU_DEP_1)
	v_add3_u32 v8, s18, v42, v43
	s_waitcnt lgkmcnt(0)
	v_cmpx_gt_i32_e64 s16, v8
	s_cbranch_execz .LBB194_22
; %bb.1:
	s_clause 0x1
	s_load_b128 s[4:7], s[0:1], 0x0
	s_load_b64 s[12:13], s[0:1], 0x10
	s_waitcnt lgkmcnt(0)
	s_cmp_eq_u64 s[6:7], 0
	s_cbranch_scc1 .LBB194_3
; %bb.2:
	v_ashrrev_i32_e32 v2, 31, v8
	v_add_co_u32 v1, vcc_lo, s6, v8
	s_delay_alu instid0(VALU_DEP_2) | instskip(SKIP_3) | instid1(VALU_DEP_1)
	v_add_co_ci_u32_e32 v2, vcc_lo, s7, v2, vcc_lo
	global_load_u8 v1, v[1:2], off
	s_waitcnt vmcnt(0)
	v_and_b32_e32 v1, 1, v1
	v_cmp_eq_u32_e32 vcc_lo, 1, v1
	s_xor_b32 s2, vcc_lo, -1
	s_delay_alu instid0(SALU_CYCLE_1)
	s_or_not1_b32 s17, s2, exec_lo
	s_branch .LBB194_4
.LBB194_3:
	s_mov_b32 s17, -1
.LBB194_4:
	s_load_b64 s[14:15], s[0:1], 0x40
	v_and_b32_e32 v9, 15, v0
	s_mov_b32 s2, exec_lo
	s_delay_alu instid0(VALU_DEP_1) | instskip(SKIP_2) | instid1(VALU_DEP_1)
	v_dual_mov_b32 v11, 0 :: v_dual_lshlrev_b32 v10, 4, v9
	s_waitcnt lgkmcnt(0)
	v_mul_lo_u32 v1, v8, s15
	v_ashrrev_i32_e32 v2, 31, v1
	s_delay_alu instid0(VALU_DEP_1) | instskip(SKIP_1) | instid1(VALU_DEP_2)
	v_lshlrev_b64 v[0:1], 1, v[1:2]
	v_lshlrev_b32_e32 v2, 5, v9
	v_add_co_u32 v12, vcc_lo, s4, v0
	s_delay_alu instid0(VALU_DEP_3) | instskip(SKIP_1) | instid1(VALU_DEP_2)
	v_add_co_ci_u32_e32 v13, vcc_lo, s5, v1, vcc_lo
	s_load_b128 s[4:7], s[0:1], 0x30
	v_add_co_u32 v4, vcc_lo, v12, v2
	s_delay_alu instid0(VALU_DEP_2)
	v_add_co_ci_u32_e32 v5, vcc_lo, 0, v13, vcc_lo
	s_clause 0x1
	global_load_b128 v[0:3], v[4:5], off offset:16
	global_load_b128 v[4:7], v[4:5], off
	v_cmpx_gt_u32_e32 8, v9
	s_cbranch_execz .LBB194_6
; %bb.5:
	v_lshlrev_b32_e32 v14, 1, v9
	s_mov_b32 s3, 0x3fb8aa3b
	s_delay_alu instid0(VALU_DEP_1) | instskip(SKIP_4) | instid1(VALU_DEP_1)
	v_add_co_u32 v12, vcc_lo, v12, v14
	v_add_co_ci_u32_e32 v13, vcc_lo, 0, v13, vcc_lo
	global_load_u16 v12, v[12:13], off offset:512
	s_waitcnt vmcnt(0)
	v_cvt_f32_f16_e64 v13, -v12
	v_mul_f32_e32 v14, 0x3fb8aa3b, v13
	v_cmp_ngt_f32_e32 vcc_lo, 0xc2ce8ed0, v13
	s_delay_alu instid0(VALU_DEP_2)
	v_fma_mix_f32 v15, -v12, s3, -v14 op_sel_hi:[1,0,0]
	v_rndne_f32_e32 v16, v14
	s_mov_b32 s3, 0x32a5705f
	s_delay_alu instid0(VALU_DEP_2) | instid1(SALU_CYCLE_1)
	v_fma_mix_f32 v12, -v12, s3, v15 op_sel_hi:[1,0,0]
	s_delay_alu instid0(VALU_DEP_2) | instskip(NEXT) | instid1(VALU_DEP_1)
	v_sub_f32_e32 v14, v14, v16
	v_add_f32_e32 v12, v14, v12
	v_cvt_i32_f32_e32 v14, v16
	s_delay_alu instid0(VALU_DEP_2) | instskip(SKIP_2) | instid1(VALU_DEP_1)
	v_exp_f32_e32 v12, v12
	s_waitcnt_depctr 0xfff
	v_ldexp_f32 v12, v12, v14
	v_cndmask_b32_e32 v12, 0, v12, vcc_lo
	v_cmp_nlt_f32_e32 vcc_lo, 0x42b17218, v13
	s_delay_alu instid0(VALU_DEP_2) | instskip(NEXT) | instid1(VALU_DEP_1)
	v_cndmask_b32_e32 v12, 0x7f800000, v12, vcc_lo
	v_add_f32_e32 v14, 1.0, v12
	s_delay_alu instid0(VALU_DEP_1) | instskip(SKIP_1) | instid1(VALU_DEP_2)
	v_div_scale_f32 v13, null, v14, v14, 1.0
	v_div_scale_f32 v16, vcc_lo, 1.0, v14, 1.0
	v_rcp_f32_e32 v15, v13
	s_waitcnt_depctr 0xfff
	v_fma_f32 v12, -v13, v15, 1.0
	s_delay_alu instid0(VALU_DEP_1) | instskip(SKIP_2) | instid1(VALU_DEP_2)
	v_fmac_f32_e32 v15, v12, v15
	s_waitcnt lgkmcnt(0)
	v_mul_lo_u32 v12, v8, s7
	v_mul_f32_e32 v17, v16, v15
	s_delay_alu instid0(VALU_DEP_2) | instskip(NEXT) | instid1(VALU_DEP_2)
	v_add3_u32 v12, v12, s4, v9
	v_fma_f32 v18, -v13, v17, v16
	s_delay_alu instid0(VALU_DEP_1) | instskip(NEXT) | instid1(VALU_DEP_1)
	v_fmac_f32_e32 v17, v18, v15
	v_fma_f32 v16, -v13, v17, v16
	s_delay_alu instid0(VALU_DEP_4) | instskip(NEXT) | instid1(VALU_DEP_2)
	v_ashrrev_i32_e32 v13, 31, v12
	v_div_fmas_f32 v15, v16, v15, v17
	s_delay_alu instid0(VALU_DEP_2) | instskip(NEXT) | instid1(VALU_DEP_2)
	v_lshlrev_b64 v[12:13], 2, v[12:13]
	v_div_fixup_f32 v14, v15, v14, 1.0
	s_delay_alu instid0(VALU_DEP_2) | instskip(NEXT) | instid1(VALU_DEP_3)
	v_add_co_u32 v12, vcc_lo, s12, v12
	v_add_co_ci_u32_e32 v13, vcc_lo, s13, v13, vcc_lo
	global_store_b32 v[12:13], v14, off
.LBB194_6:
	s_or_b32 exec_lo, exec_lo, s2
	s_waitcnt vmcnt(0)
	v_lshrrev_b32_e32 v15, 16, v4
	v_cvt_f32_f16_e32 v12, v4
	v_or_b32_e32 v13, 1, v10
	v_or_b32_e32 v16, 2, v10
	v_cvt_f32_f16_e32 v19, v6
	v_cvt_f32_f16_e32 v14, v15
	v_cmp_lt_f16_e32 vcc_lo, v4, v15
	v_cvt_f32_f16_e32 v15, v5
	v_lshrrev_b32_e32 v5, 16, v5
	v_lshrrev_b32_e32 v6, 16, v6
	v_or_b32_e32 v20, 4, v10
	v_cndmask_b32_e32 v4, v10, v13, vcc_lo
	v_cvt_f32_f16_e32 v23, v7
	v_cvt_f32_f16_e32 v17, v5
	v_cndmask_b32_e32 v18, v12, v14, vcc_lo
	v_cvt_f32_f16_e32 v21, v6
	v_or_b32_e32 v22, 5, v10
	v_lshrrev_b32_e32 v6, 16, v7
	v_or_b32_e32 v7, 6, v10
	v_cmp_lt_f32_e32 vcc_lo, v18, v15
	v_cvt_f32_f16_e32 v30, v1
	v_lshrrev_b32_e32 v1, 16, v1
	v_cvt_f32_f16_e32 v24, v6
	v_or_b32_e32 v25, 7, v10
	v_dual_cndmask_b32 v4, v4, v16 :: v_dual_cndmask_b32 v5, v18, v15
	v_or_b32_e32 v18, 3, v10
	v_cvt_f32_f16_e32 v32, v1
	v_cvt_f32_f16_e32 v26, v0
	v_lshrrev_b32_e32 v0, 16, v0
	v_cmp_lt_f32_e32 vcc_lo, v5, v17
	v_or_b32_e32 v27, 8, v10
	v_cvt_f32_f16_e32 v34, v2
	v_lshrrev_b32_e32 v2, 16, v2
	v_cvt_f32_f16_e32 v28, v0
	v_dual_cndmask_b32 v5, v5, v17 :: v_dual_cndmask_b32 v4, v4, v18
	v_or_b32_e32 v29, 9, v10
	s_delay_alu instid0(VALU_DEP_4) | instskip(SKIP_1) | instid1(VALU_DEP_4)
	v_cvt_f32_f16_e32 v36, v2
	v_cvt_f32_f16_e32 v38, v3
	v_cmp_lt_f32_e32 vcc_lo, v5, v19
	v_or_b32_e32 v31, 10, v10
	v_lshrrev_b32_e32 v2, 16, v3
	v_or_b32_e32 v33, 11, v10
	v_or_b32_e32 v35, 12, v10
	v_dual_cndmask_b32 v5, v5, v19 :: v_dual_cndmask_b32 v4, v4, v20
	s_delay_alu instid0(VALU_DEP_4) | instskip(SKIP_2) | instid1(VALU_DEP_4)
	v_cvt_f32_f16_e32 v40, v2
	v_or_b32_e32 v37, 13, v10
	v_or_b32_e32 v39, 14, v10
	v_cmp_lt_f32_e32 vcc_lo, v5, v21
	v_or_b32_e32 v41, 15, v10
	v_dual_cndmask_b32 v5, v5, v21 :: v_dual_cndmask_b32 v4, v4, v22
	s_delay_alu instid0(VALU_DEP_1) | instskip(SKIP_1) | instid1(VALU_DEP_3)
	v_cmp_lt_f32_e32 vcc_lo, v5, v23
	v_cndmask_b32_e32 v5, v5, v23, vcc_lo
	v_cndmask_b32_e32 v4, v4, v7, vcc_lo
	s_delay_alu instid0(VALU_DEP_2) | instskip(NEXT) | instid1(VALU_DEP_2)
	v_cmp_lt_f32_e32 vcc_lo, v5, v24
	v_dual_cndmask_b32 v5, v5, v24 :: v_dual_cndmask_b32 v4, v4, v25
	s_delay_alu instid0(VALU_DEP_1) | instskip(NEXT) | instid1(VALU_DEP_2)
	v_cmp_lt_f32_e32 vcc_lo, v5, v26
	v_cndmask_b32_e32 v0, v4, v27, vcc_lo
	v_cndmask_b32_e32 v4, v5, v26, vcc_lo
	s_delay_alu instid0(VALU_DEP_1) | instskip(SKIP_1) | instid1(VALU_DEP_4)
	v_cmp_lt_f32_e32 vcc_lo, v4, v28
	v_cndmask_b32_e32 v4, v4, v28, vcc_lo
	v_cndmask_b32_e32 v0, v0, v29, vcc_lo
	s_delay_alu instid0(VALU_DEP_2) | instskip(SKIP_1) | instid1(VALU_DEP_3)
	v_cmp_lt_f32_e32 vcc_lo, v4, v30
	v_cndmask_b32_e32 v1, v4, v30, vcc_lo
	v_cndmask_b32_e32 v0, v0, v31, vcc_lo
	s_delay_alu instid0(VALU_DEP_2) | instskip(NEXT) | instid1(VALU_DEP_2)
	v_cmp_lt_f32_e32 vcc_lo, v1, v32
	v_dual_cndmask_b32 v1, v1, v32 :: v_dual_cndmask_b32 v0, v0, v33
	s_delay_alu instid0(VALU_DEP_1) | instskip(NEXT) | instid1(VALU_DEP_2)
	v_cmp_lt_f32_e32 vcc_lo, v1, v34
	v_dual_cndmask_b32 v1, v1, v34 :: v_dual_cndmask_b32 v0, v0, v35
	s_delay_alu instid0(VALU_DEP_1) | instskip(NEXT) | instid1(VALU_DEP_2)
	;; [unrolled: 3-line block ×5, first 2 shown]
	v_mov_b32_dpp v2, v0 quad_perm:[1,0,3,2] row_mask:0xf bank_mask:0xf
	v_mov_b32_dpp v3, v1 quad_perm:[1,0,3,2] row_mask:0xf bank_mask:0xf
	s_delay_alu instid0(VALU_DEP_2) | instskip(NEXT) | instid1(VALU_DEP_2)
	v_cmp_lt_i32_e32 vcc_lo, v2, v0
	v_cmp_eq_f32_e64 s2, v1, v3
	v_cmp_lt_f32_e64 s3, v1, v3
	s_delay_alu instid0(VALU_DEP_2)
	s_and_b32 s2, s2, vcc_lo
	s_delay_alu instid0(VALU_DEP_1) | instid1(SALU_CYCLE_1)
	s_or_b32 vcc_lo, s3, s2
	v_dual_cndmask_b32 v1, v1, v3 :: v_dual_cndmask_b32 v0, v0, v2
	s_delay_alu instid0(VALU_DEP_1) | instskip(NEXT) | instid1(VALU_DEP_2)
	v_mov_b32_dpp v2, v1 quad_perm:[2,3,0,1] row_mask:0xf bank_mask:0xf
	v_mov_b32_dpp v3, v0 quad_perm:[2,3,0,1] row_mask:0xf bank_mask:0xf
	s_delay_alu instid0(VALU_DEP_2) | instskip(NEXT) | instid1(VALU_DEP_2)
	v_cmp_eq_f32_e32 vcc_lo, v1, v2
	v_cmp_lt_i32_e64 s2, v3, v0
	v_cmp_lt_f32_e64 s3, v1, v2
	s_delay_alu instid0(VALU_DEP_2)
	s_and_b32 s2, vcc_lo, s2
	s_delay_alu instid0(VALU_DEP_1) | instid1(SALU_CYCLE_1)
	s_or_b32 vcc_lo, s3, s2
	v_dual_cndmask_b32 v1, v1, v2 :: v_dual_cndmask_b32 v0, v0, v3
	s_delay_alu instid0(VALU_DEP_1) | instskip(NEXT) | instid1(VALU_DEP_2)
	v_mov_b32_dpp v2, v1 row_half_mirror row_mask:0xf bank_mask:0xf
	v_mov_b32_dpp v3, v0 row_half_mirror row_mask:0xf bank_mask:0xf
	s_delay_alu instid0(VALU_DEP_2) | instskip(NEXT) | instid1(VALU_DEP_2)
	v_cmp_eq_f32_e32 vcc_lo, v1, v2
	v_cmp_lt_i32_e64 s2, v3, v0
	v_cmp_lt_f32_e64 s3, v1, v2
	s_delay_alu instid0(VALU_DEP_2)
	s_and_b32 s2, vcc_lo, s2
	s_delay_alu instid0(VALU_DEP_1) | instid1(SALU_CYCLE_1)
	s_or_b32 vcc_lo, s3, s2
	s_waitcnt lgkmcnt(0)
	s_cmp_gt_i32 s4, 0
	v_cndmask_b32_e32 v2, v1, v2, vcc_lo
	v_cndmask_b32_e32 v0, v0, v3, vcc_lo
	v_cmp_eq_u32_e32 vcc_lo, 0, v9
	s_cselect_b32 s3, -1, 0
	s_cmp_lt_i32 s4, 1
	v_mov_b32_dpp v4, v2 row_mirror row_mask:0xf bank_mask:0xf
	v_mov_b32_dpp v6, v0 row_mirror row_mask:0xf bank_mask:0xf
	s_cbranch_scc1 .LBB194_18
; %bb.7:
	s_load_b128 s[8:11], s[0:1], 0x20
	s_delay_alu instid0(VALU_DEP_2) | instskip(NEXT) | instid1(VALU_DEP_2)
	v_cmp_eq_f32_e64 s0, v2, v4
	v_cmp_lt_i32_e64 s1, v6, v0
	v_cmp_lt_f32_e64 s2, v2, v4
	v_mul_lo_u32 v1, v8, s7
	v_mul_lo_u32 v3, v8, s14
	v_mul_lo_u32 v5, v8, s4
	s_and_b32 s0, s0, s1
	v_mov_b32_e32 v11, 0
	s_or_b32 s0, s2, s0
	s_delay_alu instid0(SALU_CYCLE_1)
	v_cndmask_b32_e64 v0, v0, v6, s0
	v_cndmask_b32_e64 v44, v2, v4, s0
	s_and_saveexec_b32 s2, vcc_lo
	s_cbranch_execz .LBB194_9
; %bb.8:
	s_delay_alu instid0(VALU_DEP_1)
	v_sub_f32_e32 v11, v44, v44
	v_cmp_le_i32_e64 s0, s5, v0
	v_cmp_gt_i32_e64 s1, s6, v0
	v_subrev_nc_u32_e32 v51, s5, v0
	v_ashrrev_i32_e32 v6, 31, v5
	v_mul_f32_e32 v2, 0x3fb8aa3b, v11
	s_delay_alu instid0(VALU_DEP_4) | instskip(NEXT) | instid1(SALU_CYCLE_1)
	s_and_b32 s0, s0, s1
	s_and_b32 s0, s17, s0
	s_delay_alu instid0(VALU_DEP_1) | instskip(SKIP_2) | instid1(VALU_DEP_3)
	v_rndne_f32_e32 v47, v2
	v_fma_f32 v4, 0x3fb8aa3b, v11, -v2
	v_lshlrev_b64 v[49:50], 2, v[5:6]
	v_sub_f32_e32 v2, v2, v47
	s_delay_alu instid0(VALU_DEP_3) | instskip(NEXT) | instid1(VALU_DEP_1)
	v_fmamk_f32 v4, v11, 0x32a5705f, v4
	v_add_f32_e32 v4, v2, v4
	v_ashrrev_i32_e32 v2, 31, v1
	s_delay_alu instid0(VALU_DEP_2) | instskip(NEXT) | instid1(VALU_DEP_1)
	v_exp_f32_e32 v52, v4
	v_lshlrev_b64 v[45:46], 2, v[1:2]
	v_ashrrev_i32_e32 v4, 31, v3
	v_cvt_i32_f32_e32 v2, v47
	s_delay_alu instid0(VALU_DEP_2) | instskip(SKIP_2) | instid1(VALU_DEP_1)
	v_lshlrev_b64 v[47:48], 2, v[3:4]
	v_cndmask_b32_e64 v4, 0x100, v51, s0
	v_add_co_u32 v45, s0, s12, v45
	v_add_co_ci_u32_e64 v46, s0, s13, v46, s0
	s_delay_alu instid0(TRANS32_DEP_1) | instskip(SKIP_1) | instid1(VALU_DEP_1)
	v_ldexp_f32 v2, v52, v2
	v_cmp_ngt_f32_e64 s0, 0xc2ce8ed0, v11
	v_cndmask_b32_e64 v2, 0, v2, s0
	s_waitcnt lgkmcnt(0)
	v_add_co_u32 v47, s0, s8, v47
	s_delay_alu instid0(VALU_DEP_1) | instskip(SKIP_1) | instid1(VALU_DEP_1)
	v_add_co_ci_u32_e64 v48, s0, s9, v48, s0
	v_cmp_nlt_f32_e64 s0, 0x42b17218, v11
	v_cndmask_b32_e64 v11, 0x7f800000, v2, s0
	v_add_co_u32 v49, s0, s10, v49
	s_delay_alu instid0(VALU_DEP_1)
	v_add_co_ci_u32_e64 v50, s0, s11, v50, s0
	global_store_b32 v[47:48], v4, off
	global_store_b32 v[45:46], v11, off
	;; [unrolled: 1-line block ×3, first 2 shown]
.LBB194_9:
	s_or_b32 exec_lo, exec_lo, s2
	v_ashrrev_i32_e32 v4, 31, v0
	s_mov_b32 s1, exec_lo
	s_delay_alu instid0(VALU_DEP_1) | instskip(NEXT) | instid1(VALU_DEP_1)
	v_lshrrev_b32_e32 v2, 28, v4
	v_add_nc_u32_e32 v2, v0, v2
	s_delay_alu instid0(VALU_DEP_1) | instskip(NEXT) | instid1(VALU_DEP_1)
	v_ashrrev_i32_e32 v2, 4, v2
	v_lshrrev_b32_e32 v6, 28, v2
	s_delay_alu instid0(VALU_DEP_1) | instskip(NEXT) | instid1(VALU_DEP_1)
	v_add_nc_u32_e32 v6, v2, v6
	v_and_b32_e32 v6, -16, v6
	s_delay_alu instid0(VALU_DEP_1) | instskip(NEXT) | instid1(VALU_DEP_1)
	v_sub_nc_u32_e32 v6, v2, v6
	v_cmpx_eq_u32_e64 v9, v6
	s_cbranch_execz .LBB194_11
; %bb.10:
	v_lshrrev_b32_e32 v4, 24, v4
	v_lshlrev_b32_e32 v2, 4, v2
	s_delay_alu instid0(VALU_DEP_2) | instskip(NEXT) | instid1(VALU_DEP_2)
	v_add_nc_u32_e32 v4, v0, v4
	v_sub_nc_u32_e32 v0, v0, v2
	s_delay_alu instid0(VALU_DEP_2) | instskip(NEXT) | instid1(VALU_DEP_1)
	v_ashrrev_i32_e32 v2, 8, v4
	v_lshl_add_u32 v0, v2, 4, v0
	s_delay_alu instid0(VALU_DEP_1) | instskip(NEXT) | instid1(VALU_DEP_1)
	v_cmp_ne_u32_e64 s0, 15, v0
	v_cndmask_b32_e64 v40, 0xff800000, v40, s0
	v_cmp_ne_u32_e64 s0, 14, v0
	s_delay_alu instid0(VALU_DEP_1) | instskip(SKIP_1) | instid1(VALU_DEP_1)
	v_cndmask_b32_e64 v38, 0xff800000, v38, s0
	v_cmp_ne_u32_e64 s0, 13, v0
	v_cndmask_b32_e64 v36, 0xff800000, v36, s0
	v_cmp_ne_u32_e64 s0, 12, v0
	s_delay_alu instid0(VALU_DEP_1) | instskip(SKIP_1) | instid1(VALU_DEP_1)
	v_cndmask_b32_e64 v34, 0xff800000, v34, s0
	;; [unrolled: 5-line block ×7, first 2 shown]
	v_cmp_ne_u32_e64 s0, 1, v0
	v_cndmask_b32_e64 v14, 0xff800000, v14, s0
	v_cmp_ne_u32_e64 s0, 0, v0
	s_delay_alu instid0(VALU_DEP_1)
	v_cndmask_b32_e64 v12, 0xff800000, v12, s0
.LBB194_11:
	s_or_b32 exec_lo, exec_lo, s1
	s_cmp_eq_u32 s4, 1
	s_cbranch_scc1 .LBB194_18
; %bb.12:
	s_add_i32 s18, s18, s16
	v_add_nc_u32_e32 v0, 1, v5
	v_add3_u32 v6, s18, v43, v42
	v_add_nc_u32_e32 v2, 1, v3
	v_add_nc_u32_e32 v4, 1, v1
	s_add_i32 s14, s4, -1
	s_branch .LBB194_14
.LBB194_13:                             ;   in Loop: Header=BB194_14 Depth=1
	s_or_b32 exec_lo, exec_lo, s1
	v_add_nc_u32_e32 v6, s16, v6
	v_add_nc_u32_e32 v0, 1, v0
	;; [unrolled: 1-line block ×4, first 2 shown]
	s_add_i32 s14, s14, -1
	s_delay_alu instid0(SALU_CYCLE_1)
	s_cmp_eq_u32 s14, 0
	s_cbranch_scc1 .LBB194_18
.LBB194_14:                             ; =>This Inner Loop Header: Depth=1
	v_cmp_gt_f32_e64 s0, v14, v12
	s_delay_alu instid0(VALU_DEP_1) | instskip(SKIP_1) | instid1(VALU_DEP_2)
	v_cndmask_b32_e64 v3, v12, v14, s0
	v_cndmask_b32_e64 v1, v10, v13, s0
	v_cmp_gt_f32_e64 s0, v15, v3
	s_delay_alu instid0(VALU_DEP_1) | instskip(NEXT) | instid1(VALU_DEP_3)
	v_cndmask_b32_e64 v3, v3, v15, s0
	v_cndmask_b32_e64 v1, v1, v16, s0
	s_delay_alu instid0(VALU_DEP_2) | instskip(NEXT) | instid1(VALU_DEP_1)
	v_cmp_gt_f32_e64 s0, v17, v3
	v_cndmask_b32_e64 v3, v3, v17, s0
	s_delay_alu instid0(VALU_DEP_3) | instskip(NEXT) | instid1(VALU_DEP_2)
	v_cndmask_b32_e64 v1, v1, v18, s0
	v_cmp_gt_f32_e64 s0, v19, v3
	s_delay_alu instid0(VALU_DEP_1) | instskip(NEXT) | instid1(VALU_DEP_3)
	v_cndmask_b32_e64 v3, v3, v19, s0
	v_cndmask_b32_e64 v1, v1, v20, s0
	s_delay_alu instid0(VALU_DEP_2) | instskip(NEXT) | instid1(VALU_DEP_1)
	v_cmp_gt_f32_e64 s0, v21, v3
	v_cndmask_b32_e64 v3, v3, v21, s0
	s_delay_alu instid0(VALU_DEP_3) | instskip(NEXT) | instid1(VALU_DEP_2)
	v_cndmask_b32_e64 v1, v1, v22, s0
	v_cmp_gt_f32_e64 s0, v23, v3
	s_delay_alu instid0(VALU_DEP_1) | instskip(NEXT) | instid1(VALU_DEP_3)
	v_cndmask_b32_e64 v3, v3, v23, s0
	v_cndmask_b32_e64 v1, v1, v7, s0
	s_delay_alu instid0(VALU_DEP_2) | instskip(NEXT) | instid1(VALU_DEP_1)
	v_cmp_gt_f32_e64 s0, v24, v3
	v_cndmask_b32_e64 v3, v3, v24, s0
	s_delay_alu instid0(VALU_DEP_3) | instskip(NEXT) | instid1(VALU_DEP_2)
	v_cndmask_b32_e64 v1, v1, v25, s0
	v_cmp_gt_f32_e64 s0, v26, v3
	s_delay_alu instid0(VALU_DEP_1) | instskip(NEXT) | instid1(VALU_DEP_3)
	v_cndmask_b32_e64 v3, v3, v26, s0
	v_cndmask_b32_e64 v1, v1, v27, s0
	s_delay_alu instid0(VALU_DEP_2) | instskip(NEXT) | instid1(VALU_DEP_1)
	v_cmp_gt_f32_e64 s0, v28, v3
	v_cndmask_b32_e64 v3, v3, v28, s0
	s_delay_alu instid0(VALU_DEP_3) | instskip(NEXT) | instid1(VALU_DEP_2)
	v_cndmask_b32_e64 v1, v1, v29, s0
	v_cmp_gt_f32_e64 s0, v30, v3
	s_delay_alu instid0(VALU_DEP_1) | instskip(NEXT) | instid1(VALU_DEP_3)
	v_cndmask_b32_e64 v3, v3, v30, s0
	v_cndmask_b32_e64 v1, v1, v31, s0
	s_delay_alu instid0(VALU_DEP_2) | instskip(NEXT) | instid1(VALU_DEP_1)
	v_cmp_gt_f32_e64 s0, v32, v3
	v_cndmask_b32_e64 v3, v3, v32, s0
	s_delay_alu instid0(VALU_DEP_3) | instskip(NEXT) | instid1(VALU_DEP_2)
	v_cndmask_b32_e64 v1, v1, v33, s0
	v_cmp_gt_f32_e64 s0, v34, v3
	s_delay_alu instid0(VALU_DEP_1) | instskip(NEXT) | instid1(VALU_DEP_3)
	v_cndmask_b32_e64 v3, v3, v34, s0
	v_cndmask_b32_e64 v1, v1, v35, s0
	s_delay_alu instid0(VALU_DEP_2) | instskip(NEXT) | instid1(VALU_DEP_1)
	v_cmp_gt_f32_e64 s0, v36, v3
	v_cndmask_b32_e64 v3, v3, v36, s0
	s_delay_alu instid0(VALU_DEP_3) | instskip(NEXT) | instid1(VALU_DEP_2)
	v_cndmask_b32_e64 v1, v1, v37, s0
	v_cmp_gt_f32_e64 s0, v38, v3
	s_delay_alu instid0(VALU_DEP_1) | instskip(NEXT) | instid1(VALU_DEP_3)
	v_cndmask_b32_e64 v3, v3, v38, s0
	v_cndmask_b32_e64 v1, v1, v39, s0
	s_delay_alu instid0(VALU_DEP_2) | instskip(NEXT) | instid1(VALU_DEP_1)
	v_cmp_gt_f32_e64 s0, v40, v3
	v_cndmask_b32_e64 v1, v1, v41, s0
	v_cndmask_b32_e64 v3, v3, v40, s0
	s_delay_alu instid0(VALU_DEP_2) | instskip(NEXT) | instid1(VALU_DEP_2)
	v_mov_b32_dpp v5, v1 quad_perm:[1,0,3,2] row_mask:0xf bank_mask:0xf
	v_mov_b32_dpp v42, v3 quad_perm:[1,0,3,2] row_mask:0xf bank_mask:0xf
	s_delay_alu instid0(VALU_DEP_2) | instskip(NEXT) | instid1(VALU_DEP_2)
	v_cmp_lt_i32_e64 s0, v5, v1
	v_cmp_eq_f32_e64 s1, v3, v42
	v_cmp_lt_f32_e64 s2, v3, v42
	s_delay_alu instid0(VALU_DEP_2)
	s_and_b32 s0, s1, s0
	s_delay_alu instid0(VALU_DEP_1) | instid1(SALU_CYCLE_1)
	s_or_b32 s0, s2, s0
	s_delay_alu instid0(SALU_CYCLE_1) | instskip(SKIP_1) | instid1(VALU_DEP_2)
	v_cndmask_b32_e64 v3, v3, v42, s0
	v_cndmask_b32_e64 v1, v1, v5, s0
	v_mov_b32_dpp v5, v3 quad_perm:[2,3,0,1] row_mask:0xf bank_mask:0xf
	s_delay_alu instid0(VALU_DEP_2) | instskip(NEXT) | instid1(VALU_DEP_2)
	v_mov_b32_dpp v42, v1 quad_perm:[2,3,0,1] row_mask:0xf bank_mask:0xf
	v_cmp_eq_f32_e64 s0, v3, v5
	s_delay_alu instid0(VALU_DEP_2) | instskip(SKIP_1) | instid1(VALU_DEP_2)
	v_cmp_lt_i32_e64 s1, v42, v1
	v_cmp_lt_f32_e64 s2, v3, v5
	s_and_b32 s0, s0, s1
	s_delay_alu instid0(VALU_DEP_1) | instid1(SALU_CYCLE_1)
	s_or_b32 s0, s2, s0
	s_delay_alu instid0(SALU_CYCLE_1) | instskip(SKIP_1) | instid1(VALU_DEP_2)
	v_cndmask_b32_e64 v3, v3, v5, s0
	v_cndmask_b32_e64 v5, v1, v42, s0
	v_mov_b32_dpp v1, v3 row_half_mirror row_mask:0xf bank_mask:0xf
	s_delay_alu instid0(VALU_DEP_2) | instskip(NEXT) | instid1(VALU_DEP_2)
	v_mov_b32_dpp v42, v5 row_half_mirror row_mask:0xf bank_mask:0xf
	v_cmp_eq_f32_e64 s0, v3, v1
	s_delay_alu instid0(VALU_DEP_2) | instskip(SKIP_1) | instid1(VALU_DEP_2)
	v_cmp_lt_i32_e64 s1, v42, v5
	v_cmp_lt_f32_e64 s2, v3, v1
	s_and_b32 s0, s0, s1
	s_delay_alu instid0(VALU_DEP_1) | instid1(SALU_CYCLE_1)
	s_or_b32 s0, s2, s0
	s_delay_alu instid0(SALU_CYCLE_1) | instskip(SKIP_1) | instid1(VALU_DEP_2)
	v_cndmask_b32_e64 v1, v3, v1, s0
	v_cndmask_b32_e64 v5, v5, v42, s0
	v_mov_b32_dpp v3, v1 row_mirror row_mask:0xf bank_mask:0xf
	s_delay_alu instid0(VALU_DEP_2) | instskip(NEXT) | instid1(VALU_DEP_2)
	v_mov_b32_dpp v42, v5 row_mirror row_mask:0xf bank_mask:0xf
	v_cmp_eq_f32_e64 s0, v1, v3
	s_delay_alu instid0(VALU_DEP_2) | instskip(SKIP_1) | instid1(VALU_DEP_2)
	v_cmp_lt_i32_e64 s1, v42, v5
	v_cmp_lt_f32_e64 s2, v1, v3
	s_and_b32 s0, s0, s1
	s_delay_alu instid0(VALU_DEP_1) | instid1(SALU_CYCLE_1)
	s_or_b32 s0, s2, s0
	s_delay_alu instid0(SALU_CYCLE_1)
	v_cndmask_b32_e64 v42, v5, v42, s0
	s_and_saveexec_b32 s2, vcc_lo
	s_cbranch_execz .LBB194_16
; %bb.15:                               ;   in Loop: Header=BB194_14 Depth=1
	v_cndmask_b32_e64 v1, v1, v3, s0
	s_delay_alu instid0(VALU_DEP_2) | instskip(SKIP_4) | instid1(VALU_DEP_4)
	v_cmp_le_i32_e64 s0, s5, v42
	v_cmp_gt_i32_e64 s1, s6, v42
	v_ashrrev_i32_e32 v5, 31, v4
	v_subrev_nc_u32_e32 v51, s5, v42
	v_sub_f32_e32 v43, v1, v44
	s_and_b32 s0, s0, s1
	s_delay_alu instid0(SALU_CYCLE_1) | instskip(NEXT) | instid1(VALU_DEP_1)
	s_and_b32 s0, s17, s0
	v_mul_f32_e32 v1, 0x3fb8aa3b, v43
	s_delay_alu instid0(VALU_DEP_1) | instskip(SKIP_1) | instid1(VALU_DEP_2)
	v_fma_f32 v3, 0x3fb8aa3b, v43, -v1
	v_rndne_f32_e32 v45, v1
	v_fmac_f32_e32 v3, 0x32a5705f, v43
	s_delay_alu instid0(VALU_DEP_2) | instskip(SKIP_2) | instid1(VALU_DEP_3)
	v_sub_f32_e32 v1, v1, v45
	v_cvt_i32_f32_e32 v50, v45
	v_lshlrev_b64 v[45:46], 2, v[4:5]
	v_add_f32_e32 v1, v1, v3
	v_ashrrev_i32_e32 v3, 31, v2
	s_delay_alu instid0(VALU_DEP_2) | instskip(SKIP_1) | instid1(VALU_DEP_2)
	v_exp_f32_e32 v49, v1
	v_ashrrev_i32_e32 v1, 31, v0
	v_lshlrev_b64 v[47:48], 2, v[2:3]
	s_waitcnt_depctr 0xfff
	v_ldexp_f32 v3, v49, v50
	v_lshlrev_b64 v[49:50], 2, v[0:1]
	v_cndmask_b32_e64 v1, 0x100, v51, s0
	v_cmp_ngt_f32_e64 s0, 0xc2ce8ed0, v43
	s_delay_alu instid0(VALU_DEP_1) | instskip(SKIP_1) | instid1(VALU_DEP_1)
	v_cndmask_b32_e64 v3, 0, v3, s0
	v_add_co_u32 v45, s0, s12, v45
	v_add_co_ci_u32_e64 v46, s0, s13, v46, s0
	v_cmp_nlt_f32_e64 s0, 0x42b17218, v43
	s_delay_alu instid0(VALU_DEP_1) | instskip(SKIP_2) | instid1(VALU_DEP_1)
	v_cndmask_b32_e64 v3, 0x7f800000, v3, s0
	s_waitcnt lgkmcnt(0)
	v_add_co_u32 v47, s0, s8, v47
	v_add_co_ci_u32_e64 v48, s0, s9, v48, s0
	v_add_co_u32 v49, s0, s10, v49
	v_add_f32_e32 v11, v11, v3
	v_add_co_ci_u32_e64 v50, s0, s11, v50, s0
	global_store_b32 v[45:46], v3, off
	global_store_b32 v[47:48], v1, off
	;; [unrolled: 1-line block ×3, first 2 shown]
.LBB194_16:                             ;   in Loop: Header=BB194_14 Depth=1
	s_or_b32 exec_lo, exec_lo, s2
	s_delay_alu instid0(VALU_DEP_1) | instskip(SKIP_1) | instid1(VALU_DEP_1)
	v_ashrrev_i32_e32 v3, 31, v42
	s_mov_b32 s1, exec_lo
	v_lshrrev_b32_e32 v1, 28, v3
	s_delay_alu instid0(VALU_DEP_1) | instskip(NEXT) | instid1(VALU_DEP_1)
	v_add_nc_u32_e32 v1, v42, v1
	v_ashrrev_i32_e32 v1, 4, v1
	s_delay_alu instid0(VALU_DEP_1) | instskip(NEXT) | instid1(VALU_DEP_1)
	v_lshrrev_b32_e32 v5, 28, v1
	v_add_nc_u32_e32 v5, v1, v5
	s_delay_alu instid0(VALU_DEP_1) | instskip(NEXT) | instid1(VALU_DEP_1)
	v_and_b32_e32 v5, -16, v5
	v_sub_nc_u32_e32 v5, v1, v5
	s_delay_alu instid0(VALU_DEP_1)
	v_cmpx_eq_u32_e64 v9, v5
	s_cbranch_execz .LBB194_13
; %bb.17:                               ;   in Loop: Header=BB194_14 Depth=1
	v_lshrrev_b32_e32 v3, 24, v3
	v_lshlrev_b32_e32 v1, 4, v1
	s_delay_alu instid0(VALU_DEP_2) | instskip(NEXT) | instid1(VALU_DEP_2)
	v_add_nc_u32_e32 v3, v42, v3
	v_sub_nc_u32_e32 v1, v42, v1
	s_delay_alu instid0(VALU_DEP_2) | instskip(NEXT) | instid1(VALU_DEP_1)
	v_ashrrev_i32_e32 v3, 8, v3
	v_lshl_add_u32 v1, v3, 4, v1
	s_delay_alu instid0(VALU_DEP_1) | instskip(NEXT) | instid1(VALU_DEP_1)
	v_cmp_ne_u32_e64 s0, 15, v1
	v_cndmask_b32_e64 v40, 0xff800000, v40, s0
	v_cmp_ne_u32_e64 s0, 14, v1
	s_delay_alu instid0(VALU_DEP_1) | instskip(SKIP_1) | instid1(VALU_DEP_1)
	v_cndmask_b32_e64 v38, 0xff800000, v38, s0
	v_cmp_ne_u32_e64 s0, 13, v1
	v_cndmask_b32_e64 v36, 0xff800000, v36, s0
	v_cmp_ne_u32_e64 s0, 12, v1
	s_delay_alu instid0(VALU_DEP_1) | instskip(SKIP_1) | instid1(VALU_DEP_1)
	v_cndmask_b32_e64 v34, 0xff800000, v34, s0
	;; [unrolled: 5-line block ×7, first 2 shown]
	v_cmp_ne_u32_e64 s0, 1, v1
	v_cndmask_b32_e64 v14, 0xff800000, v14, s0
	v_cmp_ne_u32_e64 s0, 0, v1
	s_delay_alu instid0(VALU_DEP_1)
	v_cndmask_b32_e64 v12, 0xff800000, v12, s0
	s_branch .LBB194_13
.LBB194_18:
	v_cmp_eq_u32_e32 vcc_lo, 0, v9
	v_cmp_neq_f32_e64 s0, 0, v11
	s_delay_alu instid0(VALU_DEP_1) | instskip(NEXT) | instid1(SALU_CYCLE_1)
	s_and_b32 s0, vcc_lo, s0
	s_and_b32 exec_lo, exec_lo, s0
	s_cbranch_execz .LBB194_22
; %bb.19:
	s_and_not1_b32 vcc_lo, exec_lo, s3
	s_cbranch_vccnz .LBB194_22
; %bb.20:
	v_div_scale_f32 v1, null, v11, v11, 1.0
	v_div_scale_f32 v3, vcc_lo, 1.0, v11, 1.0
	s_delay_alu instid0(VALU_DEP_2) | instskip(SKIP_2) | instid1(VALU_DEP_1)
	v_rcp_f32_e32 v2, v1
	s_waitcnt_depctr 0xfff
	v_fma_f32 v0, -v1, v2, 1.0
	v_fmac_f32_e32 v2, v0, v2
	v_mul_lo_u32 v0, v8, s7
	s_delay_alu instid0(VALU_DEP_2) | instskip(NEXT) | instid1(VALU_DEP_1)
	v_mul_f32_e32 v4, v3, v2
	v_fma_f32 v5, -v1, v4, v3
	s_delay_alu instid0(VALU_DEP_1) | instskip(NEXT) | instid1(VALU_DEP_1)
	v_fmac_f32_e32 v4, v5, v2
	v_fma_f32 v3, -v1, v4, v3
	v_ashrrev_i32_e32 v1, 31, v0
	s_delay_alu instid0(VALU_DEP_2) | instskip(NEXT) | instid1(VALU_DEP_2)
	v_div_fmas_f32 v2, v3, v2, v4
	v_lshlrev_b64 v[0:1], 2, v[0:1]
	s_delay_alu instid0(VALU_DEP_2) | instskip(NEXT) | instid1(VALU_DEP_2)
	v_div_fixup_f32 v2, v2, v11, 1.0
	v_add_co_u32 v0, vcc_lo, s12, v0
	s_delay_alu instid0(VALU_DEP_3)
	v_add_co_ci_u32_e32 v1, vcc_lo, s13, v1, vcc_lo
.LBB194_21:                             ; =>This Inner Loop Header: Depth=1
	global_load_b32 v3, v[0:1], off
	s_add_i32 s4, s4, -1
	s_delay_alu instid0(SALU_CYCLE_1)
	s_cmp_lg_u32 s4, 0
	s_waitcnt vmcnt(0)
	v_mul_f32_e32 v3, v2, v3
	global_store_b32 v[0:1], v3, off
	v_add_co_u32 v0, vcc_lo, v0, 4
	v_add_co_ci_u32_e32 v1, vcc_lo, 0, v1, vcc_lo
	s_cbranch_scc1 .LBB194_21
.LBB194_22:
	s_nop 0
	s_sendmsg sendmsg(MSG_DEALLOC_VGPRS)
	s_endpgm
	.section	.rodata,"a",@progbits
	.p2align	6, 0x0
	.amdhsa_kernel _ZN4vllm3moe17topkGatingSoftmaxIDF16_Li16ELi256ELi8ELi32ELb1ELi8ELNS0_23SharedExpertScoringFuncE1EEEvPKT_PKbPfiPiS9_iiiiii
		.amdhsa_group_segment_fixed_size 0
		.amdhsa_private_segment_fixed_size 0
		.amdhsa_kernarg_size 72
		.amdhsa_user_sgpr_count 15
		.amdhsa_user_sgpr_dispatch_ptr 0
		.amdhsa_user_sgpr_queue_ptr 0
		.amdhsa_user_sgpr_kernarg_segment_ptr 1
		.amdhsa_user_sgpr_dispatch_id 0
		.amdhsa_user_sgpr_private_segment_size 0
		.amdhsa_wavefront_size32 1
		.amdhsa_uses_dynamic_stack 0
		.amdhsa_enable_private_segment 0
		.amdhsa_system_sgpr_workgroup_id_x 1
		.amdhsa_system_sgpr_workgroup_id_y 0
		.amdhsa_system_sgpr_workgroup_id_z 0
		.amdhsa_system_sgpr_workgroup_info 0
		.amdhsa_system_vgpr_workitem_id 1
		.amdhsa_next_free_vgpr 53
		.amdhsa_next_free_sgpr 19
		.amdhsa_reserve_vcc 1
		.amdhsa_float_round_mode_32 0
		.amdhsa_float_round_mode_16_64 0
		.amdhsa_float_denorm_mode_32 3
		.amdhsa_float_denorm_mode_16_64 3
		.amdhsa_dx10_clamp 1
		.amdhsa_ieee_mode 1
		.amdhsa_fp16_overflow 0
		.amdhsa_workgroup_processor_mode 1
		.amdhsa_memory_ordered 1
		.amdhsa_forward_progress 0
		.amdhsa_shared_vgpr_count 0
		.amdhsa_exception_fp_ieee_invalid_op 0
		.amdhsa_exception_fp_denorm_src 0
		.amdhsa_exception_fp_ieee_div_zero 0
		.amdhsa_exception_fp_ieee_overflow 0
		.amdhsa_exception_fp_ieee_underflow 0
		.amdhsa_exception_fp_ieee_inexact 0
		.amdhsa_exception_int_div_zero 0
	.end_amdhsa_kernel
	.section	.text._ZN4vllm3moe17topkGatingSoftmaxIDF16_Li16ELi256ELi8ELi32ELb1ELi8ELNS0_23SharedExpertScoringFuncE1EEEvPKT_PKbPfiPiS9_iiiiii,"axG",@progbits,_ZN4vllm3moe17topkGatingSoftmaxIDF16_Li16ELi256ELi8ELi32ELb1ELi8ELNS0_23SharedExpertScoringFuncE1EEEvPKT_PKbPfiPiS9_iiiiii,comdat
.Lfunc_end194:
	.size	_ZN4vllm3moe17topkGatingSoftmaxIDF16_Li16ELi256ELi8ELi32ELb1ELi8ELNS0_23SharedExpertScoringFuncE1EEEvPKT_PKbPfiPiS9_iiiiii, .Lfunc_end194-_ZN4vllm3moe17topkGatingSoftmaxIDF16_Li16ELi256ELi8ELi32ELb1ELi8ELNS0_23SharedExpertScoringFuncE1EEEvPKT_PKbPfiPiS9_iiiiii
                                        ; -- End function
	.section	.AMDGPU.csdata,"",@progbits
; Kernel info:
; codeLenInByte = 3948
; NumSgprs: 21
; NumVgprs: 53
; ScratchSize: 0
; MemoryBound: 0
; FloatMode: 240
; IeeeMode: 1
; LDSByteSize: 0 bytes/workgroup (compile time only)
; SGPRBlocks: 2
; VGPRBlocks: 6
; NumSGPRsForWavesPerEU: 21
; NumVGPRsForWavesPerEU: 53
; Occupancy: 16
; WaveLimiterHint : 0
; COMPUTE_PGM_RSRC2:SCRATCH_EN: 0
; COMPUTE_PGM_RSRC2:USER_SGPR: 15
; COMPUTE_PGM_RSRC2:TRAP_HANDLER: 0
; COMPUTE_PGM_RSRC2:TGID_X_EN: 1
; COMPUTE_PGM_RSRC2:TGID_Y_EN: 0
; COMPUTE_PGM_RSRC2:TGID_Z_EN: 0
; COMPUTE_PGM_RSRC2:TIDIG_COMP_CNT: 1
	.section	.text._ZN4vllm3moe17topkGatingSoftmaxIDF16_Li16ELi256ELi8ELi32ELb0ELi8ELNS0_23SharedExpertScoringFuncE1EEEvPKT_PKbPfiPiS9_iiiiii,"axG",@progbits,_ZN4vllm3moe17topkGatingSoftmaxIDF16_Li16ELi256ELi8ELi32ELb0ELi8ELNS0_23SharedExpertScoringFuncE1EEEvPKT_PKbPfiPiS9_iiiiii,comdat
	.protected	_ZN4vllm3moe17topkGatingSoftmaxIDF16_Li16ELi256ELi8ELi32ELb0ELi8ELNS0_23SharedExpertScoringFuncE1EEEvPKT_PKbPfiPiS9_iiiiii ; -- Begin function _ZN4vllm3moe17topkGatingSoftmaxIDF16_Li16ELi256ELi8ELi32ELb0ELi8ELNS0_23SharedExpertScoringFuncE1EEEvPKT_PKbPfiPiS9_iiiiii
	.globl	_ZN4vllm3moe17topkGatingSoftmaxIDF16_Li16ELi256ELi8ELi32ELb0ELi8ELNS0_23SharedExpertScoringFuncE1EEEvPKT_PKbPfiPiS9_iiiiii
	.p2align	8
	.type	_ZN4vllm3moe17topkGatingSoftmaxIDF16_Li16ELi256ELi8ELi32ELb0ELi8ELNS0_23SharedExpertScoringFuncE1EEEvPKT_PKbPfiPiS9_iiiiii,@function
_ZN4vllm3moe17topkGatingSoftmaxIDF16_Li16ELi256ELi8ELi32ELb0ELi8ELNS0_23SharedExpertScoringFuncE1EEEvPKT_PKbPfiPiS9_iiiiii: ; @_ZN4vllm3moe17topkGatingSoftmaxIDF16_Li16ELi256ELi8ELi32ELb0ELi8ELNS0_23SharedExpertScoringFuncE1EEEvPKT_PKbPfiPiS9_iiiiii
; %bb.0:
	s_load_b32 s16, s[0:1], 0x18
	v_bfe_u32 v1, v0, 10, 10
	v_and_b32_e32 v0, 0x3ff, v0
	s_lshl_b32 s18, s15, 4
	s_mov_b32 s2, exec_lo
	s_delay_alu instid0(VALU_DEP_2) | instskip(NEXT) | instid1(VALU_DEP_2)
	v_lshlrev_b32_e32 v43, 1, v1
	v_lshrrev_b32_e32 v44, 4, v0
	s_delay_alu instid0(VALU_DEP_1) | instskip(SKIP_1) | instid1(VALU_DEP_1)
	v_add3_u32 v8, s18, v43, v44
	s_waitcnt lgkmcnt(0)
	v_cmpx_gt_i32_e64 s16, v8
	s_cbranch_execz .LBB195_23
; %bb.1:
	s_clause 0x1
	s_load_b128 s[4:7], s[0:1], 0x0
	s_load_b64 s[12:13], s[0:1], 0x10
	s_waitcnt lgkmcnt(0)
	s_cmp_eq_u64 s[6:7], 0
	s_cbranch_scc1 .LBB195_3
; %bb.2:
	v_ashrrev_i32_e32 v2, 31, v8
	v_add_co_u32 v1, vcc_lo, s6, v8
	s_delay_alu instid0(VALU_DEP_2) | instskip(SKIP_3) | instid1(VALU_DEP_1)
	v_add_co_ci_u32_e32 v2, vcc_lo, s7, v2, vcc_lo
	global_load_u8 v1, v[1:2], off
	s_waitcnt vmcnt(0)
	v_and_b32_e32 v1, 1, v1
	v_cmp_eq_u32_e32 vcc_lo, 1, v1
	s_xor_b32 s2, vcc_lo, -1
	s_delay_alu instid0(SALU_CYCLE_1)
	s_or_not1_b32 s17, s2, exec_lo
	s_branch .LBB195_4
.LBB195_3:
	s_mov_b32 s17, -1
.LBB195_4:
	s_load_b64 s[14:15], s[0:1], 0x40
	v_dual_mov_b32 v10, 0 :: v_dual_and_b32 v9, 15, v0
	s_mov_b32 s2, exec_lo
	s_delay_alu instid0(VALU_DEP_1) | instskip(SKIP_2) | instid1(VALU_DEP_1)
	v_lshlrev_b32_e32 v22, 4, v9
	s_waitcnt lgkmcnt(0)
	v_mul_lo_u32 v1, v8, s15
	v_ashrrev_i32_e32 v2, 31, v1
	s_delay_alu instid0(VALU_DEP_1) | instskip(SKIP_1) | instid1(VALU_DEP_2)
	v_lshlrev_b64 v[0:1], 1, v[1:2]
	v_lshlrev_b32_e32 v2, 5, v9
	v_add_co_u32 v11, vcc_lo, s4, v0
	s_delay_alu instid0(VALU_DEP_3) | instskip(SKIP_1) | instid1(VALU_DEP_2)
	v_add_co_ci_u32_e32 v12, vcc_lo, s5, v1, vcc_lo
	s_load_b128 s[4:7], s[0:1], 0x30
	v_add_co_u32 v4, vcc_lo, v11, v2
	s_delay_alu instid0(VALU_DEP_2)
	v_add_co_ci_u32_e32 v5, vcc_lo, 0, v12, vcc_lo
	s_clause 0x1
	global_load_b128 v[0:3], v[4:5], off offset:16
	global_load_b128 v[4:7], v[4:5], off
	v_cmpx_gt_u32_e32 8, v9
	s_cbranch_execz .LBB195_6
; %bb.5:
	v_lshlrev_b32_e32 v13, 1, v9
	s_mov_b32 s3, 0x3fb8aa3b
	s_delay_alu instid0(VALU_DEP_1) | instskip(SKIP_4) | instid1(VALU_DEP_1)
	v_add_co_u32 v11, vcc_lo, v11, v13
	v_add_co_ci_u32_e32 v12, vcc_lo, 0, v12, vcc_lo
	global_load_u16 v11, v[11:12], off offset:512
	s_waitcnt vmcnt(0)
	v_cvt_f32_f16_e64 v12, -v11
	v_mul_f32_e32 v13, 0x3fb8aa3b, v12
	v_cmp_ngt_f32_e32 vcc_lo, 0xc2ce8ed0, v12
	s_delay_alu instid0(VALU_DEP_2)
	v_fma_mix_f32 v14, -v11, s3, -v13 op_sel_hi:[1,0,0]
	v_rndne_f32_e32 v15, v13
	s_mov_b32 s3, 0x32a5705f
	s_delay_alu instid0(VALU_DEP_2) | instid1(SALU_CYCLE_1)
	v_fma_mix_f32 v11, -v11, s3, v14 op_sel_hi:[1,0,0]
	s_delay_alu instid0(VALU_DEP_2) | instskip(NEXT) | instid1(VALU_DEP_1)
	v_sub_f32_e32 v13, v13, v15
	v_add_f32_e32 v11, v13, v11
	v_cvt_i32_f32_e32 v13, v15
	s_delay_alu instid0(VALU_DEP_2) | instskip(SKIP_2) | instid1(VALU_DEP_1)
	v_exp_f32_e32 v11, v11
	s_waitcnt_depctr 0xfff
	v_ldexp_f32 v11, v11, v13
	v_cndmask_b32_e32 v11, 0, v11, vcc_lo
	v_cmp_nlt_f32_e32 vcc_lo, 0x42b17218, v12
	s_delay_alu instid0(VALU_DEP_2) | instskip(NEXT) | instid1(VALU_DEP_1)
	v_cndmask_b32_e32 v11, 0x7f800000, v11, vcc_lo
	v_add_f32_e32 v13, 1.0, v11
	s_delay_alu instid0(VALU_DEP_1) | instskip(SKIP_1) | instid1(VALU_DEP_2)
	v_div_scale_f32 v12, null, v13, v13, 1.0
	v_div_scale_f32 v15, vcc_lo, 1.0, v13, 1.0
	v_rcp_f32_e32 v14, v12
	s_waitcnt_depctr 0xfff
	v_fma_f32 v11, -v12, v14, 1.0
	s_delay_alu instid0(VALU_DEP_1) | instskip(SKIP_2) | instid1(VALU_DEP_2)
	v_fmac_f32_e32 v14, v11, v14
	s_waitcnt lgkmcnt(0)
	v_mul_lo_u32 v11, v8, s7
	v_mul_f32_e32 v16, v15, v14
	s_delay_alu instid0(VALU_DEP_2) | instskip(NEXT) | instid1(VALU_DEP_2)
	v_add3_u32 v11, v11, s4, v9
	v_fma_f32 v17, -v12, v16, v15
	s_delay_alu instid0(VALU_DEP_1) | instskip(NEXT) | instid1(VALU_DEP_1)
	v_fmac_f32_e32 v16, v17, v14
	v_fma_f32 v15, -v12, v16, v15
	s_delay_alu instid0(VALU_DEP_4) | instskip(NEXT) | instid1(VALU_DEP_2)
	v_ashrrev_i32_e32 v12, 31, v11
	v_div_fmas_f32 v14, v15, v14, v16
	s_delay_alu instid0(VALU_DEP_2) | instskip(NEXT) | instid1(VALU_DEP_2)
	v_lshlrev_b64 v[11:12], 2, v[11:12]
	v_div_fixup_f32 v13, v14, v13, 1.0
	s_delay_alu instid0(VALU_DEP_2) | instskip(NEXT) | instid1(VALU_DEP_3)
	v_add_co_u32 v11, vcc_lo, s12, v11
	v_add_co_ci_u32_e32 v12, vcc_lo, s13, v12, vcc_lo
	global_store_b32 v[11:12], v13, off
.LBB195_6:
	s_or_b32 exec_lo, exec_lo, s2
	s_waitcnt vmcnt(0)
	v_lshrrev_b32_e32 v11, 16, v4
	v_cvt_f32_f16_e32 v24, v4
	v_or_b32_e32 v28, 1, v22
	v_cvt_f32_f16_e32 v26, v5
	v_lshrrev_b32_e32 v5, 16, v5
	v_cvt_f32_f16_e32 v27, v11
	v_cmp_lt_f16_e32 vcc_lo, v4, v11
	v_or_b32_e32 v29, 2, v22
	v_or_b32_e32 v30, 3, v22
	v_cvt_f32_f16_e32 v25, v5
	v_cvt_f32_f16_e32 v23, v6
	v_dual_cndmask_b32 v4, v22, v28 :: v_dual_cndmask_b32 v11, v24, v27
	v_lshrrev_b32_e32 v6, 16, v6
	v_or_b32_e32 v31, 4, v22
	v_or_b32_e32 v32, 5, v22
	v_cvt_f32_f16_e32 v20, v7
	v_cmp_lt_f32_e32 vcc_lo, v11, v26
	v_cvt_f32_f16_e32 v21, v6
	v_lshrrev_b32_e32 v6, 16, v7
	v_or_b32_e32 v33, 6, v22
	v_or_b32_e32 v34, 7, v22
	v_dual_cndmask_b32 v4, v4, v29 :: v_dual_cndmask_b32 v5, v11, v26
	s_delay_alu instid0(VALU_DEP_4)
	v_cvt_f32_f16_e32 v19, v6
	v_cvt_f32_f16_e32 v18, v0
	v_lshrrev_b32_e32 v0, 16, v0
	v_or_b32_e32 v35, 8, v22
	v_cmp_lt_f32_e32 vcc_lo, v5, v25
	v_cvt_f32_f16_e32 v13, v2
	v_lshrrev_b32_e32 v2, 16, v2
	v_cvt_f32_f16_e32 v17, v0
	v_or_b32_e32 v36, 9, v22
	v_dual_cndmask_b32 v4, v4, v30 :: v_dual_cndmask_b32 v5, v5, v25
	v_cvt_f32_f16_e32 v16, v1
	v_lshrrev_b32_e32 v1, 16, v1
	v_cvt_f32_f16_e32 v12, v2
	v_or_b32_e32 v37, 10, v22
	v_cmp_lt_f32_e32 vcc_lo, v5, v23
	v_cvt_f32_f16_e32 v11, v3
	v_cvt_f32_f16_e32 v15, v1
	v_or_b32_e32 v38, 11, v22
	v_lshrrev_b32_e32 v2, 16, v3
	v_cndmask_b32_e32 v5, v5, v23, vcc_lo
	v_cndmask_b32_e32 v4, v4, v31, vcc_lo
	v_or_b32_e32 v39, 12, v22
	v_or_b32_e32 v40, 13, v22
	v_cvt_f32_f16_e32 v7, v2
	v_cmp_lt_f32_e32 vcc_lo, v5, v21
	v_or_b32_e32 v41, 14, v22
	v_or_b32_e32 v42, 15, v22
	v_dual_cndmask_b32 v5, v5, v21 :: v_dual_cndmask_b32 v4, v4, v32
	s_delay_alu instid0(VALU_DEP_1) | instskip(NEXT) | instid1(VALU_DEP_2)
	v_cmp_lt_f32_e32 vcc_lo, v5, v20
	v_dual_cndmask_b32 v4, v4, v33 :: v_dual_cndmask_b32 v5, v5, v20
	s_delay_alu instid0(VALU_DEP_1) | instskip(NEXT) | instid1(VALU_DEP_2)
	v_cmp_lt_f32_e32 vcc_lo, v5, v19
	;; [unrolled: 3-line block ×3, first 2 shown]
	v_cndmask_b32_e32 v0, v4, v35, vcc_lo
	v_cndmask_b32_e32 v4, v5, v18, vcc_lo
	s_delay_alu instid0(VALU_DEP_1) | instskip(SKIP_1) | instid1(VALU_DEP_4)
	v_cmp_lt_f32_e32 vcc_lo, v4, v17
	v_cndmask_b32_e32 v4, v4, v17, vcc_lo
	v_cndmask_b32_e32 v0, v0, v36, vcc_lo
	s_delay_alu instid0(VALU_DEP_2) | instskip(SKIP_1) | instid1(VALU_DEP_3)
	v_cmp_lt_f32_e32 vcc_lo, v4, v16
	v_cndmask_b32_e32 v1, v4, v16, vcc_lo
	v_cndmask_b32_e32 v0, v0, v37, vcc_lo
	s_delay_alu instid0(VALU_DEP_2) | instskip(NEXT) | instid1(VALU_DEP_2)
	v_cmp_lt_f32_e32 vcc_lo, v1, v15
	v_dual_cndmask_b32 v1, v1, v15 :: v_dual_cndmask_b32 v0, v0, v38
	s_delay_alu instid0(VALU_DEP_1) | instskip(NEXT) | instid1(VALU_DEP_2)
	v_cmp_lt_f32_e32 vcc_lo, v1, v13
	v_dual_cndmask_b32 v1, v1, v13 :: v_dual_cndmask_b32 v0, v0, v39
	s_delay_alu instid0(VALU_DEP_1) | instskip(SKIP_1) | instid1(VALU_DEP_3)
	v_cmp_lt_f32_e32 vcc_lo, v1, v12
	v_cndmask_b32_e32 v1, v1, v12, vcc_lo
	v_cndmask_b32_e32 v0, v0, v40, vcc_lo
	s_delay_alu instid0(VALU_DEP_2) | instskip(NEXT) | instid1(VALU_DEP_2)
	v_cmp_lt_f32_e32 vcc_lo, v1, v11
	v_dual_cndmask_b32 v1, v1, v11 :: v_dual_cndmask_b32 v0, v0, v41
	s_delay_alu instid0(VALU_DEP_1) | instskip(NEXT) | instid1(VALU_DEP_2)
	v_cmp_lt_f32_e32 vcc_lo, v1, v7
	v_dual_cndmask_b32 v0, v0, v42 :: v_dual_cndmask_b32 v1, v1, v7
	s_delay_alu instid0(VALU_DEP_1) | instskip(NEXT) | instid1(VALU_DEP_2)
	v_mov_b32_dpp v2, v0 quad_perm:[1,0,3,2] row_mask:0xf bank_mask:0xf
	v_mov_b32_dpp v3, v1 quad_perm:[1,0,3,2] row_mask:0xf bank_mask:0xf
	s_delay_alu instid0(VALU_DEP_2) | instskip(NEXT) | instid1(VALU_DEP_2)
	v_cmp_lt_i32_e32 vcc_lo, v2, v0
	v_cmp_eq_f32_e64 s2, v1, v3
	v_cmp_lt_f32_e64 s3, v1, v3
	s_delay_alu instid0(VALU_DEP_2)
	s_and_b32 s2, s2, vcc_lo
	s_delay_alu instid0(VALU_DEP_1) | instid1(SALU_CYCLE_1)
	s_or_b32 vcc_lo, s3, s2
	v_dual_cndmask_b32 v1, v1, v3 :: v_dual_cndmask_b32 v0, v0, v2
	s_delay_alu instid0(VALU_DEP_1) | instskip(NEXT) | instid1(VALU_DEP_2)
	v_mov_b32_dpp v2, v1 quad_perm:[2,3,0,1] row_mask:0xf bank_mask:0xf
	v_mov_b32_dpp v3, v0 quad_perm:[2,3,0,1] row_mask:0xf bank_mask:0xf
	s_delay_alu instid0(VALU_DEP_2) | instskip(NEXT) | instid1(VALU_DEP_2)
	v_cmp_eq_f32_e32 vcc_lo, v1, v2
	v_cmp_lt_i32_e64 s2, v3, v0
	v_cmp_lt_f32_e64 s3, v1, v2
	s_delay_alu instid0(VALU_DEP_2)
	s_and_b32 s2, vcc_lo, s2
	s_delay_alu instid0(VALU_DEP_1) | instid1(SALU_CYCLE_1)
	s_or_b32 vcc_lo, s3, s2
	v_dual_cndmask_b32 v1, v1, v2 :: v_dual_cndmask_b32 v0, v0, v3
	s_delay_alu instid0(VALU_DEP_1) | instskip(NEXT) | instid1(VALU_DEP_2)
	v_mov_b32_dpp v2, v1 row_half_mirror row_mask:0xf bank_mask:0xf
	v_mov_b32_dpp v3, v0 row_half_mirror row_mask:0xf bank_mask:0xf
	s_delay_alu instid0(VALU_DEP_2) | instskip(NEXT) | instid1(VALU_DEP_2)
	v_cmp_eq_f32_e32 vcc_lo, v1, v2
	v_cmp_lt_i32_e64 s2, v3, v0
	v_cmp_lt_f32_e64 s3, v1, v2
	s_delay_alu instid0(VALU_DEP_2)
	s_and_b32 s2, vcc_lo, s2
	s_delay_alu instid0(VALU_DEP_1) | instid1(SALU_CYCLE_1)
	s_or_b32 vcc_lo, s3, s2
	v_dual_cndmask_b32 v1, v1, v2 :: v_dual_cndmask_b32 v0, v0, v3
	s_delay_alu instid0(VALU_DEP_1) | instskip(NEXT) | instid1(VALU_DEP_2)
	v_mov_b32_dpp v3, v1 row_mirror row_mask:0xf bank_mask:0xf
	v_mov_b32_dpp v2, v0 row_mirror row_mask:0xf bank_mask:0xf
	s_delay_alu instid0(VALU_DEP_2) | instskip(NEXT) | instid1(VALU_DEP_2)
	v_cmp_eq_f32_e32 vcc_lo, v1, v3
	v_cmp_lt_i32_e64 s2, v2, v0
	v_cmp_lt_f32_e64 s3, v1, v3
	s_delay_alu instid0(VALU_DEP_2) | instskip(SKIP_1) | instid1(VALU_DEP_2)
	s_and_b32 s2, vcc_lo, s2
	v_cmp_eq_u32_e32 vcc_lo, 0, v9
	s_or_b32 s2, s3, s2
	s_waitcnt lgkmcnt(0)
	s_cmp_gt_i32 s4, 0
	v_cndmask_b32_e64 v14, v1, v3, s2
	s_cselect_b32 s3, -1, 0
	s_cmp_lt_i32 s4, 1
	s_cbranch_scc1 .LBB195_18
; %bb.7:
	s_load_b128 s[8:11], s[0:1], 0x20
	v_mul_lo_u32 v1, v8, s7
	v_mul_lo_u32 v3, v8, s14
	;; [unrolled: 1-line block ×3, first 2 shown]
	v_cndmask_b32_e64 v0, v0, v2, s2
	v_mov_b32_e32 v10, 0
	s_and_saveexec_b32 s2, vcc_lo
	s_cbranch_execz .LBB195_9
; %bb.8:
	v_sub_f32_e32 v10, v14, v14
	v_cmp_le_i32_e64 s0, s5, v0
	v_cmp_gt_i32_e64 s1, s6, v0
	v_subrev_nc_u32_e32 v51, s5, v0
	v_ashrrev_i32_e32 v6, 31, v5
	v_mul_f32_e32 v2, 0x3fb8aa3b, v10
	s_delay_alu instid0(VALU_DEP_4) | instskip(NEXT) | instid1(SALU_CYCLE_1)
	s_and_b32 s0, s0, s1
	s_and_b32 s0, s17, s0
	s_delay_alu instid0(VALU_DEP_1) | instskip(SKIP_2) | instid1(VALU_DEP_3)
	v_rndne_f32_e32 v47, v2
	v_fma_f32 v4, 0x3fb8aa3b, v10, -v2
	v_lshlrev_b64 v[49:50], 2, v[5:6]
	v_sub_f32_e32 v2, v2, v47
	s_delay_alu instid0(VALU_DEP_3) | instskip(NEXT) | instid1(VALU_DEP_1)
	v_fmamk_f32 v4, v10, 0x32a5705f, v4
	v_add_f32_e32 v4, v2, v4
	v_ashrrev_i32_e32 v2, 31, v1
	s_delay_alu instid0(VALU_DEP_2) | instskip(NEXT) | instid1(VALU_DEP_1)
	v_exp_f32_e32 v52, v4
	v_lshlrev_b64 v[45:46], 2, v[1:2]
	v_ashrrev_i32_e32 v4, 31, v3
	v_cvt_i32_f32_e32 v2, v47
	s_delay_alu instid0(VALU_DEP_2) | instskip(SKIP_2) | instid1(VALU_DEP_1)
	v_lshlrev_b64 v[47:48], 2, v[3:4]
	v_cndmask_b32_e64 v4, 0x100, v51, s0
	v_add_co_u32 v45, s0, s12, v45
	v_add_co_ci_u32_e64 v46, s0, s13, v46, s0
	s_delay_alu instid0(TRANS32_DEP_1) | instskip(SKIP_1) | instid1(VALU_DEP_1)
	v_ldexp_f32 v2, v52, v2
	v_cmp_ngt_f32_e64 s0, 0xc2ce8ed0, v10
	v_cndmask_b32_e64 v2, 0, v2, s0
	s_waitcnt lgkmcnt(0)
	v_add_co_u32 v47, s0, s8, v47
	s_delay_alu instid0(VALU_DEP_1) | instskip(SKIP_1) | instid1(VALU_DEP_1)
	v_add_co_ci_u32_e64 v48, s0, s9, v48, s0
	v_cmp_nlt_f32_e64 s0, 0x42b17218, v10
	v_cndmask_b32_e64 v10, 0x7f800000, v2, s0
	v_add_co_u32 v49, s0, s10, v49
	s_delay_alu instid0(VALU_DEP_1)
	v_add_co_ci_u32_e64 v50, s0, s11, v50, s0
	global_store_b32 v[47:48], v4, off
	global_store_b32 v[45:46], v10, off
	;; [unrolled: 1-line block ×3, first 2 shown]
.LBB195_9:
	s_or_b32 exec_lo, exec_lo, s2
	v_ashrrev_i32_e32 v4, 31, v0
	s_mov_b32 s1, exec_lo
	s_delay_alu instid0(VALU_DEP_1) | instskip(NEXT) | instid1(VALU_DEP_1)
	v_lshrrev_b32_e32 v2, 28, v4
	v_add_nc_u32_e32 v2, v0, v2
	s_delay_alu instid0(VALU_DEP_1) | instskip(NEXT) | instid1(VALU_DEP_1)
	v_ashrrev_i32_e32 v2, 4, v2
	v_lshrrev_b32_e32 v6, 28, v2
	s_delay_alu instid0(VALU_DEP_1) | instskip(NEXT) | instid1(VALU_DEP_1)
	v_add_nc_u32_e32 v6, v2, v6
	v_and_b32_e32 v6, -16, v6
	s_delay_alu instid0(VALU_DEP_1) | instskip(NEXT) | instid1(VALU_DEP_1)
	v_sub_nc_u32_e32 v6, v2, v6
	v_cmpx_eq_u32_e64 v9, v6
	s_cbranch_execz .LBB195_11
; %bb.10:
	v_lshrrev_b32_e32 v4, 24, v4
	v_lshlrev_b32_e32 v2, 4, v2
	s_delay_alu instid0(VALU_DEP_2) | instskip(NEXT) | instid1(VALU_DEP_2)
	v_add_nc_u32_e32 v4, v0, v4
	v_sub_nc_u32_e32 v0, v0, v2
	s_delay_alu instid0(VALU_DEP_2) | instskip(NEXT) | instid1(VALU_DEP_1)
	v_ashrrev_i32_e32 v2, 8, v4
	v_lshl_add_u32 v0, v2, 4, v0
	s_delay_alu instid0(VALU_DEP_1) | instskip(NEXT) | instid1(VALU_DEP_1)
	v_cmp_ne_u32_e64 s0, 15, v0
	v_cndmask_b32_e64 v7, 0xff800000, v7, s0
	v_cmp_ne_u32_e64 s0, 14, v0
	s_delay_alu instid0(VALU_DEP_1) | instskip(SKIP_1) | instid1(VALU_DEP_1)
	v_cndmask_b32_e64 v11, 0xff800000, v11, s0
	v_cmp_ne_u32_e64 s0, 13, v0
	v_cndmask_b32_e64 v12, 0xff800000, v12, s0
	v_cmp_ne_u32_e64 s0, 12, v0
	s_delay_alu instid0(VALU_DEP_1) | instskip(SKIP_1) | instid1(VALU_DEP_1)
	v_cndmask_b32_e64 v13, 0xff800000, v13, s0
	;; [unrolled: 5-line block ×7, first 2 shown]
	v_cmp_ne_u32_e64 s0, 1, v0
	v_cndmask_b32_e64 v27, 0xff800000, v27, s0
	v_cmp_ne_u32_e64 s0, 0, v0
	s_delay_alu instid0(VALU_DEP_1)
	v_cndmask_b32_e64 v24, 0xff800000, v24, s0
.LBB195_11:
	s_or_b32 exec_lo, exec_lo, s1
	s_cmp_eq_u32 s4, 1
	s_cbranch_scc1 .LBB195_18
; %bb.12:
	s_add_i32 s18, s18, s16
	v_add_nc_u32_e32 v0, 1, v5
	v_add3_u32 v6, s18, v44, v43
	v_add_nc_u32_e32 v2, 1, v3
	v_add_nc_u32_e32 v4, 1, v1
	s_add_i32 s14, s4, -1
	s_branch .LBB195_14
.LBB195_13:                             ;   in Loop: Header=BB195_14 Depth=1
	s_or_b32 exec_lo, exec_lo, s1
	v_add_nc_u32_e32 v6, s16, v6
	v_add_nc_u32_e32 v0, 1, v0
	;; [unrolled: 1-line block ×4, first 2 shown]
	s_add_i32 s14, s14, -1
	s_delay_alu instid0(SALU_CYCLE_1)
	s_cmp_eq_u32 s14, 0
	s_cbranch_scc1 .LBB195_18
.LBB195_14:                             ; =>This Inner Loop Header: Depth=1
	v_cmp_gt_f32_e64 s0, v27, v24
	s_delay_alu instid0(VALU_DEP_1) | instskip(SKIP_1) | instid1(VALU_DEP_2)
	v_cndmask_b32_e64 v3, v24, v27, s0
	v_cndmask_b32_e64 v1, v22, v28, s0
	v_cmp_gt_f32_e64 s0, v26, v3
	s_delay_alu instid0(VALU_DEP_1) | instskip(NEXT) | instid1(VALU_DEP_3)
	v_cndmask_b32_e64 v3, v3, v26, s0
	v_cndmask_b32_e64 v1, v1, v29, s0
	s_delay_alu instid0(VALU_DEP_2) | instskip(NEXT) | instid1(VALU_DEP_1)
	v_cmp_gt_f32_e64 s0, v25, v3
	v_cndmask_b32_e64 v3, v3, v25, s0
	s_delay_alu instid0(VALU_DEP_3) | instskip(NEXT) | instid1(VALU_DEP_2)
	v_cndmask_b32_e64 v1, v1, v30, s0
	v_cmp_gt_f32_e64 s0, v23, v3
	s_delay_alu instid0(VALU_DEP_1) | instskip(NEXT) | instid1(VALU_DEP_3)
	v_cndmask_b32_e64 v3, v3, v23, s0
	v_cndmask_b32_e64 v1, v1, v31, s0
	s_delay_alu instid0(VALU_DEP_2) | instskip(NEXT) | instid1(VALU_DEP_1)
	v_cmp_gt_f32_e64 s0, v21, v3
	v_cndmask_b32_e64 v3, v3, v21, s0
	s_delay_alu instid0(VALU_DEP_3) | instskip(NEXT) | instid1(VALU_DEP_2)
	;; [unrolled: 9-line block ×6, first 2 shown]
	v_cndmask_b32_e64 v1, v1, v40, s0
	v_cmp_gt_f32_e64 s0, v11, v3
	s_delay_alu instid0(VALU_DEP_1) | instskip(NEXT) | instid1(VALU_DEP_3)
	v_cndmask_b32_e64 v3, v3, v11, s0
	v_cndmask_b32_e64 v1, v1, v41, s0
	s_delay_alu instid0(VALU_DEP_2) | instskip(NEXT) | instid1(VALU_DEP_1)
	v_cmp_gt_f32_e64 s0, v7, v3
	v_cndmask_b32_e64 v1, v1, v42, s0
	v_cndmask_b32_e64 v3, v3, v7, s0
	s_delay_alu instid0(VALU_DEP_2) | instskip(NEXT) | instid1(VALU_DEP_2)
	v_mov_b32_dpp v5, v1 quad_perm:[1,0,3,2] row_mask:0xf bank_mask:0xf
	v_mov_b32_dpp v43, v3 quad_perm:[1,0,3,2] row_mask:0xf bank_mask:0xf
	s_delay_alu instid0(VALU_DEP_2) | instskip(NEXT) | instid1(VALU_DEP_2)
	v_cmp_lt_i32_e64 s0, v5, v1
	v_cmp_eq_f32_e64 s1, v3, v43
	v_cmp_lt_f32_e64 s2, v3, v43
	s_delay_alu instid0(VALU_DEP_2)
	s_and_b32 s0, s1, s0
	s_delay_alu instid0(VALU_DEP_1) | instid1(SALU_CYCLE_1)
	s_or_b32 s0, s2, s0
	s_delay_alu instid0(SALU_CYCLE_1) | instskip(SKIP_1) | instid1(VALU_DEP_2)
	v_cndmask_b32_e64 v3, v3, v43, s0
	v_cndmask_b32_e64 v1, v1, v5, s0
	v_mov_b32_dpp v5, v3 quad_perm:[2,3,0,1] row_mask:0xf bank_mask:0xf
	s_delay_alu instid0(VALU_DEP_2) | instskip(NEXT) | instid1(VALU_DEP_2)
	v_mov_b32_dpp v43, v1 quad_perm:[2,3,0,1] row_mask:0xf bank_mask:0xf
	v_cmp_eq_f32_e64 s0, v3, v5
	s_delay_alu instid0(VALU_DEP_2) | instskip(SKIP_1) | instid1(VALU_DEP_2)
	v_cmp_lt_i32_e64 s1, v43, v1
	v_cmp_lt_f32_e64 s2, v3, v5
	s_and_b32 s0, s0, s1
	s_delay_alu instid0(VALU_DEP_1) | instid1(SALU_CYCLE_1)
	s_or_b32 s0, s2, s0
	s_delay_alu instid0(SALU_CYCLE_1) | instskip(SKIP_1) | instid1(VALU_DEP_2)
	v_cndmask_b32_e64 v3, v3, v5, s0
	v_cndmask_b32_e64 v5, v1, v43, s0
	v_mov_b32_dpp v1, v3 row_half_mirror row_mask:0xf bank_mask:0xf
	s_delay_alu instid0(VALU_DEP_2) | instskip(NEXT) | instid1(VALU_DEP_2)
	v_mov_b32_dpp v43, v5 row_half_mirror row_mask:0xf bank_mask:0xf
	v_cmp_eq_f32_e64 s0, v3, v1
	s_delay_alu instid0(VALU_DEP_2) | instskip(SKIP_1) | instid1(VALU_DEP_2)
	v_cmp_lt_i32_e64 s1, v43, v5
	v_cmp_lt_f32_e64 s2, v3, v1
	s_and_b32 s0, s0, s1
	s_delay_alu instid0(VALU_DEP_1) | instid1(SALU_CYCLE_1)
	s_or_b32 s0, s2, s0
	s_delay_alu instid0(SALU_CYCLE_1) | instskip(SKIP_1) | instid1(VALU_DEP_2)
	v_cndmask_b32_e64 v1, v3, v1, s0
	v_cndmask_b32_e64 v5, v5, v43, s0
	v_mov_b32_dpp v3, v1 row_mirror row_mask:0xf bank_mask:0xf
	s_delay_alu instid0(VALU_DEP_2) | instskip(NEXT) | instid1(VALU_DEP_2)
	v_mov_b32_dpp v43, v5 row_mirror row_mask:0xf bank_mask:0xf
	v_cmp_eq_f32_e64 s0, v1, v3
	s_delay_alu instid0(VALU_DEP_2) | instskip(SKIP_1) | instid1(VALU_DEP_2)
	v_cmp_lt_i32_e64 s1, v43, v5
	v_cmp_lt_f32_e64 s2, v1, v3
	s_and_b32 s0, s0, s1
	s_delay_alu instid0(VALU_DEP_1) | instid1(SALU_CYCLE_1)
	s_or_b32 s0, s2, s0
	s_delay_alu instid0(SALU_CYCLE_1)
	v_cndmask_b32_e64 v43, v5, v43, s0
	s_and_saveexec_b32 s2, vcc_lo
	s_cbranch_execz .LBB195_16
; %bb.15:                               ;   in Loop: Header=BB195_14 Depth=1
	v_cndmask_b32_e64 v1, v1, v3, s0
	s_delay_alu instid0(VALU_DEP_2) | instskip(SKIP_4) | instid1(VALU_DEP_4)
	v_cmp_le_i32_e64 s0, s5, v43
	v_cmp_gt_i32_e64 s1, s6, v43
	v_ashrrev_i32_e32 v5, 31, v4
	v_subrev_nc_u32_e32 v51, s5, v43
	v_sub_f32_e32 v50, v1, v14
	s_and_b32 s0, s0, s1
	s_delay_alu instid0(SALU_CYCLE_1) | instskip(NEXT) | instid1(VALU_DEP_1)
	s_and_b32 s0, s17, s0
	v_mul_f32_e32 v1, 0x3fb8aa3b, v50
	s_delay_alu instid0(VALU_DEP_1) | instskip(SKIP_1) | instid1(VALU_DEP_2)
	v_fma_f32 v3, 0x3fb8aa3b, v50, -v1
	v_rndne_f32_e32 v44, v1
	v_fmac_f32_e32 v3, 0x32a5705f, v50
	s_delay_alu instid0(VALU_DEP_2) | instskip(SKIP_2) | instid1(VALU_DEP_3)
	v_sub_f32_e32 v1, v1, v44
	v_cvt_i32_f32_e32 v49, v44
	v_lshlrev_b64 v[44:45], 2, v[4:5]
	v_add_f32_e32 v1, v1, v3
	v_ashrrev_i32_e32 v3, 31, v2
	s_delay_alu instid0(VALU_DEP_2) | instskip(SKIP_1) | instid1(VALU_DEP_2)
	v_exp_f32_e32 v48, v1
	v_ashrrev_i32_e32 v1, 31, v0
	v_lshlrev_b64 v[46:47], 2, v[2:3]
	s_waitcnt_depctr 0xfff
	v_ldexp_f32 v3, v48, v49
	v_lshlrev_b64 v[48:49], 2, v[0:1]
	v_cndmask_b32_e64 v1, 0x100, v51, s0
	v_cmp_ngt_f32_e64 s0, 0xc2ce8ed0, v50
	s_delay_alu instid0(VALU_DEP_1) | instskip(SKIP_1) | instid1(VALU_DEP_1)
	v_cndmask_b32_e64 v3, 0, v3, s0
	v_add_co_u32 v44, s0, s12, v44
	v_add_co_ci_u32_e64 v45, s0, s13, v45, s0
	v_cmp_nlt_f32_e64 s0, 0x42b17218, v50
	s_delay_alu instid0(VALU_DEP_1) | instskip(SKIP_2) | instid1(VALU_DEP_1)
	v_cndmask_b32_e64 v3, 0x7f800000, v3, s0
	s_waitcnt lgkmcnt(0)
	v_add_co_u32 v46, s0, s8, v46
	v_add_co_ci_u32_e64 v47, s0, s9, v47, s0
	s_delay_alu instid0(VALU_DEP_3) | instskip(SKIP_1) | instid1(VALU_DEP_1)
	v_add_f32_e32 v10, v10, v3
	v_add_co_u32 v48, s0, s10, v48
	v_add_co_ci_u32_e64 v49, s0, s11, v49, s0
	global_store_b32 v[44:45], v3, off
	global_store_b32 v[46:47], v1, off
	;; [unrolled: 1-line block ×3, first 2 shown]
.LBB195_16:                             ;   in Loop: Header=BB195_14 Depth=1
	s_or_b32 exec_lo, exec_lo, s2
	s_delay_alu instid0(VALU_DEP_1) | instskip(SKIP_1) | instid1(VALU_DEP_1)
	v_ashrrev_i32_e32 v3, 31, v43
	s_mov_b32 s1, exec_lo
	v_lshrrev_b32_e32 v1, 28, v3
	s_delay_alu instid0(VALU_DEP_1) | instskip(NEXT) | instid1(VALU_DEP_1)
	v_add_nc_u32_e32 v1, v43, v1
	v_ashrrev_i32_e32 v1, 4, v1
	s_delay_alu instid0(VALU_DEP_1) | instskip(NEXT) | instid1(VALU_DEP_1)
	v_lshrrev_b32_e32 v5, 28, v1
	v_add_nc_u32_e32 v5, v1, v5
	s_delay_alu instid0(VALU_DEP_1) | instskip(NEXT) | instid1(VALU_DEP_1)
	v_and_b32_e32 v5, -16, v5
	v_sub_nc_u32_e32 v5, v1, v5
	s_delay_alu instid0(VALU_DEP_1)
	v_cmpx_eq_u32_e64 v9, v5
	s_cbranch_execz .LBB195_13
; %bb.17:                               ;   in Loop: Header=BB195_14 Depth=1
	v_lshrrev_b32_e32 v3, 24, v3
	v_lshlrev_b32_e32 v1, 4, v1
	s_delay_alu instid0(VALU_DEP_2) | instskip(NEXT) | instid1(VALU_DEP_2)
	v_add_nc_u32_e32 v3, v43, v3
	v_sub_nc_u32_e32 v1, v43, v1
	s_delay_alu instid0(VALU_DEP_2) | instskip(NEXT) | instid1(VALU_DEP_1)
	v_ashrrev_i32_e32 v3, 8, v3
	v_lshl_add_u32 v1, v3, 4, v1
	s_delay_alu instid0(VALU_DEP_1) | instskip(NEXT) | instid1(VALU_DEP_1)
	v_cmp_ne_u32_e64 s0, 15, v1
	v_cndmask_b32_e64 v7, 0xff800000, v7, s0
	v_cmp_ne_u32_e64 s0, 14, v1
	s_delay_alu instid0(VALU_DEP_1) | instskip(SKIP_1) | instid1(VALU_DEP_1)
	v_cndmask_b32_e64 v11, 0xff800000, v11, s0
	v_cmp_ne_u32_e64 s0, 13, v1
	v_cndmask_b32_e64 v12, 0xff800000, v12, s0
	v_cmp_ne_u32_e64 s0, 12, v1
	s_delay_alu instid0(VALU_DEP_1) | instskip(SKIP_1) | instid1(VALU_DEP_1)
	v_cndmask_b32_e64 v13, 0xff800000, v13, s0
	;; [unrolled: 5-line block ×7, first 2 shown]
	v_cmp_ne_u32_e64 s0, 1, v1
	v_cndmask_b32_e64 v27, 0xff800000, v27, s0
	v_cmp_ne_u32_e64 s0, 0, v1
	s_delay_alu instid0(VALU_DEP_1)
	v_cndmask_b32_e64 v24, 0xff800000, v24, s0
	s_branch .LBB195_13
.LBB195_18:
	s_delay_alu instid0(VALU_DEP_1) | instskip(SKIP_4) | instid1(VALU_DEP_4)
	v_sub_f32_e32 v5, v25, v14
	v_sub_f32_e32 v0, v24, v14
	;; [unrolled: 1-line block ×5, first 2 shown]
	v_dual_mul_f32 v27, 0x3fb8aa3b, v5 :: v_dual_mul_f32 v2, 0x3fb8aa3b, v0
	s_delay_alu instid0(VALU_DEP_4) | instskip(SKIP_1) | instid1(VALU_DEP_3)
	v_dual_sub_f32 v3, v26, v14 :: v_dual_mul_f32 v4, 0x3fb8aa3b, v1
	v_cmp_ngt_f32_e32 vcc_lo, 0xc2ce8ed0, v0
	v_rndne_f32_e32 v30, v27
	s_delay_alu instid0(VALU_DEP_4) | instskip(NEXT) | instid1(VALU_DEP_4)
	v_fma_f32 v22, 0x3fb8aa3b, v0, -v2
	v_mul_f32_e32 v26, 0x3fb8aa3b, v3
	v_fma_f32 v29, 0x3fb8aa3b, v5, -v27
	v_sub_f32_e32 v6, v23, v14
	v_rndne_f32_e32 v23, v2
	v_fma_f32 v24, 0x3fb8aa3b, v1, -v4
	v_rndne_f32_e32 v25, v4
	v_dual_fmac_f32 v29, 0x32a5705f, v5 :: v_dual_fmac_f32 v22, 0x32a5705f, v0
	s_delay_alu instid0(VALU_DEP_4) | instskip(NEXT) | instid1(VALU_DEP_4)
	v_sub_f32_e32 v2, v2, v23
	v_fmac_f32_e32 v24, 0x32a5705f, v1
	s_delay_alu instid0(VALU_DEP_4) | instskip(SKIP_1) | instid1(VALU_DEP_4)
	v_dual_sub_f32 v4, v4, v25 :: v_dual_sub_f32 v21, v21, v14
	v_cvt_i32_f32_e32 v23, v23
	v_add_f32_e32 v2, v2, v22
	v_fma_f32 v22, 0x3fb8aa3b, v3, -v26
	s_delay_alu instid0(VALU_DEP_4)
	v_add_f32_e32 v4, v4, v24
	v_rndne_f32_e32 v24, v26
	v_cvt_i32_f32_e32 v25, v25
	v_exp_f32_e32 v2, v2
	v_fmac_f32_e32 v22, 0x32a5705f, v3
	v_exp_f32_e32 v4, v4
	v_sub_f32_e32 v26, v26, v24
	v_cvt_i32_f32_e32 v24, v24
	v_sub_f32_e32 v19, v19, v14
	v_sub_f32_e32 v15, v15, v14
	;; [unrolled: 1-line block ×3, first 2 shown]
	v_add_f32_e32 v22, v26, v22
	s_delay_alu instid0(TRANS32_DEP_2) | instskip(SKIP_1) | instid1(TRANS32_DEP_1)
	v_ldexp_f32 v2, v2, v23
	v_sub_f32_e32 v23, v27, v30
	v_ldexp_f32 v4, v4, v25
	s_delay_alu instid0(VALU_DEP_4) | instskip(NEXT) | instid1(VALU_DEP_3)
	v_exp_f32_e32 v22, v22
	v_cndmask_b32_e32 v2, 0, v2, vcc_lo
	v_cmp_ngt_f32_e32 vcc_lo, 0xc2ce8ed0, v1
	s_delay_alu instid0(VALU_DEP_3) | instskip(SKIP_1) | instid1(VALU_DEP_2)
	v_dual_add_f32 v23, v23, v29 :: v_dual_cndmask_b32 v4, 0, v4
	v_cmp_nlt_f32_e32 vcc_lo, 0x42b17218, v0
	v_exp_f32_e32 v23, v23
	v_cndmask_b32_e32 v0, 0x7f800000, v2, vcc_lo
	v_cmp_nlt_f32_e32 vcc_lo, 0x42b17218, v1
	v_cndmask_b32_e32 v1, 0x7f800000, v4, vcc_lo
	s_delay_alu instid0(TRANS32_DEP_2) | instskip(SKIP_1) | instid1(VALU_DEP_2)
	v_ldexp_f32 v4, v22, v24
	v_cmp_ngt_f32_e32 vcc_lo, 0xc2ce8ed0, v3
	v_dual_add_f32 v0, v0, v1 :: v_dual_cndmask_b32 v1, 0, v4
	v_cvt_i32_f32_e32 v4, v30
	v_cmp_nlt_f32_e32 vcc_lo, 0x42b17218, v3
	s_delay_alu instid0(TRANS32_DEP_1) | instid1(VALU_DEP_2)
	v_ldexp_f32 v3, v23, v4
	s_delay_alu instid0(VALU_DEP_4) | instskip(SKIP_3) | instid1(VALU_DEP_4)
	v_cndmask_b32_e32 v1, 0x7f800000, v1, vcc_lo
	v_cmp_ngt_f32_e32 vcc_lo, 0xc2ce8ed0, v5
	v_mul_f32_e32 v28, 0x3fb8aa3b, v6
	v_mul_f32_e32 v4, 0x3fb8aa3b, v21
	v_dual_add_f32 v0, v0, v1 :: v_dual_cndmask_b32 v1, 0, v3
	s_delay_alu instid0(VALU_DEP_3) | instskip(SKIP_1) | instid1(VALU_DEP_4)
	v_fma_f32 v2, 0x3fb8aa3b, v6, -v28
	v_rndne_f32_e32 v22, v28
	v_fma_f32 v3, 0x3fb8aa3b, v21, -v4
	v_rndne_f32_e32 v23, v4
	v_cmp_nlt_f32_e32 vcc_lo, 0x42b17218, v5
	v_fmac_f32_e32 v2, 0x32a5705f, v6
	v_sub_f32_e32 v24, v28, v22
	v_cvt_i32_f32_e32 v5, v22
	v_fmac_f32_e32 v3, 0x32a5705f, v21
	v_dual_cndmask_b32 v1, 0x7f800000, v1 :: v_dual_sub_f32 v4, v4, v23
	s_delay_alu instid0(VALU_DEP_4) | instskip(SKIP_1) | instid1(VALU_DEP_3)
	v_add_f32_e32 v2, v24, v2
	v_cmp_ngt_f32_e32 vcc_lo, 0xc2ce8ed0, v6
	v_add_f32_e32 v0, v0, v1
	s_delay_alu instid0(VALU_DEP_3) | instskip(SKIP_2) | instid1(VALU_DEP_1)
	v_exp_f32_e32 v2, v2
	s_waitcnt_depctr 0xfff
	v_ldexp_f32 v1, v2, v5
	v_dual_add_f32 v2, v4, v3 :: v_dual_cndmask_b32 v1, 0, v1
	s_delay_alu instid0(VALU_DEP_1) | instskip(SKIP_2) | instid1(VALU_DEP_3)
	v_exp_f32_e32 v2, v2
	v_cmp_nlt_f32_e32 vcc_lo, 0x42b17218, v6
	v_cvt_i32_f32_e32 v6, v23
	v_cndmask_b32_e32 v1, 0x7f800000, v1, vcc_lo
	v_cmp_ngt_f32_e32 vcc_lo, 0xc2ce8ed0, v21
	s_delay_alu instid0(VALU_DEP_2) | instskip(SKIP_2) | instid1(VALU_DEP_1)
	v_add_f32_e32 v0, v0, v1
	s_waitcnt_depctr 0xfff
	v_ldexp_f32 v1, v2, v6
	v_cndmask_b32_e32 v1, 0, v1, vcc_lo
	v_cmp_nlt_f32_e32 vcc_lo, 0x42b17218, v21
	v_mul_f32_e32 v21, 0x3fb8aa3b, v15
	s_delay_alu instid0(VALU_DEP_3) | instskip(SKIP_2) | instid1(VALU_DEP_3)
	v_cndmask_b32_e32 v1, 0x7f800000, v1, vcc_lo
	v_mul_f32_e32 v22, 0x3fb8aa3b, v20
	v_cmp_ngt_f32_e32 vcc_lo, 0xc2ce8ed0, v20
	v_add_f32_e32 v0, v0, v1
	s_delay_alu instid0(VALU_DEP_3) | instskip(SKIP_1) | instid1(VALU_DEP_2)
	v_fma_f32 v3, 0x3fb8aa3b, v20, -v22
	v_rndne_f32_e32 v4, v22
	v_fmac_f32_e32 v3, 0x32a5705f, v20
	s_delay_alu instid0(VALU_DEP_2) | instskip(SKIP_1) | instid1(VALU_DEP_2)
	v_sub_f32_e32 v5, v22, v4
	v_cvt_i32_f32_e32 v4, v4
	v_add_f32_e32 v3, v5, v3
	v_mul_f32_e32 v5, 0x3fb8aa3b, v19
	s_delay_alu instid0(VALU_DEP_2) | instskip(NEXT) | instid1(VALU_DEP_1)
	v_exp_f32_e32 v2, v3
	v_fma_f32 v3, 0x3fb8aa3b, v19, -v5
	v_rndne_f32_e32 v6, v5
	s_delay_alu instid0(VALU_DEP_2) | instskip(NEXT) | instid1(VALU_DEP_2)
	v_fmac_f32_e32 v3, 0x32a5705f, v19
	v_sub_f32_e32 v5, v5, v6
	v_cvt_i32_f32_e32 v6, v6
	s_waitcnt_depctr 0xfff
	v_ldexp_f32 v2, v2, v4
	v_add_f32_e32 v3, v5, v3
	v_sub_f32_e32 v5, v17, v14
	v_sub_f32_e32 v16, v16, v14
	s_delay_alu instid0(VALU_DEP_4)
	v_cndmask_b32_e32 v1, 0, v2, vcc_lo
	v_cmp_nlt_f32_e32 vcc_lo, 0x42b17218, v20
	v_sub_f32_e32 v4, v18, v14
	v_exp_f32_e32 v2, v3
	v_mul_f32_e32 v20, 0x3fb8aa3b, v5
	v_cndmask_b32_e32 v1, 0x7f800000, v1, vcc_lo
	s_delay_alu instid0(VALU_DEP_3) | instskip(SKIP_1) | instid1(VALU_DEP_3)
	v_mul_f32_e32 v3, 0x3fb8aa3b, v4
	v_cmp_ngt_f32_e32 vcc_lo, 0xc2ce8ed0, v19
	v_add_f32_e32 v0, v0, v1
	s_delay_alu instid0(VALU_DEP_3) | instskip(SKIP_1) | instid1(TRANS32_DEP_1)
	v_fma_f32 v17, 0x3fb8aa3b, v4, -v3
	v_rndne_f32_e32 v18, v3
	v_ldexp_f32 v1, v2, v6
	v_rndne_f32_e32 v6, v20
	s_delay_alu instid0(VALU_DEP_3) | instskip(NEXT) | instid1(VALU_DEP_3)
	v_dual_fmac_f32 v17, 0x32a5705f, v4 :: v_dual_sub_f32 v2, v3, v18
	v_cndmask_b32_e32 v1, 0, v1, vcc_lo
	v_fma_f32 v3, 0x3fb8aa3b, v5, -v20
	v_cmp_nlt_f32_e32 vcc_lo, 0x42b17218, v19
	v_cvt_i32_f32_e32 v18, v18
	v_dual_add_f32 v2, v2, v17 :: v_dual_sub_f32 v17, v20, v6
	s_delay_alu instid0(VALU_DEP_4) | instskip(SKIP_1) | instid1(VALU_DEP_3)
	v_fmac_f32_e32 v3, 0x32a5705f, v5
	v_mul_f32_e32 v20, 0x3fb8aa3b, v16
	v_exp_f32_e32 v2, v2
	s_delay_alu instid0(VALU_DEP_2) | instskip(NEXT) | instid1(VALU_DEP_2)
	v_add_f32_e32 v3, v17, v3
	v_fma_f32 v17, 0x3fb8aa3b, v16, -v20
	v_rndne_f32_e32 v19, v20
	v_cndmask_b32_e32 v1, 0x7f800000, v1, vcc_lo
	v_cmp_ngt_f32_e32 vcc_lo, 0xc2ce8ed0, v4
	v_exp_f32_e32 v3, v3
	s_delay_alu instid0(VALU_DEP_3) | instskip(NEXT) | instid1(VALU_DEP_3)
	v_dual_fmac_f32 v17, 0x32a5705f, v16 :: v_dual_sub_f32 v20, v20, v19
	v_add_f32_e32 v0, v0, v1
	s_delay_alu instid0(TRANS32_DEP_2)
	v_ldexp_f32 v1, v2, v18
	v_cvt_i32_f32_e32 v2, v6
	v_rndne_f32_e32 v18, v21
	v_add_f32_e32 v6, v20, v17
	v_fma_f32 v17, 0x3fb8aa3b, v15, -v21
	v_cndmask_b32_e32 v1, 0, v1, vcc_lo
	s_delay_alu instid0(TRANS32_DEP_1)
	v_ldexp_f32 v2, v3, v2
	v_cmp_nlt_f32_e32 vcc_lo, 0x42b17218, v4
	v_exp_f32_e32 v3, v6
	v_sub_f32_e32 v6, v21, v18
	v_cvt_i32_f32_e32 v4, v19
	v_fmac_f32_e32 v17, 0x32a5705f, v15
	v_cndmask_b32_e32 v1, 0x7f800000, v1, vcc_lo
	v_cmp_ngt_f32_e32 vcc_lo, 0xc2ce8ed0, v5
	s_delay_alu instid0(VALU_DEP_2) | instskip(NEXT) | instid1(TRANS32_DEP_1)
	v_add_f32_e32 v0, v0, v1
	v_ldexp_f32 v1, v3, v4
	v_cndmask_b32_e32 v2, 0, v2, vcc_lo
	v_cmp_nlt_f32_e32 vcc_lo, 0x42b17218, v5
	v_dual_sub_f32 v4, v13, v14 :: v_dual_mul_f32 v13, 0x3fb8aa3b, v11
	s_delay_alu instid0(VALU_DEP_3) | instskip(SKIP_1) | instid1(VALU_DEP_3)
	v_cndmask_b32_e32 v2, 0x7f800000, v2, vcc_lo
	v_cmp_ngt_f32_e32 vcc_lo, 0xc2ce8ed0, v16
	v_mul_f32_e32 v5, 0x3fb8aa3b, v4
	v_cndmask_b32_e32 v1, 0, v1, vcc_lo
	v_cmp_nlt_f32_e32 vcc_lo, 0x42b17218, v16
	v_add_f32_e32 v0, v0, v2
	v_cvt_i32_f32_e32 v2, v18
	s_delay_alu instid0(VALU_DEP_4) | instskip(SKIP_1) | instid1(VALU_DEP_2)
	v_cndmask_b32_e32 v1, 0x7f800000, v1, vcc_lo
	v_cmp_ngt_f32_e32 vcc_lo, 0xc2ce8ed0, v15
	v_add_f32_e32 v0, v0, v1
	v_fma_f32 v1, 0x3fb8aa3b, v4, -v5
	s_delay_alu instid0(VALU_DEP_1) | instskip(NEXT) | instid1(VALU_DEP_1)
	v_dual_add_f32 v6, v6, v17 :: v_dual_fmac_f32 v1, 0x32a5705f, v4
	v_exp_f32_e32 v3, v6
	v_sub_f32_e32 v6, v12, v14
	v_fma_f32 v14, 0x3fb8aa3b, v11, -v13
	s_delay_alu instid0(VALU_DEP_1) | instskip(SKIP_3) | instid1(VALU_DEP_1)
	v_fmac_f32_e32 v14, 0x32a5705f, v11
	s_waitcnt_depctr 0xfff
	v_ldexp_f32 v2, v3, v2
	v_rndne_f32_e32 v3, v5
	v_dual_cndmask_b32 v2, 0, v2 :: v_dual_sub_f32 v5, v5, v3
	v_cmp_nlt_f32_e32 vcc_lo, 0x42b17218, v15
	v_cvt_i32_f32_e32 v3, v3
	v_rndne_f32_e32 v15, v13
	s_delay_alu instid0(VALU_DEP_4) | instskip(SKIP_1) | instid1(VALU_DEP_2)
	v_dual_add_f32 v1, v5, v1 :: v_dual_cndmask_b32 v2, 0x7f800000, v2
	v_cmp_ngt_f32_e32 vcc_lo, 0xc2ce8ed0, v4
	v_exp_f32_e32 v1, v1
	s_waitcnt_depctr 0xfff
	v_ldexp_f32 v1, v1, v3
	s_delay_alu instid0(VALU_DEP_1) | instskip(NEXT) | instid1(VALU_DEP_1)
	v_dual_mul_f32 v12, 0x3fb8aa3b, v6 :: v_dual_cndmask_b32 v1, 0, v1
	v_rndne_f32_e32 v5, v12
	v_cmp_nlt_f32_e32 vcc_lo, 0x42b17218, v4
	v_add_f32_e32 v0, v0, v2
	v_fma_f32 v2, 0x3fb8aa3b, v6, -v12
	v_cvt_i32_f32_e32 v4, v15
	v_sub_f32_e32 v12, v12, v5
	v_cndmask_b32_e32 v1, 0x7f800000, v1, vcc_lo
	v_cvt_i32_f32_e32 v5, v5
	v_fmac_f32_e32 v2, 0x32a5705f, v6
	s_delay_alu instid0(VALU_DEP_3) | instskip(NEXT) | instid1(VALU_DEP_2)
	v_add_f32_e32 v0, v0, v1
	v_add_f32_e32 v2, v12, v2
	v_sub_f32_e32 v12, v13, v15
	v_mul_f32_e32 v16, 0x3fb8aa3b, v7
	s_delay_alu instid0(VALU_DEP_3) | instskip(NEXT) | instid1(VALU_DEP_2)
	v_exp_f32_e32 v2, v2
	v_add_f32_e32 v3, v12, v14
	s_delay_alu instid0(VALU_DEP_2) | instskip(SKIP_1) | instid1(VALU_DEP_3)
	v_fma_f32 v13, 0x3fb8aa3b, v7, -v16
	v_rndne_f32_e32 v17, v16
	v_exp_f32_e32 v3, v3
	s_delay_alu instid0(VALU_DEP_1) | instskip(SKIP_1) | instid1(TRANS32_DEP_2)
	v_dual_fmac_f32 v13, 0x32a5705f, v7 :: v_dual_sub_f32 v12, v16, v17
	v_cmp_ngt_f32_e32 vcc_lo, 0xc2ce8ed0, v6
	v_ldexp_f32 v2, v2, v5
	s_delay_alu instid0(VALU_DEP_3) | instskip(NEXT) | instid1(VALU_DEP_2)
	v_add_f32_e32 v12, v12, v13
	v_cndmask_b32_e32 v2, 0, v2, vcc_lo
	v_cmp_nlt_f32_e32 vcc_lo, 0x42b17218, v6
	s_delay_alu instid0(TRANS32_DEP_1) | instskip(NEXT) | instid1(VALU_DEP_4)
	v_ldexp_f32 v1, v3, v4
	v_exp_f32_e32 v5, v12
	v_cvt_i32_f32_e32 v3, v17
	v_cndmask_b32_e32 v2, 0x7f800000, v2, vcc_lo
	v_cmp_ngt_f32_e32 vcc_lo, 0xc2ce8ed0, v11
	s_delay_alu instid0(VALU_DEP_2)
	v_dual_add_f32 v0, v0, v2 :: v_dual_cndmask_b32 v1, 0, v1
	v_cmp_nlt_f32_e32 vcc_lo, 0x42b17218, v11
	s_waitcnt_depctr 0xfff
	v_ldexp_f32 v3, v5, v3
	v_cndmask_b32_e32 v1, 0x7f800000, v1, vcc_lo
	v_cmp_ngt_f32_e32 vcc_lo, 0xc2ce8ed0, v7
	s_delay_alu instid0(VALU_DEP_2) | instskip(NEXT) | instid1(VALU_DEP_4)
	v_add_f32_e32 v0, v0, v1
	v_cndmask_b32_e32 v2, 0, v3, vcc_lo
	v_cmp_nlt_f32_e32 vcc_lo, 0x42b17218, v7
	s_delay_alu instid0(VALU_DEP_2) | instskip(SKIP_1) | instid1(VALU_DEP_2)
	v_cndmask_b32_e32 v1, 0x7f800000, v2, vcc_lo
	v_cmp_eq_u32_e32 vcc_lo, 0, v9
	v_add_f32_e32 v0, v0, v1
	s_delay_alu instid0(VALU_DEP_1) | instskip(NEXT) | instid1(VALU_DEP_1)
	v_mov_b32_dpp v1, v0 quad_perm:[1,0,3,2] row_mask:0xf bank_mask:0xf
	v_add_f32_e32 v0, v0, v1
	s_delay_alu instid0(VALU_DEP_1) | instskip(NEXT) | instid1(VALU_DEP_1)
	v_mov_b32_dpp v1, v0 quad_perm:[2,3,0,1] row_mask:0xf bank_mask:0xf
	v_add_f32_e32 v0, v0, v1
	s_delay_alu instid0(VALU_DEP_1) | instskip(NEXT) | instid1(VALU_DEP_1)
	v_mov_b32_dpp v1, v0 row_half_mirror row_mask:0xf bank_mask:0xf
	v_add_f32_e32 v0, v0, v1
	s_delay_alu instid0(VALU_DEP_1)
	v_mov_b32_dpp v1, v0 row_mirror row_mask:0xf bank_mask:0xf
	s_and_b32 exec_lo, exec_lo, vcc_lo
	s_cbranch_execz .LBB195_23
; %bb.19:
	s_delay_alu instid0(VALU_DEP_1) | instskip(NEXT) | instid1(VALU_DEP_1)
	v_add_f32_e32 v0, v0, v1
	v_add_f32_e32 v0, v10, v0
	s_delay_alu instid0(VALU_DEP_1)
	v_cmp_neq_f32_e32 vcc_lo, 0, v0
	s_and_b32 exec_lo, exec_lo, vcc_lo
	s_cbranch_execz .LBB195_23
; %bb.20:
	s_and_not1_b32 vcc_lo, exec_lo, s3
	s_cbranch_vccnz .LBB195_23
; %bb.21:
	v_div_scale_f32 v2, null, v0, v0, 1.0
	v_div_scale_f32 v4, vcc_lo, 1.0, v0, 1.0
	s_delay_alu instid0(VALU_DEP_2) | instskip(SKIP_2) | instid1(VALU_DEP_1)
	v_rcp_f32_e32 v3, v2
	s_waitcnt_depctr 0xfff
	v_fma_f32 v1, -v2, v3, 1.0
	v_fmac_f32_e32 v3, v1, v3
	v_mul_lo_u32 v1, v8, s7
	s_delay_alu instid0(VALU_DEP_2) | instskip(NEXT) | instid1(VALU_DEP_1)
	v_mul_f32_e32 v5, v4, v3
	v_fma_f32 v6, -v2, v5, v4
	s_delay_alu instid0(VALU_DEP_1) | instskip(NEXT) | instid1(VALU_DEP_1)
	v_fmac_f32_e32 v5, v6, v3
	v_fma_f32 v4, -v2, v5, v4
	v_ashrrev_i32_e32 v2, 31, v1
	s_delay_alu instid0(VALU_DEP_2) | instskip(NEXT) | instid1(VALU_DEP_2)
	v_div_fmas_f32 v5, v4, v3, v5
	v_lshlrev_b64 v[3:4], 2, v[1:2]
	s_delay_alu instid0(VALU_DEP_2) | instskip(NEXT) | instid1(VALU_DEP_2)
	v_div_fixup_f32 v2, v5, v0, 1.0
	v_add_co_u32 v0, vcc_lo, s12, v3
	s_delay_alu instid0(VALU_DEP_3)
	v_add_co_ci_u32_e32 v1, vcc_lo, s13, v4, vcc_lo
.LBB195_22:                             ; =>This Inner Loop Header: Depth=1
	global_load_b32 v3, v[0:1], off
	s_add_i32 s4, s4, -1
	s_delay_alu instid0(SALU_CYCLE_1)
	s_cmp_lg_u32 s4, 0
	s_waitcnt vmcnt(0)
	v_mul_f32_e32 v3, v2, v3
	global_store_b32 v[0:1], v3, off
	v_add_co_u32 v0, vcc_lo, v0, 4
	v_add_co_ci_u32_e32 v1, vcc_lo, 0, v1, vcc_lo
	s_cbranch_scc1 .LBB195_22
.LBB195_23:
	s_nop 0
	s_sendmsg sendmsg(MSG_DEALLOC_VGPRS)
	s_endpgm
	.section	.rodata,"a",@progbits
	.p2align	6, 0x0
	.amdhsa_kernel _ZN4vllm3moe17topkGatingSoftmaxIDF16_Li16ELi256ELi8ELi32ELb0ELi8ELNS0_23SharedExpertScoringFuncE1EEEvPKT_PKbPfiPiS9_iiiiii
		.amdhsa_group_segment_fixed_size 0
		.amdhsa_private_segment_fixed_size 0
		.amdhsa_kernarg_size 72
		.amdhsa_user_sgpr_count 15
		.amdhsa_user_sgpr_dispatch_ptr 0
		.amdhsa_user_sgpr_queue_ptr 0
		.amdhsa_user_sgpr_kernarg_segment_ptr 1
		.amdhsa_user_sgpr_dispatch_id 0
		.amdhsa_user_sgpr_private_segment_size 0
		.amdhsa_wavefront_size32 1
		.amdhsa_uses_dynamic_stack 0
		.amdhsa_enable_private_segment 0
		.amdhsa_system_sgpr_workgroup_id_x 1
		.amdhsa_system_sgpr_workgroup_id_y 0
		.amdhsa_system_sgpr_workgroup_id_z 0
		.amdhsa_system_sgpr_workgroup_info 0
		.amdhsa_system_vgpr_workitem_id 1
		.amdhsa_next_free_vgpr 53
		.amdhsa_next_free_sgpr 19
		.amdhsa_reserve_vcc 1
		.amdhsa_float_round_mode_32 0
		.amdhsa_float_round_mode_16_64 0
		.amdhsa_float_denorm_mode_32 3
		.amdhsa_float_denorm_mode_16_64 3
		.amdhsa_dx10_clamp 1
		.amdhsa_ieee_mode 1
		.amdhsa_fp16_overflow 0
		.amdhsa_workgroup_processor_mode 1
		.amdhsa_memory_ordered 1
		.amdhsa_forward_progress 0
		.amdhsa_shared_vgpr_count 0
		.amdhsa_exception_fp_ieee_invalid_op 0
		.amdhsa_exception_fp_denorm_src 0
		.amdhsa_exception_fp_ieee_div_zero 0
		.amdhsa_exception_fp_ieee_overflow 0
		.amdhsa_exception_fp_ieee_underflow 0
		.amdhsa_exception_fp_ieee_inexact 0
		.amdhsa_exception_int_div_zero 0
	.end_amdhsa_kernel
	.section	.text._ZN4vllm3moe17topkGatingSoftmaxIDF16_Li16ELi256ELi8ELi32ELb0ELi8ELNS0_23SharedExpertScoringFuncE1EEEvPKT_PKbPfiPiS9_iiiiii,"axG",@progbits,_ZN4vllm3moe17topkGatingSoftmaxIDF16_Li16ELi256ELi8ELi32ELb0ELi8ELNS0_23SharedExpertScoringFuncE1EEEvPKT_PKbPfiPiS9_iiiiii,comdat
.Lfunc_end195:
	.size	_ZN4vllm3moe17topkGatingSoftmaxIDF16_Li16ELi256ELi8ELi32ELb0ELi8ELNS0_23SharedExpertScoringFuncE1EEEvPKT_PKbPfiPiS9_iiiiii, .Lfunc_end195-_ZN4vllm3moe17topkGatingSoftmaxIDF16_Li16ELi256ELi8ELi32ELb0ELi8ELNS0_23SharedExpertScoringFuncE1EEEvPKT_PKbPfiPiS9_iiiiii
                                        ; -- End function
	.section	.AMDGPU.csdata,"",@progbits
; Kernel info:
; codeLenInByte = 5688
; NumSgprs: 21
; NumVgprs: 53
; ScratchSize: 0
; MemoryBound: 0
; FloatMode: 240
; IeeeMode: 1
; LDSByteSize: 0 bytes/workgroup (compile time only)
; SGPRBlocks: 2
; VGPRBlocks: 6
; NumSGPRsForWavesPerEU: 21
; NumVGPRsForWavesPerEU: 53
; Occupancy: 16
; WaveLimiterHint : 0
; COMPUTE_PGM_RSRC2:SCRATCH_EN: 0
; COMPUTE_PGM_RSRC2:USER_SGPR: 15
; COMPUTE_PGM_RSRC2:TRAP_HANDLER: 0
; COMPUTE_PGM_RSRC2:TGID_X_EN: 1
; COMPUTE_PGM_RSRC2:TGID_Y_EN: 0
; COMPUTE_PGM_RSRC2:TGID_Z_EN: 0
; COMPUTE_PGM_RSRC2:TIDIG_COMP_CNT: 1
	.section	.text._ZN4vllm3moe17topkGatingSoftmaxIDF16_Li32ELi512ELi2ELi64ELb1ELi0ELNS0_23SharedExpertScoringFuncE0EEEvPKT_PKbPfiPiS9_iiiiii,"axG",@progbits,_ZN4vllm3moe17topkGatingSoftmaxIDF16_Li32ELi512ELi2ELi64ELb1ELi0ELNS0_23SharedExpertScoringFuncE0EEEvPKT_PKbPfiPiS9_iiiiii,comdat
	.protected	_ZN4vllm3moe17topkGatingSoftmaxIDF16_Li32ELi512ELi2ELi64ELb1ELi0ELNS0_23SharedExpertScoringFuncE0EEEvPKT_PKbPfiPiS9_iiiiii ; -- Begin function _ZN4vllm3moe17topkGatingSoftmaxIDF16_Li32ELi512ELi2ELi64ELb1ELi0ELNS0_23SharedExpertScoringFuncE0EEEvPKT_PKbPfiPiS9_iiiiii
	.globl	_ZN4vllm3moe17topkGatingSoftmaxIDF16_Li32ELi512ELi2ELi64ELb1ELi0ELNS0_23SharedExpertScoringFuncE0EEEvPKT_PKbPfiPiS9_iiiiii
	.p2align	8
	.type	_ZN4vllm3moe17topkGatingSoftmaxIDF16_Li32ELi512ELi2ELi64ELb1ELi0ELNS0_23SharedExpertScoringFuncE0EEEvPKT_PKbPfiPiS9_iiiiii,@function
_ZN4vllm3moe17topkGatingSoftmaxIDF16_Li32ELi512ELi2ELi64ELb1ELi0ELNS0_23SharedExpertScoringFuncE0EEEvPKT_PKbPfiPiS9_iiiiii: ; @_ZN4vllm3moe17topkGatingSoftmaxIDF16_Li32ELi512ELi2ELi64ELb1ELi0ELNS0_23SharedExpertScoringFuncE0EEEvPKT_PKbPfiPiS9_iiiiii
; %bb.0:
	s_load_b32 s16, s[0:1], 0x18
	v_bfe_u32 v1, v0, 10, 10
	v_and_b32_e32 v0, 0x3ff, v0
	s_lshl_b32 s18, s15, 2
	s_mov_b32 s2, exec_lo
	s_delay_alu instid0(VALU_DEP_2) | instskip(NEXT) | instid1(VALU_DEP_2)
	v_lshlrev_b32_e32 v24, 1, v1
	v_lshrrev_b32_e32 v25, 4, v0
	s_delay_alu instid0(VALU_DEP_1) | instskip(SKIP_1) | instid1(VALU_DEP_1)
	v_add3_u32 v7, s18, v24, v25
	s_waitcnt lgkmcnt(0)
	v_cmpx_gt_i32_e64 s16, v7
	s_cbranch_execz .LBB196_20
; %bb.1:
	s_clause 0x1
	s_load_b128 s[4:7], s[0:1], 0x0
	s_load_b64 s[12:13], s[0:1], 0x10
	s_waitcnt lgkmcnt(0)
	s_cmp_eq_u64 s[6:7], 0
	s_cbranch_scc1 .LBB196_3
; %bb.2:
	v_ashrrev_i32_e32 v2, 31, v7
	v_add_co_u32 v1, vcc_lo, s6, v7
	s_delay_alu instid0(VALU_DEP_2) | instskip(SKIP_3) | instid1(VALU_DEP_1)
	v_add_co_ci_u32_e32 v2, vcc_lo, s7, v2, vcc_lo
	global_load_u8 v1, v[1:2], off
	s_waitcnt vmcnt(0)
	v_and_b32_e32 v1, 1, v1
	v_cmp_eq_u32_e32 vcc_lo, 1, v1
	s_xor_b32 s2, vcc_lo, -1
	s_delay_alu instid0(SALU_CYCLE_1)
	s_or_not1_b32 s17, s2, exec_lo
	s_branch .LBB196_4
.LBB196_3:
	s_mov_b32 s17, -1
.LBB196_4:
	s_load_b64 s[14:15], s[0:1], 0x40
	v_and_b32_e32 v8, 15, v0
	s_waitcnt lgkmcnt(0)
	v_mul_lo_u32 v1, v7, s15
	s_delay_alu instid0(VALU_DEP_1) | instskip(NEXT) | instid1(VALU_DEP_1)
	v_ashrrev_i32_e32 v2, 31, v1
	v_lshlrev_b64 v[0:1], 1, v[1:2]
	v_lshlrev_b32_e32 v2, 6, v8
	s_delay_alu instid0(VALU_DEP_2) | instskip(NEXT) | instid1(VALU_DEP_3)
	v_add_co_u32 v0, vcc_lo, s4, v0
	v_add_co_ci_u32_e32 v1, vcc_lo, s5, v1, vcc_lo
	s_load_b128 s[4:7], s[0:1], 0x30
	s_delay_alu instid0(VALU_DEP_2) | instskip(NEXT) | instid1(VALU_DEP_2)
	v_add_co_u32 v4, vcc_lo, v0, v2
	v_add_co_ci_u32_e32 v5, vcc_lo, 0, v1, vcc_lo
	s_clause 0x3
	global_load_b128 v[0:3], v[4:5], off offset:32
	global_load_b128 v[9:12], v[4:5], off offset:48
	global_load_b128 v[13:16], v[4:5], off
	global_load_b128 v[20:23], v[4:5], off offset:16
	s_waitcnt vmcnt(3)
	v_lshrrev_b32_e32 v5, 16, v1
	v_cvt_f32_f16_e32 v30, v1
	v_lshrrev_b32_e32 v1, 16, v2
	v_lshrrev_b32_e32 v6, 16, v3
	v_lshrrev_b32_e32 v4, 16, v0
	v_cvt_f32_f16_e32 v28, v0
	v_cvt_f32_f16_e32 v0, v2
	;; [unrolled: 1-line block ×7, first 2 shown]
	s_clause 0x1
	scratch_store_b128 off, v[0:3], off offset:80
	scratch_store_b128 off, v[28:31], off offset:64
	scratch_load_b128 v[0:3], off, off offset:68
	s_waitcnt vmcnt(3)
	v_lshrrev_b32_e32 v4, 16, v9
	v_lshrrev_b32_e32 v5, 16, v10
	v_cvt_f32_f16_e32 v29, v9
	v_cvt_f32_f16_e32 v31, v10
	v_lshrrev_b32_e32 v6, 16, v11
	v_lshrrev_b32_e32 v17, 16, v12
	v_cvt_f32_f16_e32 v30, v4
	v_cvt_f32_f16_e32 v32, v5
	;; [unrolled: 1-line block ×6, first 2 shown]
	scratch_store_b128 off, v[29:32], off offset:96
	scratch_load_b128 v[33:36], off, off offset:84
	s_waitcnt vmcnt(3)
	v_cvt_f32_f16_e32 v44, v13
	v_cvt_f32_f16_e32 v46, v14
	scratch_store_b128 off, v[9:12], off offset:112
	s_clause 0x1
	scratch_load_b128 v[37:40], off, off offset:100
	scratch_load_b96 v[4:6], off, off offset:116
	v_lshrrev_b32_e32 v11, 16, v13
	v_lshrrev_b32_e32 v14, 16, v14
	v_cvt_f32_f16_e32 v48, v15
	v_lshrrev_b32_e32 v15, 16, v15
	v_cvt_f32_f16_e32 v50, v16
	v_cvt_f32_f16_e32 v45, v11
	v_cmp_lt_f16_e32 vcc_lo, v13, v11
	v_cvt_f32_f16_e32 v47, v14
	v_cvt_f32_f16_e32 v49, v15
	v_lshrrev_b32_e32 v16, 16, v16
	s_waitcnt vmcnt(4)
	v_cvt_f32_f16_e32 v52, v20
	v_cndmask_b32_e32 v13, v44, v45, vcc_lo
	v_lshlrev_b32_e32 v9, 5, v8
	v_lshrrev_b32_e32 v20, 16, v20
	v_cvt_f32_f16_e32 v51, v16
	v_cvt_f32_f16_e32 v54, v21
	v_lshrrev_b32_e32 v21, 16, v21
	v_or_b32_e32 v10, 1, v9
	v_or_b32_e32 v11, 2, v9
	v_cvt_f32_f16_e32 v53, v20
	v_cvt_f32_f16_e32 v56, v22
	;; [unrolled: 1-line block ×3, first 2 shown]
	v_cndmask_b32_e32 v12, v9, v10, vcc_lo
	v_cmp_lt_f32_e32 vcc_lo, v13, v46
	v_lshrrev_b32_e32 v22, 16, v22
	v_cvt_f32_f16_e32 v58, v23
	v_lshrrev_b32_e32 v29, 16, v23
	v_dual_cndmask_b32 v13, v13, v46 :: v_dual_cndmask_b32 v14, v12, v11
	v_or_b32_e32 v12, 3, v9
	v_or_b32_e32 v16, 7, v9
	v_cvt_f32_f16_e32 v57, v22
	s_delay_alu instid0(VALU_DEP_4)
	v_cmp_lt_f32_e32 vcc_lo, v13, v47
	v_or_b32_e32 v22, 13, v9
	v_or_b32_e32 v23, 14, v9
	v_cvt_f32_f16_e32 v59, v29
	v_or_b32_e32 v32, 21, v9
	v_dual_cndmask_b32 v14, v14, v12 :: v_dual_cndmask_b32 v17, v13, v47
	v_or_b32_e32 v13, 4, v9
	v_or_b32_e32 v41, 30, v9
	v_or_b32_e32 v42, 31, v9
	s_clause 0x1
	scratch_store_b128 off, v[56:59], off offset:48
	scratch_store_b128 off, v[52:55], off offset:32
	v_cmp_lt_f32_e32 vcc_lo, v17, v48
	s_clause 0x1
	scratch_store_b128 off, v[48:51], off offset:16
	scratch_store_b128 off, v[44:47], off
	v_cndmask_b32_e32 v15, v14, v13, vcc_lo
	v_or_b32_e32 v14, 5, v9
	v_cndmask_b32_e32 v17, v17, v48, vcc_lo
	s_delay_alu instid0(VALU_DEP_1) | instskip(NEXT) | instid1(VALU_DEP_3)
	v_cmp_lt_f32_e32 vcc_lo, v17, v49
	v_cndmask_b32_e32 v18, v15, v14, vcc_lo
	v_or_b32_e32 v15, 6, v9
	v_cndmask_b32_e32 v17, v17, v49, vcc_lo
	s_delay_alu instid0(VALU_DEP_1) | instskip(NEXT) | instid1(VALU_DEP_3)
	v_cmp_lt_f32_e32 vcc_lo, v17, v50
	v_dual_cndmask_b32 v18, v18, v15 :: v_dual_cndmask_b32 v17, v17, v50
	s_delay_alu instid0(VALU_DEP_1) | instskip(NEXT) | instid1(VALU_DEP_2)
	v_cmp_lt_f32_e32 vcc_lo, v17, v51
	v_dual_cndmask_b32 v18, v18, v16 :: v_dual_cndmask_b32 v19, v17, v51
	v_or_b32_e32 v17, 8, v9
	s_delay_alu instid0(VALU_DEP_2) | instskip(NEXT) | instid1(VALU_DEP_2)
	v_cmp_lt_f32_e32 vcc_lo, v19, v52
	v_cndmask_b32_e32 v20, v18, v17, vcc_lo
	v_or_b32_e32 v18, 9, v9
	v_cndmask_b32_e32 v19, v19, v52, vcc_lo
	s_delay_alu instid0(VALU_DEP_1) | instskip(NEXT) | instid1(VALU_DEP_3)
	v_cmp_lt_f32_e32 vcc_lo, v19, v53
	v_cndmask_b32_e32 v20, v20, v18, vcc_lo
	v_cndmask_b32_e32 v26, v19, v53, vcc_lo
	v_or_b32_e32 v19, 10, v9
	s_delay_alu instid0(VALU_DEP_2) | instskip(NEXT) | instid1(VALU_DEP_2)
	v_cmp_lt_f32_e32 vcc_lo, v26, v54
	v_cndmask_b32_e32 v21, v20, v19, vcc_lo
	v_or_b32_e32 v20, 11, v9
	v_cndmask_b32_e32 v26, v26, v54, vcc_lo
	s_delay_alu instid0(VALU_DEP_1) | instskip(NEXT) | instid1(VALU_DEP_3)
	v_cmp_lt_f32_e32 vcc_lo, v26, v55
	v_cndmask_b32_e32 v27, v21, v20, vcc_lo
	v_or_b32_e32 v21, 12, v9
	v_cndmask_b32_e32 v26, v26, v55, vcc_lo
	s_delay_alu instid0(VALU_DEP_1) | instskip(NEXT) | instid1(VALU_DEP_3)
	v_cmp_lt_f32_e32 vcc_lo, v26, v56
	v_dual_cndmask_b32 v27, v27, v21 :: v_dual_cndmask_b32 v26, v26, v56
	s_delay_alu instid0(VALU_DEP_1) | instskip(NEXT) | instid1(VALU_DEP_2)
	v_cmp_lt_f32_e32 vcc_lo, v26, v57
	v_dual_cndmask_b32 v27, v27, v22 :: v_dual_cndmask_b32 v26, v26, v57
	s_delay_alu instid0(VALU_DEP_1) | instskip(NEXT) | instid1(VALU_DEP_2)
	v_cmp_lt_f32_e32 vcc_lo, v26, v58
	v_cndmask_b32_e32 v27, v27, v23, vcc_lo
	v_cndmask_b32_e32 v29, v26, v58, vcc_lo
	v_or_b32_e32 v26, 15, v9
	s_delay_alu instid0(VALU_DEP_2) | instskip(NEXT) | instid1(VALU_DEP_2)
	v_cmp_lt_f32_e32 vcc_lo, v29, v59
	v_dual_cndmask_b32 v30, v27, v26 :: v_dual_cndmask_b32 v29, v29, v59
	v_or_b32_e32 v27, 16, v9
	s_delay_alu instid0(VALU_DEP_2) | instskip(NEXT) | instid1(VALU_DEP_2)
	v_cmp_lt_f32_e32 vcc_lo, v29, v28
	v_dual_cndmask_b32 v30, v30, v27 :: v_dual_cndmask_b32 v29, v29, v28
	v_or_b32_e32 v28, 17, v9
	s_waitcnt vmcnt(3)
	s_delay_alu instid0(VALU_DEP_2) | instskip(NEXT) | instid1(VALU_DEP_2)
	v_cmp_lt_f32_e32 vcc_lo, v29, v0
	v_cndmask_b32_e32 v30, v30, v28, vcc_lo
	v_cndmask_b32_e32 v0, v29, v0, vcc_lo
	v_or_b32_e32 v29, 18, v9
	s_delay_alu instid0(VALU_DEP_2) | instskip(NEXT) | instid1(VALU_DEP_2)
	v_cmp_lt_f32_e32 vcc_lo, v0, v1
	v_cndmask_b32_e32 v31, v30, v29, vcc_lo
	v_cndmask_b32_e32 v0, v0, v1, vcc_lo
	v_or_b32_e32 v30, 19, v9
	s_delay_alu instid0(VALU_DEP_2) | instskip(SKIP_1) | instid1(VALU_DEP_3)
	v_cmp_lt_f32_e32 vcc_lo, v0, v2
	v_cndmask_b32_e32 v0, v0, v2, vcc_lo
	v_cndmask_b32_e32 v1, v31, v30, vcc_lo
	v_or_b32_e32 v31, 20, v9
	s_delay_alu instid0(VALU_DEP_3) | instskip(SKIP_1) | instid1(VALU_DEP_3)
	v_cmp_lt_f32_e32 vcc_lo, v0, v3
	v_cndmask_b32_e32 v0, v0, v3, vcc_lo
	v_cndmask_b32_e32 v1, v1, v31, vcc_lo
	s_waitcnt vmcnt(2)
	s_delay_alu instid0(VALU_DEP_2) | instskip(NEXT) | instid1(VALU_DEP_2)
	v_cmp_lt_f32_e32 vcc_lo, v0, v33
	v_dual_cndmask_b32 v0, v0, v33 :: v_dual_cndmask_b32 v1, v1, v32
	v_or_b32_e32 v33, 22, v9
	s_delay_alu instid0(VALU_DEP_2) | instskip(NEXT) | instid1(VALU_DEP_2)
	v_cmp_lt_f32_e32 vcc_lo, v0, v34
	v_dual_cndmask_b32 v1, v1, v33 :: v_dual_cndmask_b32 v0, v0, v34
	v_or_b32_e32 v34, 23, v9
	;; [unrolled: 4-line block ×4, first 2 shown]
	s_waitcnt vmcnt(1)
	s_delay_alu instid0(VALU_DEP_2) | instskip(NEXT) | instid1(VALU_DEP_2)
	v_cmp_lt_f32_e32 vcc_lo, v0, v37
	v_dual_cndmask_b32 v0, v0, v37 :: v_dual_cndmask_b32 v1, v1, v36
	v_or_b32_e32 v37, 26, v9
	s_delay_alu instid0(VALU_DEP_2) | instskip(NEXT) | instid1(VALU_DEP_2)
	v_cmp_lt_f32_e32 vcc_lo, v0, v38
	v_dual_cndmask_b32 v1, v1, v37 :: v_dual_cndmask_b32 v0, v0, v38
	v_or_b32_e32 v38, 27, v9
	;; [unrolled: 4-line block ×4, first 2 shown]
	s_waitcnt vmcnt(0)
	s_delay_alu instid0(VALU_DEP_2) | instskip(NEXT) | instid1(VALU_DEP_2)
	v_cmp_lt_f32_e32 vcc_lo, v0, v4
	v_cndmask_b32_e32 v1, v1, v40, vcc_lo
	v_cndmask_b32_e32 v0, v0, v4, vcc_lo
	s_delay_alu instid0(VALU_DEP_1) | instskip(NEXT) | instid1(VALU_DEP_3)
	v_cmp_lt_f32_e32 vcc_lo, v0, v5
	v_cndmask_b32_e32 v1, v1, v41, vcc_lo
	v_cndmask_b32_e32 v0, v0, v5, vcc_lo
	s_delay_alu instid0(VALU_DEP_1) | instskip(NEXT) | instid1(VALU_DEP_3)
	v_cmp_lt_f32_e32 vcc_lo, v0, v6
	v_cndmask_b32_e32 v1, v1, v42, vcc_lo
	v_cndmask_b32_e32 v0, v0, v6, vcc_lo
	v_mov_b32_e32 v6, 0
	s_delay_alu instid0(VALU_DEP_3) | instskip(NEXT) | instid1(VALU_DEP_3)
	v_mov_b32_dpp v2, v1 quad_perm:[1,0,3,2] row_mask:0xf bank_mask:0xf
	v_mov_b32_dpp v3, v0 quad_perm:[1,0,3,2] row_mask:0xf bank_mask:0xf
	s_delay_alu instid0(VALU_DEP_2) | instskip(NEXT) | instid1(VALU_DEP_2)
	v_cmp_lt_i32_e32 vcc_lo, v2, v1
	v_cmp_eq_f32_e64 s2, v0, v3
	v_cmp_lt_f32_e64 s3, v0, v3
	s_delay_alu instid0(VALU_DEP_2)
	s_and_b32 s2, s2, vcc_lo
	s_delay_alu instid0(VALU_DEP_1) | instid1(SALU_CYCLE_1)
	s_or_b32 vcc_lo, s3, s2
	v_dual_cndmask_b32 v0, v0, v3 :: v_dual_cndmask_b32 v1, v1, v2
	s_delay_alu instid0(VALU_DEP_1) | instskip(NEXT) | instid1(VALU_DEP_2)
	v_mov_b32_dpp v2, v0 quad_perm:[2,3,0,1] row_mask:0xf bank_mask:0xf
	v_mov_b32_dpp v3, v1 quad_perm:[2,3,0,1] row_mask:0xf bank_mask:0xf
	s_delay_alu instid0(VALU_DEP_2) | instskip(NEXT) | instid1(VALU_DEP_2)
	v_cmp_eq_f32_e32 vcc_lo, v0, v2
	v_cmp_lt_i32_e64 s2, v3, v1
	v_cmp_lt_f32_e64 s3, v0, v2
	s_delay_alu instid0(VALU_DEP_2)
	s_and_b32 s2, vcc_lo, s2
	s_delay_alu instid0(VALU_DEP_1) | instid1(SALU_CYCLE_1)
	s_or_b32 vcc_lo, s3, s2
	v_dual_cndmask_b32 v0, v0, v2 :: v_dual_cndmask_b32 v1, v1, v3
	s_delay_alu instid0(VALU_DEP_1) | instskip(NEXT) | instid1(VALU_DEP_2)
	v_mov_b32_dpp v2, v0 row_half_mirror row_mask:0xf bank_mask:0xf
	v_mov_b32_dpp v3, v1 row_half_mirror row_mask:0xf bank_mask:0xf
	s_delay_alu instid0(VALU_DEP_2) | instskip(NEXT) | instid1(VALU_DEP_2)
	v_cmp_eq_f32_e32 vcc_lo, v0, v2
	v_cmp_lt_i32_e64 s2, v3, v1
	v_cmp_lt_f32_e64 s3, v0, v2
	s_delay_alu instid0(VALU_DEP_2)
	s_and_b32 s2, vcc_lo, s2
	s_delay_alu instid0(VALU_DEP_1) | instid1(SALU_CYCLE_1)
	s_or_b32 vcc_lo, s3, s2
	s_waitcnt lgkmcnt(0)
	s_cmp_gt_i32 s4, 0
	v_cndmask_b32_e32 v2, v0, v2, vcc_lo
	v_cndmask_b32_e32 v0, v1, v3, vcc_lo
	v_cmp_eq_u32_e32 vcc_lo, 0, v8
	s_cselect_b32 s3, -1, 0
	s_cmp_lt_i32 s4, 1
	v_mov_b32_dpp v4, v2 row_mirror row_mask:0xf bank_mask:0xf
	v_mov_b32_dpp v43, v0 row_mirror row_mask:0xf bank_mask:0xf
	s_cbranch_scc1 .LBB196_16
; %bb.5:
	s_load_b128 s[8:11], s[0:1], 0x20
	s_delay_alu instid0(VALU_DEP_2) | instskip(NEXT) | instid1(VALU_DEP_2)
	v_cmp_eq_f32_e64 s0, v2, v4
	v_cmp_lt_i32_e64 s1, v43, v0
	v_cmp_lt_f32_e64 s2, v2, v4
	v_mul_lo_u32 v1, v7, s7
	v_mul_lo_u32 v3, v7, s14
	;; [unrolled: 1-line block ×3, first 2 shown]
	s_and_b32 s0, s0, s1
	v_mov_b32_e32 v6, 0
	s_or_b32 s0, s2, s0
	s_delay_alu instid0(SALU_CYCLE_1)
	v_cndmask_b32_e64 v0, v0, v43, s0
	v_cndmask_b32_e64 v43, v2, v4, s0
	s_and_saveexec_b32 s2, vcc_lo
	s_cbranch_execz .LBB196_7
; %bb.6:
	s_delay_alu instid0(VALU_DEP_1)
	v_sub_f32_e32 v50, v43, v43
	v_cmp_le_i32_e64 s0, s5, v0
	v_cmp_gt_i32_e64 s1, s6, v0
	v_subrev_nc_u32_e32 v51, s5, v0
	v_ashrrev_i32_e32 v6, 31, v5
	v_mul_f32_e32 v2, 0x3fb8aa3b, v50
	s_delay_alu instid0(VALU_DEP_4) | instskip(NEXT) | instid1(SALU_CYCLE_1)
	s_and_b32 s0, s0, s1
	s_and_b32 s0, s17, s0
	s_delay_alu instid0(VALU_DEP_1) | instskip(SKIP_2) | instid1(VALU_DEP_3)
	v_rndne_f32_e32 v46, v2
	v_fma_f32 v4, 0x3fb8aa3b, v50, -v2
	v_lshlrev_b64 v[48:49], 2, v[5:6]
	v_sub_f32_e32 v2, v2, v46
	s_delay_alu instid0(VALU_DEP_3) | instskip(NEXT) | instid1(VALU_DEP_1)
	v_fmamk_f32 v4, v50, 0x32a5705f, v4
	v_add_f32_e32 v4, v2, v4
	v_ashrrev_i32_e32 v2, 31, v1
	s_delay_alu instid0(VALU_DEP_2) | instskip(NEXT) | instid1(VALU_DEP_1)
	v_exp_f32_e32 v52, v4
	v_lshlrev_b64 v[44:45], 2, v[1:2]
	v_ashrrev_i32_e32 v4, 31, v3
	v_cvt_i32_f32_e32 v2, v46
	s_delay_alu instid0(VALU_DEP_2) | instskip(SKIP_2) | instid1(VALU_DEP_1)
	v_lshlrev_b64 v[46:47], 2, v[3:4]
	v_cndmask_b32_e64 v4, 0x200, v51, s0
	v_add_co_u32 v44, s0, s12, v44
	v_add_co_ci_u32_e64 v45, s0, s13, v45, s0
	s_delay_alu instid0(TRANS32_DEP_1) | instskip(SKIP_1) | instid1(VALU_DEP_1)
	v_ldexp_f32 v2, v52, v2
	v_cmp_ngt_f32_e64 s0, 0xc2ce8ed0, v50
	v_cndmask_b32_e64 v2, 0, v2, s0
	s_waitcnt lgkmcnt(0)
	v_add_co_u32 v46, s0, s8, v46
	s_delay_alu instid0(VALU_DEP_1) | instskip(SKIP_1) | instid1(VALU_DEP_1)
	v_add_co_ci_u32_e64 v47, s0, s9, v47, s0
	v_cmp_nlt_f32_e64 s0, 0x42b17218, v50
	v_cndmask_b32_e64 v6, 0x7f800000, v2, s0
	v_add_co_u32 v48, s0, s10, v48
	s_delay_alu instid0(VALU_DEP_1)
	v_add_co_ci_u32_e64 v49, s0, s11, v49, s0
	global_store_b32 v[46:47], v4, off
	global_store_b32 v[44:45], v6, off
	;; [unrolled: 1-line block ×3, first 2 shown]
.LBB196_7:
	s_or_b32 exec_lo, exec_lo, s2
	v_ashrrev_i32_e32 v4, 31, v0
	s_mov_b32 s1, exec_lo
	s_delay_alu instid0(VALU_DEP_1) | instskip(NEXT) | instid1(VALU_DEP_1)
	v_lshrrev_b32_e32 v2, 27, v4
	v_add_nc_u32_e32 v2, v0, v2
	s_delay_alu instid0(VALU_DEP_1) | instskip(NEXT) | instid1(VALU_DEP_1)
	v_ashrrev_i32_e32 v2, 5, v2
	v_lshrrev_b32_e32 v44, 28, v2
	s_delay_alu instid0(VALU_DEP_1) | instskip(NEXT) | instid1(VALU_DEP_1)
	v_add_nc_u32_e32 v44, v2, v44
	v_and_b32_e32 v44, -16, v44
	s_delay_alu instid0(VALU_DEP_1) | instskip(NEXT) | instid1(VALU_DEP_1)
	v_sub_nc_u32_e32 v44, v2, v44
	v_cmpx_eq_u32_e64 v8, v44
	s_cbranch_execz .LBB196_9
; %bb.8:
	v_lshrrev_b32_e32 v4, 23, v4
	v_lshlrev_b32_e32 v2, 5, v2
	s_delay_alu instid0(VALU_DEP_2) | instskip(NEXT) | instid1(VALU_DEP_2)
	v_add_nc_u32_e32 v4, v0, v4
	v_sub_nc_u32_e32 v0, v0, v2
	s_delay_alu instid0(VALU_DEP_2) | instskip(NEXT) | instid1(VALU_DEP_1)
	v_ashrrev_i32_e32 v2, 9, v4
	v_lshl_add_u32 v0, v2, 5, v0
	v_mov_b32_e32 v2, 0xff800000
	s_delay_alu instid0(VALU_DEP_2)
	v_lshl_add_u32 v0, v0, 2, 0
	scratch_store_b32 v0, v2, off
.LBB196_9:
	s_or_b32 exec_lo, exec_lo, s1
	s_cmp_eq_u32 s4, 1
	s_cbranch_scc1 .LBB196_16
; %bb.10:
	s_add_i32 s18, s18, s16
	v_add_nc_u32_e32 v0, 1, v5
	v_add3_u32 v24, s18, v25, v24
	v_dual_mov_b32 v25, 0xff800000 :: v_dual_add_nc_u32 v2, 1, v3
	v_add_nc_u32_e32 v4, 1, v1
	s_add_i32 s14, s4, -1
	s_branch .LBB196_12
.LBB196_11:                             ;   in Loop: Header=BB196_12 Depth=1
	s_or_b32 exec_lo, exec_lo, s1
	v_add_nc_u32_e32 v24, s16, v24
	v_add_nc_u32_e32 v0, 1, v0
	;; [unrolled: 1-line block ×4, first 2 shown]
	s_add_i32 s14, s14, -1
	s_delay_alu instid0(SALU_CYCLE_1)
	s_cmp_eq_u32 s14, 0
	s_cbranch_scc1 .LBB196_16
.LBB196_12:                             ; =>This Inner Loop Header: Depth=1
	s_clause 0x7
	scratch_load_b128 v[44:47], off, off
	scratch_load_b128 v[48:51], off, off offset:16
	scratch_load_b128 v[52:55], off, off offset:32
	;; [unrolled: 1-line block ×7, first 2 shown]
	s_waitcnt vmcnt(7)
	v_cmp_gt_f32_e64 s0, v45, v44
	s_delay_alu instid0(VALU_DEP_1) | instskip(SKIP_1) | instid1(VALU_DEP_2)
	v_cndmask_b32_e64 v3, v44, v45, s0
	v_cndmask_b32_e64 v1, v9, v10, s0
	v_cmp_gt_f32_e64 s0, v46, v3
	s_delay_alu instid0(VALU_DEP_1) | instskip(NEXT) | instid1(VALU_DEP_3)
	v_cndmask_b32_e64 v3, v3, v46, s0
	v_cndmask_b32_e64 v1, v1, v11, s0
	s_delay_alu instid0(VALU_DEP_2) | instskip(NEXT) | instid1(VALU_DEP_1)
	v_cmp_gt_f32_e64 s0, v47, v3
	v_cndmask_b32_e64 v3, v3, v47, s0
	s_delay_alu instid0(VALU_DEP_3) | instskip(SKIP_1) | instid1(VALU_DEP_2)
	v_cndmask_b32_e64 v1, v1, v12, s0
	s_waitcnt vmcnt(6)
	v_cmp_gt_f32_e64 s0, v48, v3
	s_delay_alu instid0(VALU_DEP_1) | instskip(NEXT) | instid1(VALU_DEP_3)
	v_cndmask_b32_e64 v3, v3, v48, s0
	v_cndmask_b32_e64 v1, v1, v13, s0
	s_delay_alu instid0(VALU_DEP_2) | instskip(NEXT) | instid1(VALU_DEP_1)
	v_cmp_gt_f32_e64 s0, v49, v3
	v_cndmask_b32_e64 v3, v3, v49, s0
	s_delay_alu instid0(VALU_DEP_3) | instskip(NEXT) | instid1(VALU_DEP_2)
	v_cndmask_b32_e64 v1, v1, v14, s0
	v_cmp_gt_f32_e64 s0, v50, v3
	s_delay_alu instid0(VALU_DEP_1) | instskip(NEXT) | instid1(VALU_DEP_3)
	v_cndmask_b32_e64 v3, v3, v50, s0
	v_cndmask_b32_e64 v1, v1, v15, s0
	s_delay_alu instid0(VALU_DEP_2) | instskip(NEXT) | instid1(VALU_DEP_1)
	v_cmp_gt_f32_e64 s0, v51, v3
	v_cndmask_b32_e64 v3, v3, v51, s0
	s_delay_alu instid0(VALU_DEP_3) | instskip(SKIP_1) | instid1(VALU_DEP_2)
	v_cndmask_b32_e64 v1, v1, v16, s0
	s_waitcnt vmcnt(5)
	v_cmp_gt_f32_e64 s0, v52, v3
	s_delay_alu instid0(VALU_DEP_1) | instskip(NEXT) | instid1(VALU_DEP_3)
	v_cndmask_b32_e64 v3, v3, v52, s0
	v_cndmask_b32_e64 v1, v1, v17, s0
	s_delay_alu instid0(VALU_DEP_2) | instskip(NEXT) | instid1(VALU_DEP_1)
	v_cmp_gt_f32_e64 s0, v53, v3
	v_cndmask_b32_e64 v3, v3, v53, s0
	s_delay_alu instid0(VALU_DEP_3) | instskip(NEXT) | instid1(VALU_DEP_2)
	;; [unrolled: 19-line block ×7, first 2 shown]
	v_cndmask_b32_e64 v1, v1, v40, s0
	v_cmp_gt_f32_e64 s0, v74, v3
	s_delay_alu instid0(VALU_DEP_1) | instskip(NEXT) | instid1(VALU_DEP_3)
	v_cndmask_b32_e64 v3, v3, v74, s0
	v_cndmask_b32_e64 v1, v1, v41, s0
	s_delay_alu instid0(VALU_DEP_2) | instskip(NEXT) | instid1(VALU_DEP_1)
	v_cmp_gt_f32_e64 s0, v75, v3
	v_cndmask_b32_e64 v1, v1, v42, s0
	v_cndmask_b32_e64 v3, v3, v75, s0
	s_delay_alu instid0(VALU_DEP_2) | instskip(NEXT) | instid1(VALU_DEP_2)
	v_mov_b32_dpp v5, v1 quad_perm:[1,0,3,2] row_mask:0xf bank_mask:0xf
	v_mov_b32_dpp v44, v3 quad_perm:[1,0,3,2] row_mask:0xf bank_mask:0xf
	s_delay_alu instid0(VALU_DEP_2) | instskip(NEXT) | instid1(VALU_DEP_2)
	v_cmp_lt_i32_e64 s0, v5, v1
	v_cmp_eq_f32_e64 s1, v3, v44
	v_cmp_lt_f32_e64 s2, v3, v44
	s_delay_alu instid0(VALU_DEP_2)
	s_and_b32 s0, s1, s0
	s_delay_alu instid0(VALU_DEP_1) | instid1(SALU_CYCLE_1)
	s_or_b32 s0, s2, s0
	s_delay_alu instid0(SALU_CYCLE_1) | instskip(SKIP_1) | instid1(VALU_DEP_2)
	v_cndmask_b32_e64 v3, v3, v44, s0
	v_cndmask_b32_e64 v1, v1, v5, s0
	v_mov_b32_dpp v5, v3 quad_perm:[2,3,0,1] row_mask:0xf bank_mask:0xf
	s_delay_alu instid0(VALU_DEP_2) | instskip(NEXT) | instid1(VALU_DEP_2)
	v_mov_b32_dpp v44, v1 quad_perm:[2,3,0,1] row_mask:0xf bank_mask:0xf
	v_cmp_eq_f32_e64 s0, v3, v5
	s_delay_alu instid0(VALU_DEP_2) | instskip(SKIP_1) | instid1(VALU_DEP_2)
	v_cmp_lt_i32_e64 s1, v44, v1
	v_cmp_lt_f32_e64 s2, v3, v5
	s_and_b32 s0, s0, s1
	s_delay_alu instid0(VALU_DEP_1) | instid1(SALU_CYCLE_1)
	s_or_b32 s0, s2, s0
	s_delay_alu instid0(SALU_CYCLE_1) | instskip(SKIP_1) | instid1(VALU_DEP_2)
	v_cndmask_b32_e64 v3, v3, v5, s0
	v_cndmask_b32_e64 v5, v1, v44, s0
	v_mov_b32_dpp v1, v3 row_half_mirror row_mask:0xf bank_mask:0xf
	s_delay_alu instid0(VALU_DEP_2) | instskip(NEXT) | instid1(VALU_DEP_2)
	v_mov_b32_dpp v44, v5 row_half_mirror row_mask:0xf bank_mask:0xf
	v_cmp_eq_f32_e64 s0, v3, v1
	s_delay_alu instid0(VALU_DEP_2) | instskip(SKIP_1) | instid1(VALU_DEP_2)
	v_cmp_lt_i32_e64 s1, v44, v5
	v_cmp_lt_f32_e64 s2, v3, v1
	s_and_b32 s0, s0, s1
	s_delay_alu instid0(VALU_DEP_1) | instid1(SALU_CYCLE_1)
	s_or_b32 s0, s2, s0
	s_delay_alu instid0(SALU_CYCLE_1) | instskip(SKIP_1) | instid1(VALU_DEP_2)
	v_cndmask_b32_e64 v1, v3, v1, s0
	v_cndmask_b32_e64 v5, v5, v44, s0
	v_mov_b32_dpp v3, v1 row_mirror row_mask:0xf bank_mask:0xf
	s_delay_alu instid0(VALU_DEP_2) | instskip(NEXT) | instid1(VALU_DEP_2)
	v_mov_b32_dpp v44, v5 row_mirror row_mask:0xf bank_mask:0xf
	v_cmp_eq_f32_e64 s0, v1, v3
	s_delay_alu instid0(VALU_DEP_2) | instskip(SKIP_1) | instid1(VALU_DEP_2)
	v_cmp_lt_i32_e64 s1, v44, v5
	v_cmp_lt_f32_e64 s2, v1, v3
	s_and_b32 s0, s0, s1
	s_delay_alu instid0(VALU_DEP_1) | instid1(SALU_CYCLE_1)
	s_or_b32 s0, s2, s0
	s_delay_alu instid0(SALU_CYCLE_1)
	v_cndmask_b32_e64 v44, v5, v44, s0
	s_and_saveexec_b32 s2, vcc_lo
	s_cbranch_execz .LBB196_14
; %bb.13:                               ;   in Loop: Header=BB196_12 Depth=1
	v_cndmask_b32_e64 v1, v1, v3, s0
	s_delay_alu instid0(VALU_DEP_2) | instskip(SKIP_4) | instid1(VALU_DEP_4)
	v_cmp_le_i32_e64 s0, s5, v44
	v_cmp_gt_i32_e64 s1, s6, v44
	v_ashrrev_i32_e32 v5, 31, v4
	v_subrev_nc_u32_e32 v52, s5, v44
	v_sub_f32_e32 v51, v1, v43
	s_and_b32 s0, s0, s1
	s_delay_alu instid0(SALU_CYCLE_1) | instskip(NEXT) | instid1(VALU_DEP_1)
	s_and_b32 s0, s17, s0
	v_mul_f32_e32 v1, 0x3fb8aa3b, v51
	s_delay_alu instid0(VALU_DEP_1) | instskip(SKIP_1) | instid1(VALU_DEP_2)
	v_fma_f32 v3, 0x3fb8aa3b, v51, -v1
	v_rndne_f32_e32 v45, v1
	v_fmac_f32_e32 v3, 0x32a5705f, v51
	s_delay_alu instid0(VALU_DEP_2) | instskip(SKIP_2) | instid1(VALU_DEP_3)
	v_sub_f32_e32 v1, v1, v45
	v_cvt_i32_f32_e32 v50, v45
	v_lshlrev_b64 v[45:46], 2, v[4:5]
	v_add_f32_e32 v1, v1, v3
	v_ashrrev_i32_e32 v3, 31, v2
	s_delay_alu instid0(VALU_DEP_2) | instskip(SKIP_1) | instid1(VALU_DEP_2)
	v_exp_f32_e32 v49, v1
	v_ashrrev_i32_e32 v1, 31, v0
	v_lshlrev_b64 v[47:48], 2, v[2:3]
	s_waitcnt_depctr 0xfff
	v_ldexp_f32 v3, v49, v50
	v_lshlrev_b64 v[49:50], 2, v[0:1]
	v_cndmask_b32_e64 v1, 0x200, v52, s0
	v_cmp_ngt_f32_e64 s0, 0xc2ce8ed0, v51
	s_delay_alu instid0(VALU_DEP_1) | instskip(SKIP_1) | instid1(VALU_DEP_1)
	v_cndmask_b32_e64 v3, 0, v3, s0
	v_add_co_u32 v45, s0, s12, v45
	v_add_co_ci_u32_e64 v46, s0, s13, v46, s0
	v_cmp_nlt_f32_e64 s0, 0x42b17218, v51
	s_delay_alu instid0(VALU_DEP_1) | instskip(SKIP_2) | instid1(VALU_DEP_1)
	v_cndmask_b32_e64 v3, 0x7f800000, v3, s0
	s_waitcnt lgkmcnt(0)
	v_add_co_u32 v47, s0, s8, v47
	v_add_co_ci_u32_e64 v48, s0, s9, v48, s0
	s_delay_alu instid0(VALU_DEP_3) | instskip(SKIP_1) | instid1(VALU_DEP_1)
	v_add_f32_e32 v6, v6, v3
	v_add_co_u32 v49, s0, s10, v49
	v_add_co_ci_u32_e64 v50, s0, s11, v50, s0
	global_store_b32 v[45:46], v3, off
	global_store_b32 v[47:48], v1, off
	;; [unrolled: 1-line block ×3, first 2 shown]
.LBB196_14:                             ;   in Loop: Header=BB196_12 Depth=1
	s_or_b32 exec_lo, exec_lo, s2
	s_delay_alu instid0(VALU_DEP_1) | instskip(SKIP_1) | instid1(VALU_DEP_1)
	v_ashrrev_i32_e32 v3, 31, v44
	s_mov_b32 s1, exec_lo
	v_lshrrev_b32_e32 v1, 27, v3
	s_delay_alu instid0(VALU_DEP_1) | instskip(NEXT) | instid1(VALU_DEP_1)
	v_add_nc_u32_e32 v1, v44, v1
	v_ashrrev_i32_e32 v1, 5, v1
	s_delay_alu instid0(VALU_DEP_1) | instskip(NEXT) | instid1(VALU_DEP_1)
	v_lshrrev_b32_e32 v5, 28, v1
	v_add_nc_u32_e32 v5, v1, v5
	s_delay_alu instid0(VALU_DEP_1) | instskip(NEXT) | instid1(VALU_DEP_1)
	v_and_b32_e32 v5, -16, v5
	v_sub_nc_u32_e32 v5, v1, v5
	s_delay_alu instid0(VALU_DEP_1)
	v_cmpx_eq_u32_e64 v8, v5
	s_cbranch_execz .LBB196_11
; %bb.15:                               ;   in Loop: Header=BB196_12 Depth=1
	v_lshrrev_b32_e32 v3, 23, v3
	v_lshlrev_b32_e32 v1, 5, v1
	s_delay_alu instid0(VALU_DEP_2) | instskip(NEXT) | instid1(VALU_DEP_2)
	v_add_nc_u32_e32 v3, v44, v3
	v_sub_nc_u32_e32 v1, v44, v1
	s_delay_alu instid0(VALU_DEP_2) | instskip(NEXT) | instid1(VALU_DEP_1)
	v_ashrrev_i32_e32 v3, 9, v3
	v_lshl_add_u32 v1, v3, 5, v1
	s_delay_alu instid0(VALU_DEP_1)
	v_lshl_add_u32 v1, v1, 2, 0
	scratch_store_b32 v1, v25, off
	s_branch .LBB196_11
.LBB196_16:
	v_cmp_eq_u32_e32 vcc_lo, 0, v8
	v_cmp_neq_f32_e64 s0, 0, v6
	s_delay_alu instid0(VALU_DEP_1) | instskip(NEXT) | instid1(SALU_CYCLE_1)
	s_and_b32 s0, vcc_lo, s0
	s_and_b32 exec_lo, exec_lo, s0
	s_cbranch_execz .LBB196_20
; %bb.17:
	s_and_not1_b32 vcc_lo, exec_lo, s3
	s_cbranch_vccnz .LBB196_20
; %bb.18:
	v_div_scale_f32 v1, null, v6, v6, 1.0
	v_div_scale_f32 v3, vcc_lo, 1.0, v6, 1.0
	s_delay_alu instid0(VALU_DEP_2) | instskip(SKIP_2) | instid1(VALU_DEP_1)
	v_rcp_f32_e32 v2, v1
	s_waitcnt_depctr 0xfff
	v_fma_f32 v0, -v1, v2, 1.0
	v_fmac_f32_e32 v2, v0, v2
	v_mul_lo_u32 v0, v7, s7
	s_delay_alu instid0(VALU_DEP_2) | instskip(NEXT) | instid1(VALU_DEP_1)
	v_mul_f32_e32 v4, v3, v2
	v_fma_f32 v5, -v1, v4, v3
	s_delay_alu instid0(VALU_DEP_1) | instskip(NEXT) | instid1(VALU_DEP_1)
	v_fmac_f32_e32 v4, v5, v2
	v_fma_f32 v3, -v1, v4, v3
	v_ashrrev_i32_e32 v1, 31, v0
	s_delay_alu instid0(VALU_DEP_2) | instskip(NEXT) | instid1(VALU_DEP_2)
	v_div_fmas_f32 v2, v3, v2, v4
	v_lshlrev_b64 v[0:1], 2, v[0:1]
	s_delay_alu instid0(VALU_DEP_2) | instskip(NEXT) | instid1(VALU_DEP_2)
	v_div_fixup_f32 v2, v2, v6, 1.0
	v_add_co_u32 v0, vcc_lo, s12, v0
	s_delay_alu instid0(VALU_DEP_3)
	v_add_co_ci_u32_e32 v1, vcc_lo, s13, v1, vcc_lo
.LBB196_19:                             ; =>This Inner Loop Header: Depth=1
	global_load_b32 v3, v[0:1], off
	s_add_i32 s4, s4, -1
	s_delay_alu instid0(SALU_CYCLE_1)
	s_cmp_lg_u32 s4, 0
	s_waitcnt vmcnt(0)
	v_mul_f32_e32 v3, v2, v3
	global_store_b32 v[0:1], v3, off
	v_add_co_u32 v0, vcc_lo, v0, 4
	v_add_co_ci_u32_e32 v1, vcc_lo, 0, v1, vcc_lo
	s_cbranch_scc1 .LBB196_19
.LBB196_20:
	s_endpgm
	.section	.rodata,"a",@progbits
	.p2align	6, 0x0
	.amdhsa_kernel _ZN4vllm3moe17topkGatingSoftmaxIDF16_Li32ELi512ELi2ELi64ELb1ELi0ELNS0_23SharedExpertScoringFuncE0EEEvPKT_PKbPfiPiS9_iiiiii
		.amdhsa_group_segment_fixed_size 0
		.amdhsa_private_segment_fixed_size 144
		.amdhsa_kernarg_size 72
		.amdhsa_user_sgpr_count 15
		.amdhsa_user_sgpr_dispatch_ptr 0
		.amdhsa_user_sgpr_queue_ptr 0
		.amdhsa_user_sgpr_kernarg_segment_ptr 1
		.amdhsa_user_sgpr_dispatch_id 0
		.amdhsa_user_sgpr_private_segment_size 0
		.amdhsa_wavefront_size32 1
		.amdhsa_uses_dynamic_stack 0
		.amdhsa_enable_private_segment 1
		.amdhsa_system_sgpr_workgroup_id_x 1
		.amdhsa_system_sgpr_workgroup_id_y 0
		.amdhsa_system_sgpr_workgroup_id_z 0
		.amdhsa_system_sgpr_workgroup_info 0
		.amdhsa_system_vgpr_workitem_id 1
		.amdhsa_next_free_vgpr 76
		.amdhsa_next_free_sgpr 19
		.amdhsa_reserve_vcc 1
		.amdhsa_float_round_mode_32 0
		.amdhsa_float_round_mode_16_64 0
		.amdhsa_float_denorm_mode_32 3
		.amdhsa_float_denorm_mode_16_64 3
		.amdhsa_dx10_clamp 1
		.amdhsa_ieee_mode 1
		.amdhsa_fp16_overflow 0
		.amdhsa_workgroup_processor_mode 1
		.amdhsa_memory_ordered 1
		.amdhsa_forward_progress 0
		.amdhsa_shared_vgpr_count 0
		.amdhsa_exception_fp_ieee_invalid_op 0
		.amdhsa_exception_fp_denorm_src 0
		.amdhsa_exception_fp_ieee_div_zero 0
		.amdhsa_exception_fp_ieee_overflow 0
		.amdhsa_exception_fp_ieee_underflow 0
		.amdhsa_exception_fp_ieee_inexact 0
		.amdhsa_exception_int_div_zero 0
	.end_amdhsa_kernel
	.section	.text._ZN4vllm3moe17topkGatingSoftmaxIDF16_Li32ELi512ELi2ELi64ELb1ELi0ELNS0_23SharedExpertScoringFuncE0EEEvPKT_PKbPfiPiS9_iiiiii,"axG",@progbits,_ZN4vllm3moe17topkGatingSoftmaxIDF16_Li32ELi512ELi2ELi64ELb1ELi0ELNS0_23SharedExpertScoringFuncE0EEEvPKT_PKbPfiPiS9_iiiiii,comdat
.Lfunc_end196:
	.size	_ZN4vllm3moe17topkGatingSoftmaxIDF16_Li32ELi512ELi2ELi64ELb1ELi0ELNS0_23SharedExpertScoringFuncE0EEEvPKT_PKbPfiPiS9_iiiiii, .Lfunc_end196-_ZN4vllm3moe17topkGatingSoftmaxIDF16_Li32ELi512ELi2ELi64ELb1ELi0ELNS0_23SharedExpertScoringFuncE0EEEvPKT_PKbPfiPiS9_iiiiii
                                        ; -- End function
	.section	.AMDGPU.csdata,"",@progbits
; Kernel info:
; codeLenInByte = 4100
; NumSgprs: 21
; NumVgprs: 76
; ScratchSize: 144
; MemoryBound: 0
; FloatMode: 240
; IeeeMode: 1
; LDSByteSize: 0 bytes/workgroup (compile time only)
; SGPRBlocks: 2
; VGPRBlocks: 9
; NumSGPRsForWavesPerEU: 21
; NumVGPRsForWavesPerEU: 76
; Occupancy: 16
; WaveLimiterHint : 1
; COMPUTE_PGM_RSRC2:SCRATCH_EN: 1
; COMPUTE_PGM_RSRC2:USER_SGPR: 15
; COMPUTE_PGM_RSRC2:TRAP_HANDLER: 0
; COMPUTE_PGM_RSRC2:TGID_X_EN: 1
; COMPUTE_PGM_RSRC2:TGID_Y_EN: 0
; COMPUTE_PGM_RSRC2:TGID_Z_EN: 0
; COMPUTE_PGM_RSRC2:TIDIG_COMP_CNT: 1
	.section	.text._ZN4vllm3moe17topkGatingSoftmaxIDF16_Li32ELi512ELi2ELi64ELb0ELi0ELNS0_23SharedExpertScoringFuncE0EEEvPKT_PKbPfiPiS9_iiiiii,"axG",@progbits,_ZN4vllm3moe17topkGatingSoftmaxIDF16_Li32ELi512ELi2ELi64ELb0ELi0ELNS0_23SharedExpertScoringFuncE0EEEvPKT_PKbPfiPiS9_iiiiii,comdat
	.protected	_ZN4vllm3moe17topkGatingSoftmaxIDF16_Li32ELi512ELi2ELi64ELb0ELi0ELNS0_23SharedExpertScoringFuncE0EEEvPKT_PKbPfiPiS9_iiiiii ; -- Begin function _ZN4vllm3moe17topkGatingSoftmaxIDF16_Li32ELi512ELi2ELi64ELb0ELi0ELNS0_23SharedExpertScoringFuncE0EEEvPKT_PKbPfiPiS9_iiiiii
	.globl	_ZN4vllm3moe17topkGatingSoftmaxIDF16_Li32ELi512ELi2ELi64ELb0ELi0ELNS0_23SharedExpertScoringFuncE0EEEvPKT_PKbPfiPiS9_iiiiii
	.p2align	8
	.type	_ZN4vllm3moe17topkGatingSoftmaxIDF16_Li32ELi512ELi2ELi64ELb0ELi0ELNS0_23SharedExpertScoringFuncE0EEEvPKT_PKbPfiPiS9_iiiiii,@function
_ZN4vllm3moe17topkGatingSoftmaxIDF16_Li32ELi512ELi2ELi64ELb0ELi0ELNS0_23SharedExpertScoringFuncE0EEEvPKT_PKbPfiPiS9_iiiiii: ; @_ZN4vllm3moe17topkGatingSoftmaxIDF16_Li32ELi512ELi2ELi64ELb0ELi0ELNS0_23SharedExpertScoringFuncE0EEEvPKT_PKbPfiPiS9_iiiiii
; %bb.0:
	s_load_b32 s16, s[0:1], 0x18
	v_bfe_u32 v1, v0, 10, 10
	v_and_b32_e32 v0, 0x3ff, v0
	s_lshl_b32 s18, s15, 2
	s_mov_b32 s2, exec_lo
	s_delay_alu instid0(VALU_DEP_2) | instskip(NEXT) | instid1(VALU_DEP_2)
	v_lshlrev_b32_e32 v43, 1, v1
	v_lshrrev_b32_e32 v44, 4, v0
	s_delay_alu instid0(VALU_DEP_1) | instskip(SKIP_1) | instid1(VALU_DEP_1)
	v_add3_u32 v8, s18, v43, v44
	s_waitcnt lgkmcnt(0)
	v_cmpx_gt_i32_e64 s16, v8
	s_cbranch_execz .LBB197_22
; %bb.1:
	s_clause 0x1
	s_load_b128 s[4:7], s[0:1], 0x0
	s_load_b64 s[12:13], s[0:1], 0x10
	s_waitcnt lgkmcnt(0)
	s_cmp_eq_u64 s[6:7], 0
	s_cbranch_scc1 .LBB197_3
; %bb.2:
	v_ashrrev_i32_e32 v2, 31, v8
	v_add_co_u32 v1, vcc_lo, s6, v8
	s_delay_alu instid0(VALU_DEP_2) | instskip(SKIP_3) | instid1(VALU_DEP_1)
	v_add_co_ci_u32_e32 v2, vcc_lo, s7, v2, vcc_lo
	global_load_u8 v1, v[1:2], off
	s_waitcnt vmcnt(0)
	v_and_b32_e32 v1, 1, v1
	v_cmp_eq_u32_e32 vcc_lo, 1, v1
	s_xor_b32 s2, vcc_lo, -1
	s_delay_alu instid0(SALU_CYCLE_1)
	s_or_not1_b32 s17, s2, exec_lo
	s_branch .LBB197_4
.LBB197_3:
	s_mov_b32 s17, -1
.LBB197_4:
	s_clause 0x1
	s_load_b64 s[14:15], s[0:1], 0x40
	s_load_b128 s[8:11], s[0:1], 0x30
	v_and_b32_e32 v9, 15, v0
	s_waitcnt lgkmcnt(0)
	v_mul_lo_u32 v1, v8, s15
	s_delay_alu instid0(VALU_DEP_1) | instskip(NEXT) | instid1(VALU_DEP_1)
	v_ashrrev_i32_e32 v2, 31, v1
	v_lshlrev_b64 v[0:1], 1, v[1:2]
	v_lshlrev_b32_e32 v2, 6, v9
	s_delay_alu instid0(VALU_DEP_2) | instskip(NEXT) | instid1(VALU_DEP_3)
	v_add_co_u32 v0, vcc_lo, s4, v0
	v_add_co_ci_u32_e32 v1, vcc_lo, s5, v1, vcc_lo
	s_delay_alu instid0(VALU_DEP_2) | instskip(NEXT) | instid1(VALU_DEP_2)
	v_add_co_u32 v10, vcc_lo, v0, v2
	v_add_co_ci_u32_e32 v11, vcc_lo, 0, v1, vcc_lo
	s_clause 0x3
	global_load_b128 v[0:3], v[10:11], off
	global_load_b128 v[4:7], v[10:11], off offset:16
	global_load_b128 v[30:33], v[10:11], off offset:32
	;; [unrolled: 1-line block ×3, first 2 shown]
	s_waitcnt vmcnt(3)
	v_lshrrev_b32_e32 v10, 16, v0
	v_cvt_f32_f16_e32 v47, v0
	v_cvt_f32_f16_e32 v49, v1
	v_lshrrev_b32_e32 v1, 16, v1
	v_cvt_f32_f16_e32 v51, v2
	v_cvt_f32_f16_e32 v48, v10
	v_cmp_lt_f16_e32 vcc_lo, v0, v10
	v_lshlrev_b32_e32 v11, 5, v9
	v_cvt_f32_f16_e32 v50, v1
	v_lshrrev_b32_e32 v2, 16, v2
	v_cvt_f32_f16_e32 v53, v3
	v_cndmask_b32_e32 v10, v47, v48, vcc_lo
	v_or_b32_e32 v12, 1, v11
	v_or_b32_e32 v13, 2, v11
	;; [unrolled: 1-line block ×4, first 2 shown]
	v_cvt_f32_f16_e32 v52, v2
	v_cndmask_b32_e32 v0, v11, v12, vcc_lo
	v_cmp_lt_f32_e32 vcc_lo, v10, v49
	v_or_b32_e32 v16, 5, v11
	v_lshrrev_b32_e32 v2, 16, v3
	v_or_b32_e32 v17, 6, v11
	v_or_b32_e32 v18, 7, v11
	v_cndmask_b32_e32 v1, v10, v49, vcc_lo
	v_cndmask_b32_e32 v0, v0, v13, vcc_lo
	v_cvt_f32_f16_e32 v54, v2
	s_waitcnt vmcnt(2)
	v_cvt_f32_f16_e32 v55, v4
	v_lshrrev_b32_e32 v2, 16, v4
	v_cmp_lt_f32_e32 vcc_lo, v1, v50
	v_or_b32_e32 v19, 8, v11
	v_or_b32_e32 v20, 9, v11
	v_cvt_f32_f16_e32 v57, v5
	v_cvt_f32_f16_e32 v56, v2
	v_cndmask_b32_e32 v1, v1, v50, vcc_lo
	v_cndmask_b32_e32 v0, v0, v14, vcc_lo
	v_lshrrev_b32_e32 v2, 16, v5
	v_or_b32_e32 v21, 10, v11
	v_or_b32_e32 v22, 11, v11
	v_cmp_lt_f32_e32 vcc_lo, v1, v51
	v_cvt_f32_f16_e32 v59, v6
	v_cvt_f32_f16_e32 v58, v2
	v_lshrrev_b32_e32 v2, 16, v6
	v_or_b32_e32 v23, 12, v11
	v_cndmask_b32_e32 v1, v1, v51, vcc_lo
	v_cndmask_b32_e32 v0, v0, v15, vcc_lo
	v_or_b32_e32 v24, 13, v11
	v_cvt_f32_f16_e32 v60, v2
	v_cvt_f32_f16_e32 v61, v7
	v_cmp_lt_f32_e32 vcc_lo, v1, v52
	v_lshrrev_b32_e32 v2, 16, v7
	v_or_b32_e32 v25, 14, v11
	v_or_b32_e32 v26, 15, v11
	s_waitcnt vmcnt(1)
	v_cvt_f32_f16_e32 v63, v30
	v_cndmask_b32_e32 v1, v1, v52, vcc_lo
	v_cndmask_b32_e32 v0, v0, v16, vcc_lo
	v_cvt_f32_f16_e32 v62, v2
	v_lshrrev_b32_e32 v2, 16, v30
	v_or_b32_e32 v27, 16, v11
	v_cmp_lt_f32_e32 vcc_lo, v1, v53
	v_or_b32_e32 v28, 17, v11
	v_cvt_f32_f16_e32 v65, v31
	v_cvt_f32_f16_e32 v64, v2
	v_lshrrev_b32_e32 v2, 16, v31
	v_cndmask_b32_e32 v1, v1, v53, vcc_lo
	v_cndmask_b32_e32 v0, v0, v17, vcc_lo
	v_or_b32_e32 v29, 18, v11
	v_or_b32_e32 v30, 19, v11
	v_cvt_f32_f16_e32 v66, v2
	v_cmp_lt_f32_e32 vcc_lo, v1, v54
	v_or_b32_e32 v31, 20, v11
	v_or_b32_e32 v34, 23, v11
	;; [unrolled: 1-line block ×3, first 2 shown]
	s_waitcnt vmcnt(0)
	v_lshrrev_b32_e32 v45, 16, v41
	v_cndmask_b32_e32 v1, v1, v54, vcc_lo
	v_cndmask_b32_e32 v0, v0, v18, vcc_lo
	v_or_b32_e32 v36, 25, v11
	v_or_b32_e32 v37, 26, v11
	v_cvt_f32_f16_e32 v70, v45
	v_cmp_lt_f32_e32 vcc_lo, v1, v55
	v_cvt_f32_f16_e32 v67, v40
	v_lshrrev_b32_e32 v40, 16, v40
	v_cvt_f32_f16_e32 v69, v41
	v_or_b32_e32 v41, 30, v11
	v_cndmask_b32_e32 v1, v1, v55, vcc_lo
	v_cndmask_b32_e32 v0, v0, v19, vcc_lo
	v_cvt_f32_f16_e32 v68, v40
	v_or_b32_e32 v40, 29, v11
	s_delay_alu instid0(VALU_DEP_4) | instskip(SKIP_2) | instid1(VALU_DEP_2)
	v_cmp_lt_f32_e32 vcc_lo, v1, v56
	v_cndmask_b32_e32 v1, v1, v56, vcc_lo
	v_cndmask_b32_e32 v0, v0, v20, vcc_lo
	v_cmp_lt_f32_e32 vcc_lo, v1, v57
	v_cndmask_b32_e32 v1, v1, v57, vcc_lo
	s_delay_alu instid0(VALU_DEP_3) | instskip(NEXT) | instid1(VALU_DEP_2)
	v_cndmask_b32_e32 v0, v0, v21, vcc_lo
	v_cmp_lt_f32_e32 vcc_lo, v1, v58
	v_cndmask_b32_e32 v1, v1, v58, vcc_lo
	s_delay_alu instid0(VALU_DEP_3) | instskip(NEXT) | instid1(VALU_DEP_2)
	;; [unrolled: 4-line block ×8, first 2 shown]
	v_cndmask_b32_e32 v0, v0, v28, vcc_lo
	v_cmp_lt_f32_e32 vcc_lo, v1, v65
	v_cndmask_b32_e32 v1, v1, v65, vcc_lo
	s_delay_alu instid0(VALU_DEP_3) | instskip(SKIP_1) | instid1(VALU_DEP_3)
	v_cndmask_b32_e32 v2, v0, v29, vcc_lo
	v_cvt_f32_f16_e32 v0, v32
	v_cmp_lt_f32_e32 vcc_lo, v1, v66
	v_cndmask_b32_e32 v3, v1, v66, vcc_lo
	s_delay_alu instid0(VALU_DEP_4) | instskip(SKIP_2) | instid1(VALU_DEP_4)
	v_cndmask_b32_e32 v2, v2, v30, vcc_lo
	v_lshrrev_b32_e32 v1, 16, v32
	v_or_b32_e32 v32, 21, v11
	v_cmp_lt_f32_e32 vcc_lo, v3, v0
	s_delay_alu instid0(VALU_DEP_3) | instskip(SKIP_2) | instid1(VALU_DEP_2)
	v_cvt_f32_f16_e32 v1, v1
	v_dual_cndmask_b32 v3, v3, v0 :: v_dual_cndmask_b32 v4, v2, v31
	v_cvt_f32_f16_e32 v2, v33
	v_cmp_lt_f32_e32 vcc_lo, v3, v1
	s_delay_alu instid0(VALU_DEP_3) | instskip(SKIP_2) | instid1(VALU_DEP_3)
	v_dual_cndmask_b32 v5, v3, v1 :: v_dual_cndmask_b32 v4, v4, v32
	v_lshrrev_b32_e32 v3, 16, v33
	v_or_b32_e32 v33, 22, v11
	v_cmp_lt_f32_e32 vcc_lo, v5, v2
	s_delay_alu instid0(VALU_DEP_3) | instskip(NEXT) | instid1(VALU_DEP_3)
	v_cvt_f32_f16_e32 v3, v3
	v_dual_cndmask_b32 v5, v5, v2 :: v_dual_cndmask_b32 v6, v4, v33
	v_cvt_f32_f16_e32 v4, v38
	s_delay_alu instid0(VALU_DEP_2) | instskip(NEXT) | instid1(VALU_DEP_3)
	v_cmp_lt_f32_e32 vcc_lo, v5, v3
	v_dual_cndmask_b32 v7, v5, v3 :: v_dual_cndmask_b32 v6, v6, v34
	v_lshrrev_b32_e32 v5, 16, v38
	s_delay_alu instid0(VALU_DEP_2) | instskip(NEXT) | instid1(VALU_DEP_2)
	v_cmp_lt_f32_e32 vcc_lo, v7, v4
	v_cvt_f32_f16_e32 v5, v5
	s_delay_alu instid0(VALU_DEP_4) | instskip(SKIP_1) | instid1(VALU_DEP_2)
	v_dual_cndmask_b32 v7, v7, v4 :: v_dual_cndmask_b32 v10, v6, v35
	v_cvt_f32_f16_e32 v6, v39
	v_cmp_lt_f32_e32 vcc_lo, v7, v5
	v_cndmask_b32_e32 v38, v7, v5, vcc_lo
	s_delay_alu instid0(VALU_DEP_4) | instskip(SKIP_1) | instid1(VALU_DEP_3)
	v_cndmask_b32_e32 v10, v10, v36, vcc_lo
	v_lshrrev_b32_e32 v7, 16, v39
	v_cmp_lt_f32_e32 vcc_lo, v38, v6
	s_delay_alu instid0(VALU_DEP_2)
	v_cvt_f32_f16_e32 v7, v7
	s_clause 0x1
	scratch_store_b128 off, v[67:70], off offset:112
	scratch_store_b128 off, v[4:7], off offset:96
	v_cndmask_b32_e32 v39, v38, v6, vcc_lo
	v_cndmask_b32_e32 v10, v10, v37, vcc_lo
	v_or_b32_e32 v38, 27, v11
	s_clause 0x3
	scratch_store_b128 off, v[0:3], off offset:80
	scratch_store_b128 off, v[63:66], off offset:64
	scratch_store_b128 off, v[59:62], off offset:48
	scratch_store_b128 off, v[55:58], off offset:32
	v_cmp_lt_f32_e32 vcc_lo, v39, v7
	s_clause 0x1
	scratch_store_b128 off, v[51:54], off offset:16
	scratch_store_b128 off, v[47:50], off
	v_cndmask_b32_e32 v42, v39, v7, vcc_lo
	v_cndmask_b32_e32 v10, v10, v38, vcc_lo
	v_or_b32_e32 v39, 28, v11
	s_delay_alu instid0(VALU_DEP_3) | instskip(SKIP_1) | instid1(VALU_DEP_3)
	v_cmp_lt_f32_e32 vcc_lo, v42, v67
	v_cndmask_b32_e32 v42, v42, v67, vcc_lo
	v_cndmask_b32_e32 v10, v10, v39, vcc_lo
	s_delay_alu instid0(VALU_DEP_2) | instskip(SKIP_1) | instid1(VALU_DEP_3)
	v_cmp_lt_f32_e32 vcc_lo, v42, v68
	v_cndmask_b32_e32 v42, v42, v68, vcc_lo
	v_cndmask_b32_e32 v10, v10, v40, vcc_lo
	s_delay_alu instid0(VALU_DEP_2) | instskip(SKIP_1) | instid1(VALU_DEP_3)
	v_cmp_lt_f32_e32 vcc_lo, v42, v69
	v_cndmask_b32_e32 v45, v42, v69, vcc_lo
	v_cndmask_b32_e32 v10, v10, v41, vcc_lo
	v_or_b32_e32 v42, 31, v11
	s_delay_alu instid0(VALU_DEP_3) | instskip(NEXT) | instid1(VALU_DEP_2)
	v_cmp_lt_f32_e32 vcc_lo, v45, v70
	v_cndmask_b32_e32 v10, v10, v42, vcc_lo
	v_cndmask_b32_e32 v45, v45, v70, vcc_lo
	s_delay_alu instid0(VALU_DEP_2) | instskip(NEXT) | instid1(VALU_DEP_2)
	v_mov_b32_dpp v46, v10 quad_perm:[1,0,3,2] row_mask:0xf bank_mask:0xf
	v_mov_b32_dpp v71, v45 quad_perm:[1,0,3,2] row_mask:0xf bank_mask:0xf
	s_delay_alu instid0(VALU_DEP_2) | instskip(NEXT) | instid1(VALU_DEP_2)
	v_cmp_lt_i32_e32 vcc_lo, v46, v10
	v_cmp_eq_f32_e64 s2, v45, v71
	v_cmp_lt_f32_e64 s3, v45, v71
	s_delay_alu instid0(VALU_DEP_2)
	s_and_b32 s2, s2, vcc_lo
	s_delay_alu instid0(VALU_DEP_1) | instid1(SALU_CYCLE_1)
	s_or_b32 vcc_lo, s3, s2
	v_dual_cndmask_b32 v45, v45, v71 :: v_dual_cndmask_b32 v10, v10, v46
	s_delay_alu instid0(VALU_DEP_1) | instskip(NEXT) | instid1(VALU_DEP_2)
	v_mov_b32_dpp v46, v45 quad_perm:[2,3,0,1] row_mask:0xf bank_mask:0xf
	v_mov_b32_dpp v71, v10 quad_perm:[2,3,0,1] row_mask:0xf bank_mask:0xf
	s_delay_alu instid0(VALU_DEP_2) | instskip(NEXT) | instid1(VALU_DEP_2)
	v_cmp_eq_f32_e32 vcc_lo, v45, v46
	v_cmp_lt_i32_e64 s2, v71, v10
	v_cmp_lt_f32_e64 s3, v45, v46
	s_delay_alu instid0(VALU_DEP_2)
	s_and_b32 s2, vcc_lo, s2
	s_delay_alu instid0(VALU_DEP_1) | instid1(SALU_CYCLE_1)
	s_or_b32 vcc_lo, s3, s2
	v_dual_cndmask_b32 v45, v45, v46 :: v_dual_cndmask_b32 v10, v10, v71
	s_delay_alu instid0(VALU_DEP_1) | instskip(NEXT) | instid1(VALU_DEP_2)
	v_mov_b32_dpp v46, v45 row_half_mirror row_mask:0xf bank_mask:0xf
	v_mov_b32_dpp v71, v10 row_half_mirror row_mask:0xf bank_mask:0xf
	s_delay_alu instid0(VALU_DEP_2) | instskip(NEXT) | instid1(VALU_DEP_2)
	v_cmp_eq_f32_e32 vcc_lo, v45, v46
	v_cmp_lt_i32_e64 s2, v71, v10
	v_cmp_lt_f32_e64 s3, v45, v46
	s_delay_alu instid0(VALU_DEP_2)
	s_and_b32 s2, vcc_lo, s2
	s_delay_alu instid0(VALU_DEP_1) | instid1(SALU_CYCLE_1)
	s_or_b32 vcc_lo, s3, s2
	v_dual_cndmask_b32 v72, v45, v46 :: v_dual_cndmask_b32 v45, v10, v71
	v_mov_b32_e32 v10, 0
	v_cmp_eq_u32_e32 vcc_lo, 0, v9
	s_delay_alu instid0(VALU_DEP_3) | instskip(NEXT) | instid1(VALU_DEP_4)
	v_mov_b32_dpp v71, v72 row_mirror row_mask:0xf bank_mask:0xf
	v_mov_b32_dpp v46, v45 row_mirror row_mask:0xf bank_mask:0xf
	s_delay_alu instid0(VALU_DEP_2) | instskip(NEXT) | instid1(VALU_DEP_2)
	v_cmp_eq_f32_e64 s2, v72, v71
	v_cmp_lt_i32_e64 s3, v46, v45
	v_cmp_lt_f32_e64 s4, v72, v71
	s_delay_alu instid0(VALU_DEP_2)
	s_and_b32 s2, s2, s3
	s_delay_alu instid0(VALU_DEP_1) | instid1(SALU_CYCLE_1)
	s_or_b32 s2, s4, s2
	s_cmp_gt_i32 s8, 0
	v_cndmask_b32_e64 v7, v72, v71, s2
	s_cselect_b32 s3, -1, 0
	s_cmp_lt_i32 s8, 1
	s_cbranch_scc1 .LBB197_17
; %bb.5:
	s_load_b128 s[4:7], s[0:1], 0x20
	v_mul_lo_u32 v1, v8, s11
	v_mul_lo_u32 v3, v8, s14
	;; [unrolled: 1-line block ×3, first 2 shown]
	v_cndmask_b32_e64 v0, v45, v46, s2
	v_mov_b32_e32 v10, 0
	s_and_saveexec_b32 s2, vcc_lo
	s_cbranch_execz .LBB197_7
; %bb.6:
	v_sub_f32_e32 v10, v7, v7
	v_cmp_le_i32_e64 s0, s9, v0
	v_cmp_gt_i32_e64 s1, s10, v0
	v_subrev_nc_u32_e32 v51, s9, v0
	v_ashrrev_i32_e32 v6, 31, v5
	v_mul_f32_e32 v2, 0x3fb8aa3b, v10
	s_delay_alu instid0(VALU_DEP_4) | instskip(NEXT) | instid1(SALU_CYCLE_1)
	s_and_b32 s0, s0, s1
	s_and_b32 s0, s17, s0
	s_delay_alu instid0(VALU_DEP_1) | instskip(SKIP_2) | instid1(VALU_DEP_3)
	v_rndne_f32_e32 v47, v2
	v_fma_f32 v4, 0x3fb8aa3b, v10, -v2
	v_lshlrev_b64 v[49:50], 2, v[5:6]
	v_sub_f32_e32 v2, v2, v47
	s_delay_alu instid0(VALU_DEP_3) | instskip(NEXT) | instid1(VALU_DEP_1)
	v_fmamk_f32 v4, v10, 0x32a5705f, v4
	v_add_f32_e32 v4, v2, v4
	v_ashrrev_i32_e32 v2, 31, v1
	s_delay_alu instid0(VALU_DEP_2) | instskip(NEXT) | instid1(VALU_DEP_1)
	v_exp_f32_e32 v52, v4
	v_lshlrev_b64 v[45:46], 2, v[1:2]
	v_ashrrev_i32_e32 v4, 31, v3
	v_cvt_i32_f32_e32 v2, v47
	s_delay_alu instid0(VALU_DEP_2) | instskip(SKIP_2) | instid1(VALU_DEP_1)
	v_lshlrev_b64 v[47:48], 2, v[3:4]
	v_cndmask_b32_e64 v4, 0x200, v51, s0
	v_add_co_u32 v45, s0, s12, v45
	v_add_co_ci_u32_e64 v46, s0, s13, v46, s0
	s_delay_alu instid0(TRANS32_DEP_1) | instskip(SKIP_1) | instid1(VALU_DEP_1)
	v_ldexp_f32 v2, v52, v2
	v_cmp_ngt_f32_e64 s0, 0xc2ce8ed0, v10
	v_cndmask_b32_e64 v2, 0, v2, s0
	s_waitcnt lgkmcnt(0)
	v_add_co_u32 v47, s0, s4, v47
	s_delay_alu instid0(VALU_DEP_1) | instskip(SKIP_1) | instid1(VALU_DEP_1)
	v_add_co_ci_u32_e64 v48, s0, s5, v48, s0
	v_cmp_nlt_f32_e64 s0, 0x42b17218, v10
	v_cndmask_b32_e64 v10, 0x7f800000, v2, s0
	v_add_co_u32 v49, s0, s6, v49
	s_delay_alu instid0(VALU_DEP_1)
	v_add_co_ci_u32_e64 v50, s0, s7, v50, s0
	global_store_b32 v[47:48], v4, off
	global_store_b32 v[45:46], v10, off
	;; [unrolled: 1-line block ×3, first 2 shown]
.LBB197_7:
	s_or_b32 exec_lo, exec_lo, s2
	v_ashrrev_i32_e32 v4, 31, v0
	s_mov_b32 s1, exec_lo
	s_delay_alu instid0(VALU_DEP_1) | instskip(NEXT) | instid1(VALU_DEP_1)
	v_lshrrev_b32_e32 v2, 27, v4
	v_add_nc_u32_e32 v2, v0, v2
	s_delay_alu instid0(VALU_DEP_1) | instskip(NEXT) | instid1(VALU_DEP_1)
	v_ashrrev_i32_e32 v2, 5, v2
	v_lshrrev_b32_e32 v6, 28, v2
	s_delay_alu instid0(VALU_DEP_1) | instskip(NEXT) | instid1(VALU_DEP_1)
	v_add_nc_u32_e32 v6, v2, v6
	v_and_b32_e32 v6, -16, v6
	s_delay_alu instid0(VALU_DEP_1) | instskip(NEXT) | instid1(VALU_DEP_1)
	v_sub_nc_u32_e32 v6, v2, v6
	v_cmpx_eq_u32_e64 v9, v6
	s_cbranch_execz .LBB197_9
; %bb.8:
	v_lshrrev_b32_e32 v4, 23, v4
	v_lshlrev_b32_e32 v2, 5, v2
	s_delay_alu instid0(VALU_DEP_2) | instskip(NEXT) | instid1(VALU_DEP_2)
	v_add_nc_u32_e32 v4, v0, v4
	v_sub_nc_u32_e32 v0, v0, v2
	s_delay_alu instid0(VALU_DEP_2) | instskip(NEXT) | instid1(VALU_DEP_1)
	v_ashrrev_i32_e32 v2, 9, v4
	v_lshl_add_u32 v0, v2, 5, v0
	v_mov_b32_e32 v2, 0xff800000
	s_delay_alu instid0(VALU_DEP_2)
	v_lshl_add_u32 v0, v0, 2, 0
	scratch_store_b32 v0, v2, off
.LBB197_9:
	s_or_b32 exec_lo, exec_lo, s1
	s_cmp_eq_u32 s8, 1
	s_cbranch_scc1 .LBB197_16
; %bb.10:
	s_add_i32 s18, s18, s16
	v_add_nc_u32_e32 v0, 1, v5
	v_add3_u32 v6, s18, v44, v43
	v_dual_mov_b32 v43, 0xff800000 :: v_dual_add_nc_u32 v2, 1, v3
	v_add_nc_u32_e32 v4, 1, v1
	s_add_i32 s14, s8, -1
	s_branch .LBB197_12
.LBB197_11:                             ;   in Loop: Header=BB197_12 Depth=1
	s_or_b32 exec_lo, exec_lo, s1
	v_add_nc_u32_e32 v6, s16, v6
	v_add_nc_u32_e32 v0, 1, v0
	;; [unrolled: 1-line block ×4, first 2 shown]
	s_add_i32 s14, s14, -1
	s_delay_alu instid0(SALU_CYCLE_1)
	s_cmp_eq_u32 s14, 0
	s_cbranch_scc1 .LBB197_16
.LBB197_12:                             ; =>This Inner Loop Header: Depth=1
	s_clause 0x7
	scratch_load_b128 v[44:47], off, off
	scratch_load_b128 v[48:51], off, off offset:16
	scratch_load_b128 v[52:55], off, off offset:32
	;; [unrolled: 1-line block ×7, first 2 shown]
	s_waitcnt vmcnt(7)
	v_cmp_gt_f32_e64 s0, v45, v44
	s_delay_alu instid0(VALU_DEP_1) | instskip(SKIP_1) | instid1(VALU_DEP_2)
	v_cndmask_b32_e64 v3, v44, v45, s0
	v_cndmask_b32_e64 v1, v11, v12, s0
	v_cmp_gt_f32_e64 s0, v46, v3
	s_delay_alu instid0(VALU_DEP_1) | instskip(NEXT) | instid1(VALU_DEP_3)
	v_cndmask_b32_e64 v3, v3, v46, s0
	v_cndmask_b32_e64 v1, v1, v13, s0
	s_delay_alu instid0(VALU_DEP_2) | instskip(NEXT) | instid1(VALU_DEP_1)
	v_cmp_gt_f32_e64 s0, v47, v3
	v_cndmask_b32_e64 v3, v3, v47, s0
	s_delay_alu instid0(VALU_DEP_3) | instskip(SKIP_1) | instid1(VALU_DEP_2)
	v_cndmask_b32_e64 v1, v1, v14, s0
	s_waitcnt vmcnt(6)
	v_cmp_gt_f32_e64 s0, v48, v3
	s_delay_alu instid0(VALU_DEP_1) | instskip(NEXT) | instid1(VALU_DEP_3)
	v_cndmask_b32_e64 v3, v3, v48, s0
	v_cndmask_b32_e64 v1, v1, v15, s0
	s_delay_alu instid0(VALU_DEP_2) | instskip(NEXT) | instid1(VALU_DEP_1)
	v_cmp_gt_f32_e64 s0, v49, v3
	v_cndmask_b32_e64 v3, v3, v49, s0
	s_delay_alu instid0(VALU_DEP_3) | instskip(NEXT) | instid1(VALU_DEP_2)
	v_cndmask_b32_e64 v1, v1, v16, s0
	v_cmp_gt_f32_e64 s0, v50, v3
	s_delay_alu instid0(VALU_DEP_1) | instskip(NEXT) | instid1(VALU_DEP_3)
	v_cndmask_b32_e64 v3, v3, v50, s0
	v_cndmask_b32_e64 v1, v1, v17, s0
	s_delay_alu instid0(VALU_DEP_2) | instskip(NEXT) | instid1(VALU_DEP_1)
	v_cmp_gt_f32_e64 s0, v51, v3
	v_cndmask_b32_e64 v3, v3, v51, s0
	s_delay_alu instid0(VALU_DEP_3) | instskip(SKIP_1) | instid1(VALU_DEP_2)
	v_cndmask_b32_e64 v1, v1, v18, s0
	s_waitcnt vmcnt(5)
	v_cmp_gt_f32_e64 s0, v52, v3
	s_delay_alu instid0(VALU_DEP_1) | instskip(NEXT) | instid1(VALU_DEP_3)
	v_cndmask_b32_e64 v3, v3, v52, s0
	v_cndmask_b32_e64 v1, v1, v19, s0
	s_delay_alu instid0(VALU_DEP_2) | instskip(NEXT) | instid1(VALU_DEP_1)
	v_cmp_gt_f32_e64 s0, v53, v3
	v_cndmask_b32_e64 v3, v3, v53, s0
	s_delay_alu instid0(VALU_DEP_3) | instskip(NEXT) | instid1(VALU_DEP_2)
	;; [unrolled: 19-line block ×7, first 2 shown]
	v_cndmask_b32_e64 v1, v1, v40, s0
	v_cmp_gt_f32_e64 s0, v74, v3
	s_delay_alu instid0(VALU_DEP_1) | instskip(NEXT) | instid1(VALU_DEP_3)
	v_cndmask_b32_e64 v3, v3, v74, s0
	v_cndmask_b32_e64 v1, v1, v41, s0
	s_delay_alu instid0(VALU_DEP_2) | instskip(NEXT) | instid1(VALU_DEP_1)
	v_cmp_gt_f32_e64 s0, v75, v3
	v_cndmask_b32_e64 v1, v1, v42, s0
	v_cndmask_b32_e64 v3, v3, v75, s0
	s_delay_alu instid0(VALU_DEP_2) | instskip(NEXT) | instid1(VALU_DEP_2)
	v_mov_b32_dpp v5, v1 quad_perm:[1,0,3,2] row_mask:0xf bank_mask:0xf
	v_mov_b32_dpp v44, v3 quad_perm:[1,0,3,2] row_mask:0xf bank_mask:0xf
	s_delay_alu instid0(VALU_DEP_2) | instskip(NEXT) | instid1(VALU_DEP_2)
	v_cmp_lt_i32_e64 s0, v5, v1
	v_cmp_eq_f32_e64 s1, v3, v44
	v_cmp_lt_f32_e64 s2, v3, v44
	s_delay_alu instid0(VALU_DEP_2)
	s_and_b32 s0, s1, s0
	s_delay_alu instid0(VALU_DEP_1) | instid1(SALU_CYCLE_1)
	s_or_b32 s0, s2, s0
	s_delay_alu instid0(SALU_CYCLE_1) | instskip(SKIP_1) | instid1(VALU_DEP_2)
	v_cndmask_b32_e64 v3, v3, v44, s0
	v_cndmask_b32_e64 v1, v1, v5, s0
	v_mov_b32_dpp v5, v3 quad_perm:[2,3,0,1] row_mask:0xf bank_mask:0xf
	s_delay_alu instid0(VALU_DEP_2) | instskip(NEXT) | instid1(VALU_DEP_2)
	v_mov_b32_dpp v44, v1 quad_perm:[2,3,0,1] row_mask:0xf bank_mask:0xf
	v_cmp_eq_f32_e64 s0, v3, v5
	s_delay_alu instid0(VALU_DEP_2) | instskip(SKIP_1) | instid1(VALU_DEP_2)
	v_cmp_lt_i32_e64 s1, v44, v1
	v_cmp_lt_f32_e64 s2, v3, v5
	s_and_b32 s0, s0, s1
	s_delay_alu instid0(VALU_DEP_1) | instid1(SALU_CYCLE_1)
	s_or_b32 s0, s2, s0
	s_delay_alu instid0(SALU_CYCLE_1) | instskip(SKIP_1) | instid1(VALU_DEP_2)
	v_cndmask_b32_e64 v3, v3, v5, s0
	v_cndmask_b32_e64 v5, v1, v44, s0
	v_mov_b32_dpp v1, v3 row_half_mirror row_mask:0xf bank_mask:0xf
	s_delay_alu instid0(VALU_DEP_2) | instskip(NEXT) | instid1(VALU_DEP_2)
	v_mov_b32_dpp v44, v5 row_half_mirror row_mask:0xf bank_mask:0xf
	v_cmp_eq_f32_e64 s0, v3, v1
	s_delay_alu instid0(VALU_DEP_2) | instskip(SKIP_1) | instid1(VALU_DEP_2)
	v_cmp_lt_i32_e64 s1, v44, v5
	v_cmp_lt_f32_e64 s2, v3, v1
	s_and_b32 s0, s0, s1
	s_delay_alu instid0(VALU_DEP_1) | instid1(SALU_CYCLE_1)
	s_or_b32 s0, s2, s0
	s_delay_alu instid0(SALU_CYCLE_1) | instskip(SKIP_1) | instid1(VALU_DEP_2)
	v_cndmask_b32_e64 v1, v3, v1, s0
	v_cndmask_b32_e64 v5, v5, v44, s0
	v_mov_b32_dpp v3, v1 row_mirror row_mask:0xf bank_mask:0xf
	s_delay_alu instid0(VALU_DEP_2) | instskip(NEXT) | instid1(VALU_DEP_2)
	v_mov_b32_dpp v44, v5 row_mirror row_mask:0xf bank_mask:0xf
	v_cmp_eq_f32_e64 s0, v1, v3
	s_delay_alu instid0(VALU_DEP_2) | instskip(SKIP_1) | instid1(VALU_DEP_2)
	v_cmp_lt_i32_e64 s1, v44, v5
	v_cmp_lt_f32_e64 s2, v1, v3
	s_and_b32 s0, s0, s1
	s_delay_alu instid0(VALU_DEP_1) | instid1(SALU_CYCLE_1)
	s_or_b32 s0, s2, s0
	s_delay_alu instid0(SALU_CYCLE_1)
	v_cndmask_b32_e64 v44, v5, v44, s0
	s_and_saveexec_b32 s2, vcc_lo
	s_cbranch_execz .LBB197_14
; %bb.13:                               ;   in Loop: Header=BB197_12 Depth=1
	v_cndmask_b32_e64 v1, v1, v3, s0
	s_delay_alu instid0(VALU_DEP_2) | instskip(SKIP_4) | instid1(VALU_DEP_4)
	v_cmp_le_i32_e64 s0, s9, v44
	v_cmp_gt_i32_e64 s1, s10, v44
	v_ashrrev_i32_e32 v5, 31, v4
	v_subrev_nc_u32_e32 v52, s9, v44
	v_sub_f32_e32 v51, v1, v7
	s_and_b32 s0, s0, s1
	s_delay_alu instid0(SALU_CYCLE_1) | instskip(NEXT) | instid1(VALU_DEP_1)
	s_and_b32 s0, s17, s0
	v_mul_f32_e32 v1, 0x3fb8aa3b, v51
	s_delay_alu instid0(VALU_DEP_1) | instskip(SKIP_1) | instid1(VALU_DEP_2)
	v_fma_f32 v3, 0x3fb8aa3b, v51, -v1
	v_rndne_f32_e32 v45, v1
	v_fmac_f32_e32 v3, 0x32a5705f, v51
	s_delay_alu instid0(VALU_DEP_2) | instskip(SKIP_2) | instid1(VALU_DEP_3)
	v_sub_f32_e32 v1, v1, v45
	v_cvt_i32_f32_e32 v50, v45
	v_lshlrev_b64 v[45:46], 2, v[4:5]
	v_add_f32_e32 v1, v1, v3
	v_ashrrev_i32_e32 v3, 31, v2
	s_delay_alu instid0(VALU_DEP_2) | instskip(SKIP_1) | instid1(VALU_DEP_2)
	v_exp_f32_e32 v49, v1
	v_ashrrev_i32_e32 v1, 31, v0
	v_lshlrev_b64 v[47:48], 2, v[2:3]
	s_waitcnt_depctr 0xfff
	v_ldexp_f32 v3, v49, v50
	v_lshlrev_b64 v[49:50], 2, v[0:1]
	v_cndmask_b32_e64 v1, 0x200, v52, s0
	v_cmp_ngt_f32_e64 s0, 0xc2ce8ed0, v51
	s_delay_alu instid0(VALU_DEP_1) | instskip(SKIP_1) | instid1(VALU_DEP_1)
	v_cndmask_b32_e64 v3, 0, v3, s0
	v_add_co_u32 v45, s0, s12, v45
	v_add_co_ci_u32_e64 v46, s0, s13, v46, s0
	v_cmp_nlt_f32_e64 s0, 0x42b17218, v51
	s_delay_alu instid0(VALU_DEP_1) | instskip(SKIP_2) | instid1(VALU_DEP_1)
	v_cndmask_b32_e64 v3, 0x7f800000, v3, s0
	s_waitcnt lgkmcnt(0)
	v_add_co_u32 v47, s0, s4, v47
	v_add_co_ci_u32_e64 v48, s0, s5, v48, s0
	s_delay_alu instid0(VALU_DEP_3) | instskip(SKIP_1) | instid1(VALU_DEP_1)
	v_add_f32_e32 v10, v10, v3
	v_add_co_u32 v49, s0, s6, v49
	v_add_co_ci_u32_e64 v50, s0, s7, v50, s0
	global_store_b32 v[45:46], v3, off
	global_store_b32 v[47:48], v1, off
	;; [unrolled: 1-line block ×3, first 2 shown]
.LBB197_14:                             ;   in Loop: Header=BB197_12 Depth=1
	s_or_b32 exec_lo, exec_lo, s2
	s_delay_alu instid0(VALU_DEP_1) | instskip(SKIP_1) | instid1(VALU_DEP_1)
	v_ashrrev_i32_e32 v3, 31, v44
	s_mov_b32 s1, exec_lo
	v_lshrrev_b32_e32 v1, 27, v3
	s_delay_alu instid0(VALU_DEP_1) | instskip(NEXT) | instid1(VALU_DEP_1)
	v_add_nc_u32_e32 v1, v44, v1
	v_ashrrev_i32_e32 v1, 5, v1
	s_delay_alu instid0(VALU_DEP_1) | instskip(NEXT) | instid1(VALU_DEP_1)
	v_lshrrev_b32_e32 v5, 28, v1
	v_add_nc_u32_e32 v5, v1, v5
	s_delay_alu instid0(VALU_DEP_1) | instskip(NEXT) | instid1(VALU_DEP_1)
	v_and_b32_e32 v5, -16, v5
	v_sub_nc_u32_e32 v5, v1, v5
	s_delay_alu instid0(VALU_DEP_1)
	v_cmpx_eq_u32_e64 v9, v5
	s_cbranch_execz .LBB197_11
; %bb.15:                               ;   in Loop: Header=BB197_12 Depth=1
	v_lshrrev_b32_e32 v3, 23, v3
	v_lshlrev_b32_e32 v1, 5, v1
	s_delay_alu instid0(VALU_DEP_2) | instskip(NEXT) | instid1(VALU_DEP_2)
	v_add_nc_u32_e32 v3, v44, v3
	v_sub_nc_u32_e32 v1, v44, v1
	s_delay_alu instid0(VALU_DEP_2) | instskip(NEXT) | instid1(VALU_DEP_1)
	v_ashrrev_i32_e32 v3, 9, v3
	v_lshl_add_u32 v1, v3, 5, v1
	s_delay_alu instid0(VALU_DEP_1)
	v_lshl_add_u32 v1, v1, 2, 0
	scratch_store_b32 v1, v43, off
	s_branch .LBB197_11
.LBB197_16:
	scratch_load_b64 v[0:1], off, off offset:92
	s_waitcnt vmcnt(0)
	v_dual_mov_b32 v4, v1 :: v_dual_mov_b32 v3, v0
.LBB197_17:
	scratch_load_b128 v[11:14], off, off
	s_waitcnt vmcnt(0)
	v_sub_f32_e32 v0, v11, v7
	s_delay_alu instid0(VALU_DEP_1) | instskip(NEXT) | instid1(VALU_DEP_1)
	v_mul_f32_e32 v1, 0x3fb8aa3b, v0
	v_fma_f32 v2, 0x3fb8aa3b, v0, -v1
	v_rndne_f32_e32 v5, v1
	s_delay_alu instid0(VALU_DEP_1) | instskip(SKIP_1) | instid1(VALU_DEP_4)
	v_sub_f32_e32 v1, v1, v5
	v_cmp_ngt_f32_e32 vcc_lo, 0xc2ce8ed0, v0
	v_fmac_f32_e32 v2, 0x32a5705f, v0
	s_delay_alu instid0(VALU_DEP_1) | instskip(SKIP_1) | instid1(VALU_DEP_2)
	v_add_f32_e32 v1, v1, v2
	v_cvt_i32_f32_e32 v2, v5
	v_exp_f32_e32 v1, v1
	s_waitcnt_depctr 0xfff
	v_ldexp_f32 v1, v1, v2
	s_delay_alu instid0(VALU_DEP_1) | instskip(SKIP_1) | instid1(VALU_DEP_2)
	v_cndmask_b32_e32 v1, 0, v1, vcc_lo
	v_cmp_nlt_f32_e32 vcc_lo, 0x42b17218, v0
	v_dual_cndmask_b32 v0, 0x7f800000, v1 :: v_dual_sub_f32 v1, v12, v7
	s_delay_alu instid0(VALU_DEP_1) | instskip(SKIP_1) | instid1(VALU_DEP_2)
	v_mul_f32_e32 v2, 0x3fb8aa3b, v1
	v_cmp_ngt_f32_e32 vcc_lo, 0xc2ce8ed0, v1
	v_fma_f32 v5, 0x3fb8aa3b, v1, -v2
	v_rndne_f32_e32 v6, v2
	s_delay_alu instid0(VALU_DEP_1) | instskip(NEXT) | instid1(VALU_DEP_1)
	v_dual_fmac_f32 v5, 0x32a5705f, v1 :: v_dual_sub_f32 v2, v2, v6
	v_add_f32_e32 v2, v2, v5
	v_cvt_i32_f32_e32 v5, v6
	s_delay_alu instid0(VALU_DEP_2) | instskip(SKIP_2) | instid1(VALU_DEP_1)
	v_exp_f32_e32 v2, v2
	s_waitcnt_depctr 0xfff
	v_ldexp_f32 v2, v2, v5
	v_cndmask_b32_e32 v2, 0, v2, vcc_lo
	v_cmp_nlt_f32_e32 vcc_lo, 0x42b17218, v1
	s_delay_alu instid0(VALU_DEP_2) | instskip(NEXT) | instid1(VALU_DEP_1)
	v_cndmask_b32_e32 v1, 0x7f800000, v2, vcc_lo
	v_dual_add_f32 v0, v0, v1 :: v_dual_sub_f32 v1, v13, v7
	s_delay_alu instid0(VALU_DEP_1) | instskip(SKIP_1) | instid1(VALU_DEP_2)
	v_mul_f32_e32 v2, 0x3fb8aa3b, v1
	v_cmp_ngt_f32_e32 vcc_lo, 0xc2ce8ed0, v1
	v_fma_f32 v5, 0x3fb8aa3b, v1, -v2
	v_rndne_f32_e32 v6, v2
	s_delay_alu instid0(VALU_DEP_1) | instskip(NEXT) | instid1(VALU_DEP_1)
	v_dual_fmac_f32 v5, 0x32a5705f, v1 :: v_dual_sub_f32 v2, v2, v6
	v_add_f32_e32 v2, v2, v5
	v_cvt_i32_f32_e32 v5, v6
	s_delay_alu instid0(VALU_DEP_2) | instskip(SKIP_2) | instid1(VALU_DEP_1)
	v_exp_f32_e32 v2, v2
	s_waitcnt_depctr 0xfff
	v_ldexp_f32 v2, v2, v5
	v_cndmask_b32_e32 v2, 0, v2, vcc_lo
	v_cmp_nlt_f32_e32 vcc_lo, 0x42b17218, v1
	s_delay_alu instid0(VALU_DEP_2) | instskip(NEXT) | instid1(VALU_DEP_1)
	v_cndmask_b32_e32 v1, 0x7f800000, v2, vcc_lo
	v_dual_add_f32 v0, v0, v1 :: v_dual_sub_f32 v1, v14, v7
	scratch_load_b128 v[11:14], off, off offset:16
	v_mul_f32_e32 v2, 0x3fb8aa3b, v1
	v_cmp_ngt_f32_e32 vcc_lo, 0xc2ce8ed0, v1
	s_delay_alu instid0(VALU_DEP_2) | instskip(SKIP_1) | instid1(VALU_DEP_1)
	v_fma_f32 v5, 0x3fb8aa3b, v1, -v2
	v_rndne_f32_e32 v6, v2
	v_dual_fmac_f32 v5, 0x32a5705f, v1 :: v_dual_sub_f32 v2, v2, v6
	s_delay_alu instid0(VALU_DEP_1) | instskip(SKIP_1) | instid1(VALU_DEP_2)
	v_add_f32_e32 v2, v2, v5
	v_cvt_i32_f32_e32 v5, v6
	v_exp_f32_e32 v2, v2
	s_waitcnt_depctr 0xfff
	v_ldexp_f32 v2, v2, v5
	s_delay_alu instid0(VALU_DEP_1) | instskip(SKIP_1) | instid1(VALU_DEP_2)
	v_cndmask_b32_e32 v2, 0, v2, vcc_lo
	v_cmp_nlt_f32_e32 vcc_lo, 0x42b17218, v1
	v_cndmask_b32_e32 v1, 0x7f800000, v2, vcc_lo
	s_waitcnt vmcnt(0)
	s_delay_alu instid0(VALU_DEP_1) | instskip(NEXT) | instid1(VALU_DEP_1)
	v_dual_add_f32 v0, v0, v1 :: v_dual_sub_f32 v1, v11, v7
	v_mul_f32_e32 v2, 0x3fb8aa3b, v1
	v_cmp_ngt_f32_e32 vcc_lo, 0xc2ce8ed0, v1
	s_delay_alu instid0(VALU_DEP_2) | instskip(SKIP_1) | instid1(VALU_DEP_1)
	v_fma_f32 v5, 0x3fb8aa3b, v1, -v2
	v_rndne_f32_e32 v6, v2
	v_dual_fmac_f32 v5, 0x32a5705f, v1 :: v_dual_sub_f32 v2, v2, v6
	s_delay_alu instid0(VALU_DEP_1) | instskip(SKIP_1) | instid1(VALU_DEP_2)
	v_add_f32_e32 v2, v2, v5
	v_cvt_i32_f32_e32 v5, v6
	v_exp_f32_e32 v2, v2
	s_waitcnt_depctr 0xfff
	v_ldexp_f32 v2, v2, v5
	s_delay_alu instid0(VALU_DEP_1) | instskip(SKIP_1) | instid1(VALU_DEP_2)
	v_cndmask_b32_e32 v2, 0, v2, vcc_lo
	v_cmp_nlt_f32_e32 vcc_lo, 0x42b17218, v1
	v_cndmask_b32_e32 v1, 0x7f800000, v2, vcc_lo
	s_delay_alu instid0(VALU_DEP_1) | instskip(SKIP_1) | instid1(VALU_DEP_1)
	v_add_f32_e32 v0, v0, v1
	v_sub_f32_e32 v1, v12, v7
	v_mul_f32_e32 v2, 0x3fb8aa3b, v1
	v_cmp_ngt_f32_e32 vcc_lo, 0xc2ce8ed0, v1
	s_delay_alu instid0(VALU_DEP_2) | instskip(SKIP_1) | instid1(VALU_DEP_1)
	v_fma_f32 v5, 0x3fb8aa3b, v1, -v2
	v_rndne_f32_e32 v6, v2
	v_dual_fmac_f32 v5, 0x32a5705f, v1 :: v_dual_sub_f32 v2, v2, v6
	s_delay_alu instid0(VALU_DEP_1) | instskip(SKIP_1) | instid1(VALU_DEP_2)
	v_add_f32_e32 v2, v2, v5
	v_cvt_i32_f32_e32 v5, v6
	v_exp_f32_e32 v2, v2
	s_waitcnt_depctr 0xfff
	v_ldexp_f32 v2, v2, v5
	s_delay_alu instid0(VALU_DEP_1) | instskip(SKIP_1) | instid1(VALU_DEP_2)
	v_cndmask_b32_e32 v2, 0, v2, vcc_lo
	v_cmp_nlt_f32_e32 vcc_lo, 0x42b17218, v1
	v_cndmask_b32_e32 v1, 0x7f800000, v2, vcc_lo
	s_delay_alu instid0(VALU_DEP_1) | instskip(NEXT) | instid1(VALU_DEP_1)
	v_dual_add_f32 v0, v0, v1 :: v_dual_sub_f32 v1, v13, v7
	v_mul_f32_e32 v2, 0x3fb8aa3b, v1
	v_cmp_ngt_f32_e32 vcc_lo, 0xc2ce8ed0, v1
	s_delay_alu instid0(VALU_DEP_2) | instskip(SKIP_1) | instid1(VALU_DEP_1)
	v_fma_f32 v5, 0x3fb8aa3b, v1, -v2
	v_rndne_f32_e32 v6, v2
	v_dual_fmac_f32 v5, 0x32a5705f, v1 :: v_dual_sub_f32 v2, v2, v6
	s_delay_alu instid0(VALU_DEP_1) | instskip(SKIP_1) | instid1(VALU_DEP_2)
	v_add_f32_e32 v2, v2, v5
	v_cvt_i32_f32_e32 v5, v6
	v_exp_f32_e32 v2, v2
	s_waitcnt_depctr 0xfff
	v_ldexp_f32 v2, v2, v5
	s_delay_alu instid0(VALU_DEP_1) | instskip(SKIP_1) | instid1(VALU_DEP_2)
	v_cndmask_b32_e32 v2, 0, v2, vcc_lo
	v_cmp_nlt_f32_e32 vcc_lo, 0x42b17218, v1
	v_cndmask_b32_e32 v1, 0x7f800000, v2, vcc_lo
	s_delay_alu instid0(VALU_DEP_1) | instskip(SKIP_3) | instid1(VALU_DEP_2)
	v_dual_add_f32 v0, v0, v1 :: v_dual_sub_f32 v1, v14, v7
	scratch_load_b128 v[11:14], off, off offset:32
	v_mul_f32_e32 v2, 0x3fb8aa3b, v1
	v_cmp_ngt_f32_e32 vcc_lo, 0xc2ce8ed0, v1
	v_fma_f32 v5, 0x3fb8aa3b, v1, -v2
	v_rndne_f32_e32 v6, v2
	s_delay_alu instid0(VALU_DEP_1) | instskip(NEXT) | instid1(VALU_DEP_1)
	v_dual_fmac_f32 v5, 0x32a5705f, v1 :: v_dual_sub_f32 v2, v2, v6
	v_add_f32_e32 v2, v2, v5
	v_cvt_i32_f32_e32 v5, v6
	s_delay_alu instid0(VALU_DEP_2) | instskip(SKIP_2) | instid1(VALU_DEP_1)
	v_exp_f32_e32 v2, v2
	s_waitcnt_depctr 0xfff
	v_ldexp_f32 v2, v2, v5
	v_cndmask_b32_e32 v2, 0, v2, vcc_lo
	v_cmp_nlt_f32_e32 vcc_lo, 0x42b17218, v1
	s_delay_alu instid0(VALU_DEP_2) | instskip(SKIP_1) | instid1(VALU_DEP_1)
	v_cndmask_b32_e32 v1, 0x7f800000, v2, vcc_lo
	s_waitcnt vmcnt(0)
	v_dual_add_f32 v0, v0, v1 :: v_dual_sub_f32 v1, v11, v7
	s_delay_alu instid0(VALU_DEP_1) | instskip(SKIP_1) | instid1(VALU_DEP_2)
	v_mul_f32_e32 v2, 0x3fb8aa3b, v1
	v_cmp_ngt_f32_e32 vcc_lo, 0xc2ce8ed0, v1
	v_fma_f32 v5, 0x3fb8aa3b, v1, -v2
	v_rndne_f32_e32 v6, v2
	s_delay_alu instid0(VALU_DEP_1) | instskip(NEXT) | instid1(VALU_DEP_1)
	v_dual_fmac_f32 v5, 0x32a5705f, v1 :: v_dual_sub_f32 v2, v2, v6
	v_add_f32_e32 v2, v2, v5
	v_cvt_i32_f32_e32 v5, v6
	s_delay_alu instid0(VALU_DEP_2) | instskip(SKIP_2) | instid1(VALU_DEP_1)
	v_exp_f32_e32 v2, v2
	s_waitcnt_depctr 0xfff
	v_ldexp_f32 v2, v2, v5
	v_cndmask_b32_e32 v2, 0, v2, vcc_lo
	v_cmp_nlt_f32_e32 vcc_lo, 0x42b17218, v1
	s_delay_alu instid0(VALU_DEP_2) | instskip(NEXT) | instid1(VALU_DEP_1)
	v_cndmask_b32_e32 v1, 0x7f800000, v2, vcc_lo
	v_add_f32_e32 v0, v0, v1
	v_sub_f32_e32 v1, v12, v7
	s_delay_alu instid0(VALU_DEP_1) | instskip(SKIP_1) | instid1(VALU_DEP_2)
	v_mul_f32_e32 v2, 0x3fb8aa3b, v1
	v_cmp_ngt_f32_e32 vcc_lo, 0xc2ce8ed0, v1
	v_fma_f32 v5, 0x3fb8aa3b, v1, -v2
	v_rndne_f32_e32 v6, v2
	s_delay_alu instid0(VALU_DEP_1) | instskip(NEXT) | instid1(VALU_DEP_1)
	v_dual_fmac_f32 v5, 0x32a5705f, v1 :: v_dual_sub_f32 v2, v2, v6
	v_add_f32_e32 v2, v2, v5
	v_cvt_i32_f32_e32 v5, v6
	s_delay_alu instid0(VALU_DEP_2) | instskip(SKIP_2) | instid1(VALU_DEP_1)
	v_exp_f32_e32 v2, v2
	s_waitcnt_depctr 0xfff
	v_ldexp_f32 v2, v2, v5
	v_cndmask_b32_e32 v2, 0, v2, vcc_lo
	v_cmp_nlt_f32_e32 vcc_lo, 0x42b17218, v1
	s_delay_alu instid0(VALU_DEP_2) | instskip(NEXT) | instid1(VALU_DEP_1)
	v_cndmask_b32_e32 v1, 0x7f800000, v2, vcc_lo
	v_dual_add_f32 v0, v0, v1 :: v_dual_sub_f32 v1, v13, v7
	s_delay_alu instid0(VALU_DEP_1) | instskip(SKIP_1) | instid1(VALU_DEP_2)
	v_mul_f32_e32 v2, 0x3fb8aa3b, v1
	v_cmp_ngt_f32_e32 vcc_lo, 0xc2ce8ed0, v1
	v_fma_f32 v5, 0x3fb8aa3b, v1, -v2
	v_rndne_f32_e32 v6, v2
	s_delay_alu instid0(VALU_DEP_1) | instskip(NEXT) | instid1(VALU_DEP_1)
	v_dual_fmac_f32 v5, 0x32a5705f, v1 :: v_dual_sub_f32 v2, v2, v6
	v_add_f32_e32 v2, v2, v5
	v_cvt_i32_f32_e32 v5, v6
	s_delay_alu instid0(VALU_DEP_2) | instskip(SKIP_2) | instid1(VALU_DEP_1)
	v_exp_f32_e32 v2, v2
	s_waitcnt_depctr 0xfff
	v_ldexp_f32 v2, v2, v5
	v_cndmask_b32_e32 v2, 0, v2, vcc_lo
	v_cmp_nlt_f32_e32 vcc_lo, 0x42b17218, v1
	s_delay_alu instid0(VALU_DEP_2) | instskip(NEXT) | instid1(VALU_DEP_1)
	v_cndmask_b32_e32 v1, 0x7f800000, v2, vcc_lo
	v_dual_add_f32 v0, v0, v1 :: v_dual_sub_f32 v1, v14, v7
	scratch_load_b128 v[11:14], off, off offset:48
	v_mul_f32_e32 v2, 0x3fb8aa3b, v1
	v_cmp_ngt_f32_e32 vcc_lo, 0xc2ce8ed0, v1
	s_delay_alu instid0(VALU_DEP_2) | instskip(SKIP_1) | instid1(VALU_DEP_1)
	v_fma_f32 v5, 0x3fb8aa3b, v1, -v2
	v_rndne_f32_e32 v6, v2
	v_dual_fmac_f32 v5, 0x32a5705f, v1 :: v_dual_sub_f32 v2, v2, v6
	s_delay_alu instid0(VALU_DEP_1) | instskip(SKIP_1) | instid1(VALU_DEP_2)
	v_add_f32_e32 v2, v2, v5
	v_cvt_i32_f32_e32 v5, v6
	v_exp_f32_e32 v2, v2
	s_waitcnt_depctr 0xfff
	v_ldexp_f32 v2, v2, v5
	s_delay_alu instid0(VALU_DEP_1) | instskip(SKIP_1) | instid1(VALU_DEP_2)
	v_cndmask_b32_e32 v2, 0, v2, vcc_lo
	v_cmp_nlt_f32_e32 vcc_lo, 0x42b17218, v1
	v_cndmask_b32_e32 v1, 0x7f800000, v2, vcc_lo
	s_waitcnt vmcnt(0)
	s_delay_alu instid0(VALU_DEP_1) | instskip(NEXT) | instid1(VALU_DEP_1)
	v_dual_add_f32 v0, v0, v1 :: v_dual_sub_f32 v1, v11, v7
	v_mul_f32_e32 v2, 0x3fb8aa3b, v1
	v_cmp_ngt_f32_e32 vcc_lo, 0xc2ce8ed0, v1
	s_delay_alu instid0(VALU_DEP_2) | instskip(SKIP_1) | instid1(VALU_DEP_1)
	v_fma_f32 v5, 0x3fb8aa3b, v1, -v2
	v_rndne_f32_e32 v6, v2
	v_dual_fmac_f32 v5, 0x32a5705f, v1 :: v_dual_sub_f32 v2, v2, v6
	s_delay_alu instid0(VALU_DEP_1) | instskip(SKIP_1) | instid1(VALU_DEP_2)
	v_add_f32_e32 v2, v2, v5
	v_cvt_i32_f32_e32 v5, v6
	v_exp_f32_e32 v2, v2
	s_waitcnt_depctr 0xfff
	v_ldexp_f32 v2, v2, v5
	s_delay_alu instid0(VALU_DEP_1) | instskip(SKIP_1) | instid1(VALU_DEP_2)
	v_cndmask_b32_e32 v2, 0, v2, vcc_lo
	v_cmp_nlt_f32_e32 vcc_lo, 0x42b17218, v1
	v_cndmask_b32_e32 v1, 0x7f800000, v2, vcc_lo
	s_delay_alu instid0(VALU_DEP_1) | instskip(SKIP_1) | instid1(VALU_DEP_1)
	v_add_f32_e32 v0, v0, v1
	v_sub_f32_e32 v1, v12, v7
	v_mul_f32_e32 v2, 0x3fb8aa3b, v1
	v_cmp_ngt_f32_e32 vcc_lo, 0xc2ce8ed0, v1
	s_delay_alu instid0(VALU_DEP_2) | instskip(SKIP_1) | instid1(VALU_DEP_1)
	v_fma_f32 v5, 0x3fb8aa3b, v1, -v2
	v_rndne_f32_e32 v6, v2
	v_dual_fmac_f32 v5, 0x32a5705f, v1 :: v_dual_sub_f32 v2, v2, v6
	s_delay_alu instid0(VALU_DEP_1) | instskip(SKIP_1) | instid1(VALU_DEP_2)
	v_add_f32_e32 v2, v2, v5
	v_cvt_i32_f32_e32 v5, v6
	v_exp_f32_e32 v2, v2
	s_waitcnt_depctr 0xfff
	v_ldexp_f32 v2, v2, v5
	s_delay_alu instid0(VALU_DEP_1) | instskip(SKIP_1) | instid1(VALU_DEP_2)
	v_cndmask_b32_e32 v2, 0, v2, vcc_lo
	v_cmp_nlt_f32_e32 vcc_lo, 0x42b17218, v1
	v_cndmask_b32_e32 v1, 0x7f800000, v2, vcc_lo
	s_delay_alu instid0(VALU_DEP_1) | instskip(NEXT) | instid1(VALU_DEP_1)
	v_dual_add_f32 v0, v0, v1 :: v_dual_sub_f32 v1, v13, v7
	v_mul_f32_e32 v2, 0x3fb8aa3b, v1
	v_cmp_ngt_f32_e32 vcc_lo, 0xc2ce8ed0, v1
	s_delay_alu instid0(VALU_DEP_2) | instskip(SKIP_1) | instid1(VALU_DEP_1)
	v_fma_f32 v5, 0x3fb8aa3b, v1, -v2
	v_rndne_f32_e32 v6, v2
	v_dual_fmac_f32 v5, 0x32a5705f, v1 :: v_dual_sub_f32 v2, v2, v6
	s_delay_alu instid0(VALU_DEP_1) | instskip(SKIP_1) | instid1(VALU_DEP_2)
	v_add_f32_e32 v2, v2, v5
	v_cvt_i32_f32_e32 v5, v6
	v_exp_f32_e32 v2, v2
	s_waitcnt_depctr 0xfff
	v_ldexp_f32 v2, v2, v5
	s_delay_alu instid0(VALU_DEP_1) | instskip(SKIP_1) | instid1(VALU_DEP_2)
	v_cndmask_b32_e32 v2, 0, v2, vcc_lo
	v_cmp_nlt_f32_e32 vcc_lo, 0x42b17218, v1
	v_cndmask_b32_e32 v1, 0x7f800000, v2, vcc_lo
	s_delay_alu instid0(VALU_DEP_1) | instskip(SKIP_3) | instid1(VALU_DEP_2)
	v_dual_add_f32 v0, v0, v1 :: v_dual_sub_f32 v1, v14, v7
	scratch_load_b128 v[11:14], off, off offset:64
	v_mul_f32_e32 v2, 0x3fb8aa3b, v1
	v_cmp_ngt_f32_e32 vcc_lo, 0xc2ce8ed0, v1
	v_fma_f32 v5, 0x3fb8aa3b, v1, -v2
	v_rndne_f32_e32 v6, v2
	s_delay_alu instid0(VALU_DEP_1) | instskip(NEXT) | instid1(VALU_DEP_1)
	v_dual_fmac_f32 v5, 0x32a5705f, v1 :: v_dual_sub_f32 v2, v2, v6
	v_add_f32_e32 v2, v2, v5
	v_cvt_i32_f32_e32 v5, v6
	s_delay_alu instid0(VALU_DEP_2) | instskip(SKIP_2) | instid1(VALU_DEP_1)
	v_exp_f32_e32 v2, v2
	s_waitcnt_depctr 0xfff
	v_ldexp_f32 v2, v2, v5
	v_cndmask_b32_e32 v2, 0, v2, vcc_lo
	v_cmp_nlt_f32_e32 vcc_lo, 0x42b17218, v1
	s_delay_alu instid0(VALU_DEP_2) | instskip(SKIP_1) | instid1(VALU_DEP_1)
	v_cndmask_b32_e32 v1, 0x7f800000, v2, vcc_lo
	s_waitcnt vmcnt(0)
	v_dual_add_f32 v0, v0, v1 :: v_dual_sub_f32 v1, v11, v7
	s_delay_alu instid0(VALU_DEP_1) | instskip(SKIP_1) | instid1(VALU_DEP_2)
	v_mul_f32_e32 v2, 0x3fb8aa3b, v1
	v_cmp_ngt_f32_e32 vcc_lo, 0xc2ce8ed0, v1
	v_fma_f32 v5, 0x3fb8aa3b, v1, -v2
	v_rndne_f32_e32 v6, v2
	s_delay_alu instid0(VALU_DEP_1) | instskip(NEXT) | instid1(VALU_DEP_1)
	v_dual_fmac_f32 v5, 0x32a5705f, v1 :: v_dual_sub_f32 v2, v2, v6
	v_add_f32_e32 v2, v2, v5
	v_cvt_i32_f32_e32 v5, v6
	s_delay_alu instid0(VALU_DEP_2) | instskip(SKIP_2) | instid1(VALU_DEP_1)
	v_exp_f32_e32 v2, v2
	s_waitcnt_depctr 0xfff
	v_ldexp_f32 v2, v2, v5
	v_cndmask_b32_e32 v2, 0, v2, vcc_lo
	v_cmp_nlt_f32_e32 vcc_lo, 0x42b17218, v1
	s_delay_alu instid0(VALU_DEP_2) | instskip(NEXT) | instid1(VALU_DEP_1)
	v_cndmask_b32_e32 v1, 0x7f800000, v2, vcc_lo
	v_add_f32_e32 v0, v0, v1
	v_sub_f32_e32 v1, v12, v7
	s_delay_alu instid0(VALU_DEP_1) | instskip(SKIP_1) | instid1(VALU_DEP_2)
	v_mul_f32_e32 v2, 0x3fb8aa3b, v1
	v_cmp_ngt_f32_e32 vcc_lo, 0xc2ce8ed0, v1
	v_fma_f32 v5, 0x3fb8aa3b, v1, -v2
	v_rndne_f32_e32 v6, v2
	s_delay_alu instid0(VALU_DEP_1) | instskip(NEXT) | instid1(VALU_DEP_1)
	v_dual_fmac_f32 v5, 0x32a5705f, v1 :: v_dual_sub_f32 v2, v2, v6
	v_add_f32_e32 v2, v2, v5
	v_cvt_i32_f32_e32 v5, v6
	s_delay_alu instid0(VALU_DEP_2) | instskip(SKIP_2) | instid1(VALU_DEP_1)
	v_exp_f32_e32 v2, v2
	s_waitcnt_depctr 0xfff
	v_ldexp_f32 v2, v2, v5
	v_cndmask_b32_e32 v2, 0, v2, vcc_lo
	v_cmp_nlt_f32_e32 vcc_lo, 0x42b17218, v1
	s_delay_alu instid0(VALU_DEP_2) | instskip(NEXT) | instid1(VALU_DEP_1)
	v_cndmask_b32_e32 v1, 0x7f800000, v2, vcc_lo
	v_dual_add_f32 v0, v0, v1 :: v_dual_sub_f32 v1, v13, v7
	s_delay_alu instid0(VALU_DEP_1) | instskip(SKIP_1) | instid1(VALU_DEP_2)
	v_mul_f32_e32 v2, 0x3fb8aa3b, v1
	v_cmp_ngt_f32_e32 vcc_lo, 0xc2ce8ed0, v1
	v_fma_f32 v5, 0x3fb8aa3b, v1, -v2
	v_rndne_f32_e32 v6, v2
	s_delay_alu instid0(VALU_DEP_1) | instskip(NEXT) | instid1(VALU_DEP_1)
	v_dual_fmac_f32 v5, 0x32a5705f, v1 :: v_dual_sub_f32 v2, v2, v6
	v_add_f32_e32 v2, v2, v5
	v_cvt_i32_f32_e32 v5, v6
	s_delay_alu instid0(VALU_DEP_2) | instskip(SKIP_2) | instid1(VALU_DEP_1)
	v_exp_f32_e32 v2, v2
	s_waitcnt_depctr 0xfff
	v_ldexp_f32 v2, v2, v5
	v_cndmask_b32_e32 v2, 0, v2, vcc_lo
	v_cmp_nlt_f32_e32 vcc_lo, 0x42b17218, v1
	s_delay_alu instid0(VALU_DEP_2) | instskip(NEXT) | instid1(VALU_DEP_1)
	v_cndmask_b32_e32 v1, 0x7f800000, v2, vcc_lo
	v_dual_add_f32 v0, v0, v1 :: v_dual_sub_f32 v1, v14, v7
	s_delay_alu instid0(VALU_DEP_1) | instskip(SKIP_1) | instid1(VALU_DEP_2)
	v_mul_f32_e32 v2, 0x3fb8aa3b, v1
	v_cmp_ngt_f32_e32 vcc_lo, 0xc2ce8ed0, v1
	v_fma_f32 v5, 0x3fb8aa3b, v1, -v2
	v_rndne_f32_e32 v6, v2
	s_delay_alu instid0(VALU_DEP_1) | instskip(NEXT) | instid1(VALU_DEP_1)
	v_dual_fmac_f32 v5, 0x32a5705f, v1 :: v_dual_sub_f32 v2, v2, v6
	v_add_f32_e32 v2, v2, v5
	v_cvt_i32_f32_e32 v5, v6
	s_delay_alu instid0(VALU_DEP_2) | instskip(SKIP_2) | instid1(VALU_DEP_1)
	v_exp_f32_e32 v2, v2
	s_waitcnt_depctr 0xfff
	v_ldexp_f32 v2, v2, v5
	v_cndmask_b32_e32 v2, 0, v2, vcc_lo
	v_cmp_nlt_f32_e32 vcc_lo, 0x42b17218, v1
	s_delay_alu instid0(VALU_DEP_2) | instskip(NEXT) | instid1(VALU_DEP_1)
	v_cndmask_b32_e32 v1, 0x7f800000, v2, vcc_lo
	v_add_f32_e32 v5, v0, v1
	scratch_load_b96 v[0:2], off, off offset:80
	s_waitcnt vmcnt(0)
	v_sub_f32_e32 v0, v0, v7
	s_delay_alu instid0(VALU_DEP_1) | instskip(SKIP_1) | instid1(VALU_DEP_2)
	v_dual_sub_f32 v1, v1, v7 :: v_dual_mul_f32 v6, 0x3fb8aa3b, v0
	v_cmp_ngt_f32_e32 vcc_lo, 0xc2ce8ed0, v0
	v_fma_f32 v11, 0x3fb8aa3b, v0, -v6
	v_rndne_f32_e32 v12, v6
	s_delay_alu instid0(VALU_DEP_2) | instskip(NEXT) | instid1(VALU_DEP_2)
	v_fmac_f32_e32 v11, 0x32a5705f, v0
	v_sub_f32_e32 v6, v6, v12
	s_delay_alu instid0(VALU_DEP_1) | instskip(SKIP_1) | instid1(VALU_DEP_2)
	v_add_f32_e32 v6, v6, v11
	v_cvt_i32_f32_e32 v11, v12
	v_exp_f32_e32 v6, v6
	s_waitcnt_depctr 0xfff
	v_ldexp_f32 v6, v6, v11
	s_delay_alu instid0(VALU_DEP_1) | instskip(SKIP_1) | instid1(VALU_DEP_2)
	v_cndmask_b32_e32 v6, 0, v6, vcc_lo
	v_cmp_nlt_f32_e32 vcc_lo, 0x42b17218, v0
	v_cndmask_b32_e32 v0, 0x7f800000, v6, vcc_lo
	v_cmp_ngt_f32_e32 vcc_lo, 0xc2ce8ed0, v1
	s_delay_alu instid0(VALU_DEP_2) | instskip(NEXT) | instid1(VALU_DEP_1)
	v_dual_add_f32 v0, v5, v0 :: v_dual_mul_f32 v5, 0x3fb8aa3b, v1
	v_fma_f32 v6, 0x3fb8aa3b, v1, -v5
	v_rndne_f32_e32 v11, v5
	s_delay_alu instid0(VALU_DEP_1) | instskip(NEXT) | instid1(VALU_DEP_1)
	v_dual_fmac_f32 v6, 0x32a5705f, v1 :: v_dual_sub_f32 v5, v5, v11
	v_add_f32_e32 v5, v5, v6
	v_cvt_i32_f32_e32 v6, v11
	s_delay_alu instid0(VALU_DEP_2) | instskip(SKIP_2) | instid1(VALU_DEP_1)
	v_exp_f32_e32 v5, v5
	s_waitcnt_depctr 0xfff
	v_ldexp_f32 v5, v5, v6
	v_cndmask_b32_e32 v5, 0, v5, vcc_lo
	v_cmp_nlt_f32_e32 vcc_lo, 0x42b17218, v1
	s_delay_alu instid0(VALU_DEP_2) | instskip(NEXT) | instid1(VALU_DEP_1)
	v_cndmask_b32_e32 v1, 0x7f800000, v5, vcc_lo
	v_dual_add_f32 v0, v0, v1 :: v_dual_sub_f32 v1, v2, v7
	s_delay_alu instid0(VALU_DEP_1) | instskip(SKIP_1) | instid1(VALU_DEP_2)
	v_mul_f32_e32 v2, 0x3fb8aa3b, v1
	v_cmp_ngt_f32_e32 vcc_lo, 0xc2ce8ed0, v1
	v_fma_f32 v5, 0x3fb8aa3b, v1, -v2
	v_rndne_f32_e32 v6, v2
	s_delay_alu instid0(VALU_DEP_1) | instskip(NEXT) | instid1(VALU_DEP_1)
	v_dual_fmac_f32 v5, 0x32a5705f, v1 :: v_dual_sub_f32 v2, v2, v6
	v_add_f32_e32 v2, v2, v5
	v_cvt_i32_f32_e32 v5, v6
	s_delay_alu instid0(VALU_DEP_2) | instskip(SKIP_2) | instid1(VALU_DEP_1)
	v_exp_f32_e32 v2, v2
	s_waitcnt_depctr 0xfff
	v_ldexp_f32 v2, v2, v5
	v_cndmask_b32_e32 v2, 0, v2, vcc_lo
	v_cmp_nlt_f32_e32 vcc_lo, 0x42b17218, v1
	s_delay_alu instid0(VALU_DEP_2) | instskip(NEXT) | instid1(VALU_DEP_1)
	v_cndmask_b32_e32 v1, 0x7f800000, v2, vcc_lo
	v_dual_add_f32 v0, v0, v1 :: v_dual_sub_f32 v1, v3, v7
	s_delay_alu instid0(VALU_DEP_1) | instskip(SKIP_1) | instid1(VALU_DEP_2)
	v_mul_f32_e32 v2, 0x3fb8aa3b, v1
	v_cmp_ngt_f32_e32 vcc_lo, 0xc2ce8ed0, v1
	v_fma_f32 v3, 0x3fb8aa3b, v1, -v2
	v_rndne_f32_e32 v5, v2
	s_delay_alu instid0(VALU_DEP_2) | instskip(NEXT) | instid1(VALU_DEP_2)
	v_fmac_f32_e32 v3, 0x32a5705f, v1
	v_sub_f32_e32 v2, v2, v5
	s_delay_alu instid0(VALU_DEP_1) | instskip(SKIP_1) | instid1(VALU_DEP_2)
	v_add_f32_e32 v2, v2, v3
	v_cvt_i32_f32_e32 v3, v5
	v_exp_f32_e32 v2, v2
	s_waitcnt_depctr 0xfff
	v_ldexp_f32 v2, v2, v3
	s_delay_alu instid0(VALU_DEP_1) | instskip(SKIP_1) | instid1(VALU_DEP_2)
	v_cndmask_b32_e32 v2, 0, v2, vcc_lo
	v_cmp_nlt_f32_e32 vcc_lo, 0x42b17218, v1
	v_cndmask_b32_e32 v1, 0x7f800000, v2, vcc_lo
	s_delay_alu instid0(VALU_DEP_1) | instskip(SKIP_1) | instid1(VALU_DEP_1)
	v_add_f32_e32 v0, v0, v1
	v_sub_f32_e32 v1, v4, v7
	v_mul_f32_e32 v2, 0x3fb8aa3b, v1
	v_cmp_ngt_f32_e32 vcc_lo, 0xc2ce8ed0, v1
	s_delay_alu instid0(VALU_DEP_2) | instskip(SKIP_1) | instid1(VALU_DEP_1)
	v_fma_f32 v3, 0x3fb8aa3b, v1, -v2
	v_rndne_f32_e32 v4, v2
	v_dual_fmac_f32 v3, 0x32a5705f, v1 :: v_dual_sub_f32 v2, v2, v4
	s_delay_alu instid0(VALU_DEP_1) | instskip(SKIP_1) | instid1(VALU_DEP_2)
	v_add_f32_e32 v2, v2, v3
	v_cvt_i32_f32_e32 v3, v4
	v_exp_f32_e32 v2, v2
	s_waitcnt_depctr 0xfff
	v_ldexp_f32 v2, v2, v3
	s_delay_alu instid0(VALU_DEP_1) | instskip(SKIP_1) | instid1(VALU_DEP_2)
	v_cndmask_b32_e32 v2, 0, v2, vcc_lo
	v_cmp_nlt_f32_e32 vcc_lo, 0x42b17218, v1
	v_cndmask_b32_e32 v1, 0x7f800000, v2, vcc_lo
	s_delay_alu instid0(VALU_DEP_1) | instskip(SKIP_4) | instid1(VALU_DEP_2)
	v_add_f32_e32 v4, v0, v1
	scratch_load_b128 v[0:3], off, off offset:100
	s_waitcnt vmcnt(0)
	v_sub_f32_e32 v0, v0, v7
	v_sub_f32_e32 v1, v1, v7
	v_mul_f32_e32 v5, 0x3fb8aa3b, v0
	v_cmp_ngt_f32_e32 vcc_lo, 0xc2ce8ed0, v0
	s_delay_alu instid0(VALU_DEP_2) | instskip(SKIP_1) | instid1(VALU_DEP_1)
	v_fma_f32 v6, 0x3fb8aa3b, v0, -v5
	v_rndne_f32_e32 v11, v5
	v_dual_fmac_f32 v6, 0x32a5705f, v0 :: v_dual_sub_f32 v5, v5, v11
	s_delay_alu instid0(VALU_DEP_1) | instskip(SKIP_1) | instid1(VALU_DEP_2)
	v_add_f32_e32 v5, v5, v6
	v_cvt_i32_f32_e32 v6, v11
	v_exp_f32_e32 v5, v5
	s_waitcnt_depctr 0xfff
	v_ldexp_f32 v5, v5, v6
	s_delay_alu instid0(VALU_DEP_1) | instskip(SKIP_1) | instid1(VALU_DEP_2)
	v_cndmask_b32_e32 v5, 0, v5, vcc_lo
	v_cmp_nlt_f32_e32 vcc_lo, 0x42b17218, v0
	v_cndmask_b32_e32 v0, 0x7f800000, v5, vcc_lo
	v_cmp_ngt_f32_e32 vcc_lo, 0xc2ce8ed0, v1
	s_delay_alu instid0(VALU_DEP_2) | instskip(SKIP_1) | instid1(VALU_DEP_1)
	v_add_f32_e32 v0, v4, v0
	v_mul_f32_e32 v4, 0x3fb8aa3b, v1
	v_fma_f32 v5, 0x3fb8aa3b, v1, -v4
	v_rndne_f32_e32 v6, v4
	s_delay_alu instid0(VALU_DEP_1) | instskip(NEXT) | instid1(VALU_DEP_1)
	v_dual_fmac_f32 v5, 0x32a5705f, v1 :: v_dual_sub_f32 v4, v4, v6
	v_add_f32_e32 v4, v4, v5
	v_cvt_i32_f32_e32 v5, v6
	s_delay_alu instid0(VALU_DEP_2) | instskip(SKIP_2) | instid1(VALU_DEP_1)
	v_exp_f32_e32 v4, v4
	s_waitcnt_depctr 0xfff
	v_ldexp_f32 v4, v4, v5
	v_cndmask_b32_e32 v4, 0, v4, vcc_lo
	v_cmp_nlt_f32_e32 vcc_lo, 0x42b17218, v1
	s_delay_alu instid0(VALU_DEP_2) | instskip(NEXT) | instid1(VALU_DEP_1)
	v_cndmask_b32_e32 v1, 0x7f800000, v4, vcc_lo
	v_dual_add_f32 v0, v0, v1 :: v_dual_sub_f32 v1, v2, v7
	s_delay_alu instid0(VALU_DEP_1) | instskip(SKIP_1) | instid1(VALU_DEP_2)
	v_mul_f32_e32 v2, 0x3fb8aa3b, v1
	v_cmp_ngt_f32_e32 vcc_lo, 0xc2ce8ed0, v1
	v_fma_f32 v4, 0x3fb8aa3b, v1, -v2
	v_rndne_f32_e32 v5, v2
	s_delay_alu instid0(VALU_DEP_2) | instskip(NEXT) | instid1(VALU_DEP_2)
	v_fmac_f32_e32 v4, 0x32a5705f, v1
	v_sub_f32_e32 v2, v2, v5
	s_delay_alu instid0(VALU_DEP_1) | instskip(SKIP_1) | instid1(VALU_DEP_2)
	v_add_f32_e32 v2, v2, v4
	v_cvt_i32_f32_e32 v4, v5
	v_exp_f32_e32 v2, v2
	s_waitcnt_depctr 0xfff
	v_ldexp_f32 v2, v2, v4
	s_delay_alu instid0(VALU_DEP_1) | instskip(SKIP_1) | instid1(VALU_DEP_2)
	v_cndmask_b32_e32 v2, 0, v2, vcc_lo
	v_cmp_nlt_f32_e32 vcc_lo, 0x42b17218, v1
	v_cndmask_b32_e32 v1, 0x7f800000, v2, vcc_lo
	s_delay_alu instid0(VALU_DEP_1) | instskip(NEXT) | instid1(VALU_DEP_1)
	v_dual_add_f32 v0, v0, v1 :: v_dual_sub_f32 v1, v3, v7
	v_mul_f32_e32 v2, 0x3fb8aa3b, v1
	v_cmp_ngt_f32_e32 vcc_lo, 0xc2ce8ed0, v1
	s_delay_alu instid0(VALU_DEP_2) | instskip(SKIP_1) | instid1(VALU_DEP_1)
	v_fma_f32 v3, 0x3fb8aa3b, v1, -v2
	v_rndne_f32_e32 v4, v2
	v_dual_fmac_f32 v3, 0x32a5705f, v1 :: v_dual_sub_f32 v2, v2, v4
	s_delay_alu instid0(VALU_DEP_1) | instskip(SKIP_1) | instid1(VALU_DEP_2)
	v_add_f32_e32 v2, v2, v3
	v_cvt_i32_f32_e32 v3, v4
	v_exp_f32_e32 v2, v2
	s_waitcnt_depctr 0xfff
	v_ldexp_f32 v2, v2, v3
	s_delay_alu instid0(VALU_DEP_1) | instskip(SKIP_1) | instid1(VALU_DEP_2)
	v_cndmask_b32_e32 v2, 0, v2, vcc_lo
	v_cmp_nlt_f32_e32 vcc_lo, 0x42b17218, v1
	v_cndmask_b32_e32 v1, 0x7f800000, v2, vcc_lo
	s_delay_alu instid0(VALU_DEP_1) | instskip(SKIP_3) | instid1(VALU_DEP_1)
	v_add_f32_e32 v3, v0, v1
	scratch_load_b96 v[0:2], off, off offset:116
	s_waitcnt vmcnt(0)
	v_sub_f32_e32 v0, v0, v7
	v_dual_sub_f32 v1, v1, v7 :: v_dual_mul_f32 v4, 0x3fb8aa3b, v0
	v_cmp_ngt_f32_e32 vcc_lo, 0xc2ce8ed0, v0
	s_delay_alu instid0(VALU_DEP_2) | instskip(SKIP_1) | instid1(VALU_DEP_1)
	v_fma_f32 v5, 0x3fb8aa3b, v0, -v4
	v_rndne_f32_e32 v6, v4
	v_dual_fmac_f32 v5, 0x32a5705f, v0 :: v_dual_sub_f32 v4, v4, v6
	s_delay_alu instid0(VALU_DEP_1) | instskip(SKIP_1) | instid1(VALU_DEP_2)
	v_add_f32_e32 v4, v4, v5
	v_cvt_i32_f32_e32 v5, v6
	v_exp_f32_e32 v4, v4
	s_waitcnt_depctr 0xfff
	v_ldexp_f32 v4, v4, v5
	s_delay_alu instid0(VALU_DEP_1) | instskip(SKIP_1) | instid1(VALU_DEP_2)
	v_cndmask_b32_e32 v4, 0, v4, vcc_lo
	v_cmp_nlt_f32_e32 vcc_lo, 0x42b17218, v0
	v_cndmask_b32_e32 v0, 0x7f800000, v4, vcc_lo
	v_cmp_ngt_f32_e32 vcc_lo, 0xc2ce8ed0, v1
	s_delay_alu instid0(VALU_DEP_2) | instskip(NEXT) | instid1(VALU_DEP_1)
	v_dual_add_f32 v0, v3, v0 :: v_dual_mul_f32 v3, 0x3fb8aa3b, v1
	v_fma_f32 v4, 0x3fb8aa3b, v1, -v3
	v_rndne_f32_e32 v5, v3
	s_delay_alu instid0(VALU_DEP_2) | instskip(NEXT) | instid1(VALU_DEP_2)
	v_fmac_f32_e32 v4, 0x32a5705f, v1
	v_sub_f32_e32 v3, v3, v5
	s_delay_alu instid0(VALU_DEP_1) | instskip(SKIP_1) | instid1(VALU_DEP_2)
	v_add_f32_e32 v3, v3, v4
	v_cvt_i32_f32_e32 v4, v5
	v_exp_f32_e32 v3, v3
	s_waitcnt_depctr 0xfff
	v_ldexp_f32 v3, v3, v4
	s_delay_alu instid0(VALU_DEP_1) | instskip(SKIP_1) | instid1(VALU_DEP_2)
	v_cndmask_b32_e32 v3, 0, v3, vcc_lo
	v_cmp_nlt_f32_e32 vcc_lo, 0x42b17218, v1
	v_cndmask_b32_e32 v1, 0x7f800000, v3, vcc_lo
	s_delay_alu instid0(VALU_DEP_1) | instskip(NEXT) | instid1(VALU_DEP_1)
	v_dual_add_f32 v0, v0, v1 :: v_dual_sub_f32 v1, v2, v7
	v_mul_f32_e32 v2, 0x3fb8aa3b, v1
	v_cmp_ngt_f32_e32 vcc_lo, 0xc2ce8ed0, v1
	s_delay_alu instid0(VALU_DEP_2) | instskip(SKIP_1) | instid1(VALU_DEP_1)
	v_fma_f32 v3, 0x3fb8aa3b, v1, -v2
	v_rndne_f32_e32 v4, v2
	v_dual_fmac_f32 v3, 0x32a5705f, v1 :: v_dual_sub_f32 v2, v2, v4
	s_delay_alu instid0(VALU_DEP_1) | instskip(SKIP_1) | instid1(VALU_DEP_2)
	v_add_f32_e32 v2, v2, v3
	v_cvt_i32_f32_e32 v3, v4
	v_exp_f32_e32 v2, v2
	s_waitcnt_depctr 0xfff
	v_ldexp_f32 v2, v2, v3
	s_delay_alu instid0(VALU_DEP_1) | instskip(SKIP_1) | instid1(VALU_DEP_2)
	v_cndmask_b32_e32 v2, 0, v2, vcc_lo
	v_cmp_nlt_f32_e32 vcc_lo, 0x42b17218, v1
	v_cndmask_b32_e32 v1, 0x7f800000, v2, vcc_lo
	v_cmp_eq_u32_e32 vcc_lo, 0, v9
	s_delay_alu instid0(VALU_DEP_2) | instskip(NEXT) | instid1(VALU_DEP_1)
	v_add_f32_e32 v0, v0, v1
	v_mov_b32_dpp v1, v0 quad_perm:[1,0,3,2] row_mask:0xf bank_mask:0xf
	s_delay_alu instid0(VALU_DEP_1) | instskip(NEXT) | instid1(VALU_DEP_1)
	v_add_f32_e32 v0, v0, v1
	v_mov_b32_dpp v1, v0 quad_perm:[2,3,0,1] row_mask:0xf bank_mask:0xf
	s_delay_alu instid0(VALU_DEP_1) | instskip(NEXT) | instid1(VALU_DEP_1)
	v_add_f32_e32 v0, v0, v1
	v_mov_b32_dpp v1, v0 row_half_mirror row_mask:0xf bank_mask:0xf
	s_delay_alu instid0(VALU_DEP_1) | instskip(NEXT) | instid1(VALU_DEP_1)
	v_add_f32_e32 v0, v0, v1
	v_mov_b32_dpp v1, v0 row_mirror row_mask:0xf bank_mask:0xf
	s_and_b32 exec_lo, exec_lo, vcc_lo
	s_cbranch_execz .LBB197_22
; %bb.18:
	s_delay_alu instid0(VALU_DEP_1) | instskip(NEXT) | instid1(VALU_DEP_1)
	v_add_f32_e32 v0, v0, v1
	v_add_f32_e32 v0, v10, v0
	s_delay_alu instid0(VALU_DEP_1)
	v_cmp_neq_f32_e32 vcc_lo, 0, v0
	s_and_b32 exec_lo, exec_lo, vcc_lo
	s_cbranch_execz .LBB197_22
; %bb.19:
	s_and_not1_b32 vcc_lo, exec_lo, s3
	s_cbranch_vccnz .LBB197_22
; %bb.20:
	v_div_scale_f32 v2, null, v0, v0, 1.0
	v_div_scale_f32 v4, vcc_lo, 1.0, v0, 1.0
	s_delay_alu instid0(VALU_DEP_2) | instskip(SKIP_2) | instid1(VALU_DEP_1)
	v_rcp_f32_e32 v3, v2
	s_waitcnt_depctr 0xfff
	v_fma_f32 v1, -v2, v3, 1.0
	v_fmac_f32_e32 v3, v1, v3
	v_mul_lo_u32 v1, v8, s11
	s_delay_alu instid0(VALU_DEP_2) | instskip(NEXT) | instid1(VALU_DEP_1)
	v_mul_f32_e32 v5, v4, v3
	v_fma_f32 v6, -v2, v5, v4
	s_delay_alu instid0(VALU_DEP_1) | instskip(NEXT) | instid1(VALU_DEP_1)
	v_fmac_f32_e32 v5, v6, v3
	v_fma_f32 v4, -v2, v5, v4
	v_ashrrev_i32_e32 v2, 31, v1
	s_delay_alu instid0(VALU_DEP_2) | instskip(NEXT) | instid1(VALU_DEP_2)
	v_div_fmas_f32 v5, v4, v3, v5
	v_lshlrev_b64 v[3:4], 2, v[1:2]
	s_delay_alu instid0(VALU_DEP_2) | instskip(NEXT) | instid1(VALU_DEP_2)
	v_div_fixup_f32 v2, v5, v0, 1.0
	v_add_co_u32 v0, vcc_lo, s12, v3
	s_delay_alu instid0(VALU_DEP_3)
	v_add_co_ci_u32_e32 v1, vcc_lo, s13, v4, vcc_lo
.LBB197_21:                             ; =>This Inner Loop Header: Depth=1
	global_load_b32 v3, v[0:1], off
	s_add_i32 s8, s8, -1
	s_delay_alu instid0(SALU_CYCLE_1)
	s_cmp_lg_u32 s8, 0
	s_waitcnt vmcnt(0)
	v_mul_f32_e32 v3, v2, v3
	global_store_b32 v[0:1], v3, off
	v_add_co_u32 v0, vcc_lo, v0, 4
	v_add_co_ci_u32_e32 v1, vcc_lo, 0, v1, vcc_lo
	s_cbranch_scc1 .LBB197_21
.LBB197_22:
	s_endpgm
	.section	.rodata,"a",@progbits
	.p2align	6, 0x0
	.amdhsa_kernel _ZN4vllm3moe17topkGatingSoftmaxIDF16_Li32ELi512ELi2ELi64ELb0ELi0ELNS0_23SharedExpertScoringFuncE0EEEvPKT_PKbPfiPiS9_iiiiii
		.amdhsa_group_segment_fixed_size 0
		.amdhsa_private_segment_fixed_size 144
		.amdhsa_kernarg_size 72
		.amdhsa_user_sgpr_count 15
		.amdhsa_user_sgpr_dispatch_ptr 0
		.amdhsa_user_sgpr_queue_ptr 0
		.amdhsa_user_sgpr_kernarg_segment_ptr 1
		.amdhsa_user_sgpr_dispatch_id 0
		.amdhsa_user_sgpr_private_segment_size 0
		.amdhsa_wavefront_size32 1
		.amdhsa_uses_dynamic_stack 0
		.amdhsa_enable_private_segment 1
		.amdhsa_system_sgpr_workgroup_id_x 1
		.amdhsa_system_sgpr_workgroup_id_y 0
		.amdhsa_system_sgpr_workgroup_id_z 0
		.amdhsa_system_sgpr_workgroup_info 0
		.amdhsa_system_vgpr_workitem_id 1
		.amdhsa_next_free_vgpr 76
		.amdhsa_next_free_sgpr 19
		.amdhsa_reserve_vcc 1
		.amdhsa_float_round_mode_32 0
		.amdhsa_float_round_mode_16_64 0
		.amdhsa_float_denorm_mode_32 3
		.amdhsa_float_denorm_mode_16_64 3
		.amdhsa_dx10_clamp 1
		.amdhsa_ieee_mode 1
		.amdhsa_fp16_overflow 0
		.amdhsa_workgroup_processor_mode 1
		.amdhsa_memory_ordered 1
		.amdhsa_forward_progress 0
		.amdhsa_shared_vgpr_count 0
		.amdhsa_exception_fp_ieee_invalid_op 0
		.amdhsa_exception_fp_denorm_src 0
		.amdhsa_exception_fp_ieee_div_zero 0
		.amdhsa_exception_fp_ieee_overflow 0
		.amdhsa_exception_fp_ieee_underflow 0
		.amdhsa_exception_fp_ieee_inexact 0
		.amdhsa_exception_int_div_zero 0
	.end_amdhsa_kernel
	.section	.text._ZN4vllm3moe17topkGatingSoftmaxIDF16_Li32ELi512ELi2ELi64ELb0ELi0ELNS0_23SharedExpertScoringFuncE0EEEvPKT_PKbPfiPiS9_iiiiii,"axG",@progbits,_ZN4vllm3moe17topkGatingSoftmaxIDF16_Li32ELi512ELi2ELi64ELb0ELi0ELNS0_23SharedExpertScoringFuncE0EEEvPKT_PKbPfiPiS9_iiiiii,comdat
.Lfunc_end197:
	.size	_ZN4vllm3moe17topkGatingSoftmaxIDF16_Li32ELi512ELi2ELi64ELb0ELi0ELNS0_23SharedExpertScoringFuncE0EEEvPKT_PKbPfiPiS9_iiiiii, .Lfunc_end197-_ZN4vllm3moe17topkGatingSoftmaxIDF16_Li32ELi512ELi2ELi64ELb0ELi0ELNS0_23SharedExpertScoringFuncE0EEEvPKT_PKbPfiPiS9_iiiiii
                                        ; -- End function
	.section	.AMDGPU.csdata,"",@progbits
; Kernel info:
; codeLenInByte = 7792
; NumSgprs: 21
; NumVgprs: 76
; ScratchSize: 144
; MemoryBound: 0
; FloatMode: 240
; IeeeMode: 1
; LDSByteSize: 0 bytes/workgroup (compile time only)
; SGPRBlocks: 2
; VGPRBlocks: 9
; NumSGPRsForWavesPerEU: 21
; NumVGPRsForWavesPerEU: 76
; Occupancy: 16
; WaveLimiterHint : 0
; COMPUTE_PGM_RSRC2:SCRATCH_EN: 1
; COMPUTE_PGM_RSRC2:USER_SGPR: 15
; COMPUTE_PGM_RSRC2:TRAP_HANDLER: 0
; COMPUTE_PGM_RSRC2:TGID_X_EN: 1
; COMPUTE_PGM_RSRC2:TGID_Y_EN: 0
; COMPUTE_PGM_RSRC2:TGID_Z_EN: 0
; COMPUTE_PGM_RSRC2:TIDIG_COMP_CNT: 1
	.section	.text._ZN4vllm3moe17topkGatingSoftmaxIDF16_Li32ELi512ELi2ELi64ELb1ELi1ELNS0_23SharedExpertScoringFuncE1EEEvPKT_PKbPfiPiS9_iiiiii,"axG",@progbits,_ZN4vllm3moe17topkGatingSoftmaxIDF16_Li32ELi512ELi2ELi64ELb1ELi1ELNS0_23SharedExpertScoringFuncE1EEEvPKT_PKbPfiPiS9_iiiiii,comdat
	.protected	_ZN4vllm3moe17topkGatingSoftmaxIDF16_Li32ELi512ELi2ELi64ELb1ELi1ELNS0_23SharedExpertScoringFuncE1EEEvPKT_PKbPfiPiS9_iiiiii ; -- Begin function _ZN4vllm3moe17topkGatingSoftmaxIDF16_Li32ELi512ELi2ELi64ELb1ELi1ELNS0_23SharedExpertScoringFuncE1EEEvPKT_PKbPfiPiS9_iiiiii
	.globl	_ZN4vllm3moe17topkGatingSoftmaxIDF16_Li32ELi512ELi2ELi64ELb1ELi1ELNS0_23SharedExpertScoringFuncE1EEEvPKT_PKbPfiPiS9_iiiiii
	.p2align	8
	.type	_ZN4vllm3moe17topkGatingSoftmaxIDF16_Li32ELi512ELi2ELi64ELb1ELi1ELNS0_23SharedExpertScoringFuncE1EEEvPKT_PKbPfiPiS9_iiiiii,@function
_ZN4vllm3moe17topkGatingSoftmaxIDF16_Li32ELi512ELi2ELi64ELb1ELi1ELNS0_23SharedExpertScoringFuncE1EEEvPKT_PKbPfiPiS9_iiiiii: ; @_ZN4vllm3moe17topkGatingSoftmaxIDF16_Li32ELi512ELi2ELi64ELb1ELi1ELNS0_23SharedExpertScoringFuncE1EEEvPKT_PKbPfiPiS9_iiiiii
; %bb.0:
	s_load_b32 s16, s[0:1], 0x18
	v_bfe_u32 v1, v0, 10, 10
	v_and_b32_e32 v0, 0x3ff, v0
	s_lshl_b32 s18, s15, 2
	s_mov_b32 s2, exec_lo
	s_delay_alu instid0(VALU_DEP_2) | instskip(NEXT) | instid1(VALU_DEP_2)
	v_lshlrev_b32_e32 v31, 1, v1
	v_lshrrev_b32_e32 v32, 4, v0
	s_delay_alu instid0(VALU_DEP_1) | instskip(SKIP_1) | instid1(VALU_DEP_1)
	v_add3_u32 v27, s18, v31, v32
	s_waitcnt lgkmcnt(0)
	v_cmpx_gt_i32_e64 s16, v27
	s_cbranch_execz .LBB198_22
; %bb.1:
	s_clause 0x1
	s_load_b128 s[4:7], s[0:1], 0x0
	s_load_b64 s[12:13], s[0:1], 0x10
	s_waitcnt lgkmcnt(0)
	s_cmp_eq_u64 s[6:7], 0
	s_cbranch_scc1 .LBB198_3
; %bb.2:
	v_ashrrev_i32_e32 v2, 31, v27
	v_add_co_u32 v1, vcc_lo, s6, v27
	s_delay_alu instid0(VALU_DEP_2) | instskip(SKIP_3) | instid1(VALU_DEP_1)
	v_add_co_ci_u32_e32 v2, vcc_lo, s7, v2, vcc_lo
	global_load_u8 v1, v[1:2], off
	s_waitcnt vmcnt(0)
	v_and_b32_e32 v1, 1, v1
	v_cmp_eq_u32_e32 vcc_lo, 1, v1
	s_xor_b32 s2, vcc_lo, -1
	s_delay_alu instid0(SALU_CYCLE_1)
	s_or_not1_b32 s17, s2, exec_lo
	s_branch .LBB198_4
.LBB198_3:
	s_mov_b32 s17, -1
.LBB198_4:
	s_clause 0x1
	s_load_b64 s[14:15], s[0:1], 0x40
	s_load_b128 s[8:11], s[0:1], 0x30
	v_and_b32_e32 v28, 15, v0
	s_delay_alu instid0(VALU_DEP_1) | instskip(SKIP_3) | instid1(VALU_DEP_1)
	v_dual_mov_b32 v30, 0 :: v_dual_lshlrev_b32 v29, 5, v28
	v_cmp_eq_u32_e64 s2, 0, v28
	s_waitcnt lgkmcnt(0)
	v_mul_lo_u32 v1, v27, s15
	v_ashrrev_i32_e32 v2, 31, v1
	s_delay_alu instid0(VALU_DEP_1) | instskip(SKIP_1) | instid1(VALU_DEP_2)
	v_lshlrev_b64 v[0:1], 1, v[1:2]
	v_lshlrev_b32_e32 v2, 6, v28
	v_add_co_u32 v25, vcc_lo, s4, v0
	s_delay_alu instid0(VALU_DEP_3) | instskip(NEXT) | instid1(VALU_DEP_2)
	v_add_co_ci_u32_e32 v26, vcc_lo, s5, v1, vcc_lo
	v_add_co_u32 v8, vcc_lo, v25, v2
	s_delay_alu instid0(VALU_DEP_2)
	v_add_co_ci_u32_e32 v9, vcc_lo, 0, v26, vcc_lo
	s_clause 0x3
	global_load_b128 v[0:3], v[8:9], off
	global_load_b128 v[4:7], v[8:9], off offset:16
	global_load_b128 v[34:37], v[8:9], off offset:32
	;; [unrolled: 1-line block ×3, first 2 shown]
	s_waitcnt vmcnt(3)
	v_lshrrev_b32_e32 v33, 16, v0
	v_cvt_f32_f16_e32 v23, v1
	v_lshrrev_b32_e32 v8, 16, v1
	v_cvt_f32_f16_e32 v17, v2
	v_lshrrev_b32_e32 v2, 16, v2
	v_cvt_f32_f16_e32 v19, v3
	v_lshrrev_b32_e32 v10, 16, v3
	s_waitcnt vmcnt(2)
	v_cvt_f32_f16_e32 v13, v4
	v_lshrrev_b32_e32 v4, 16, v4
	v_cvt_f32_f16_e32 v15, v5
	v_lshrrev_b32_e32 v12, 16, v5
	v_cvt_f32_f16_e32 v9, v6
	v_lshrrev_b32_e32 v6, 16, v6
	v_cvt_f32_f16_e32 v11, v7
	v_lshrrev_b32_e32 v42, 16, v7
	s_waitcnt vmcnt(1)
	v_cvt_f32_f16_e32 v1, v34
	;; [unrolled: 9-line block ×3, first 2 shown]
	v_lshrrev_b32_e32 v37, 16, v38
	v_cvt_f32_f16_e32 v36, v39
	v_lshrrev_b32_e32 v46, 16, v39
	v_cvt_f32_f16_e32 v38, v40
	;; [unrolled: 2-line block ×4, first 2 shown]
	v_cvt_f32_f16_e32 v22, v33
	v_cvt_f32_f16_e32 v24, v8
	;; [unrolled: 1-line block ×16, first 2 shown]
	s_clause 0x7
	scratch_store_b128 off, v[38:41], off offset:112
	scratch_store_b128 off, v[34:37], off offset:96
	;; [unrolled: 1-line block ×7, first 2 shown]
	scratch_store_b128 off, v[21:24], off
	s_and_saveexec_b32 s3, s2
	s_cbranch_execz .LBB198_6
; %bb.5:
	global_load_u16 v6, v[25:26], off offset:1024
	s_mov_b32 s4, 0x3fb8aa3b
	s_waitcnt vmcnt(0)
	v_cvt_f32_f16_e64 v7, -v6
	s_delay_alu instid0(VALU_DEP_1) | instskip(SKIP_1) | instid1(VALU_DEP_2)
	v_mul_f32_e32 v8, 0x3fb8aa3b, v7
	v_cmp_ngt_f32_e32 vcc_lo, 0xc2ce8ed0, v7
	v_rndne_f32_e32 v25, v8
	v_fma_mix_f32 v26, -v6, s4, -v8 op_sel_hi:[1,0,0]
	s_mov_b32 s4, 0x32a5705f
	s_delay_alu instid0(VALU_DEP_2) | instskip(NEXT) | instid1(VALU_DEP_2)
	v_sub_f32_e32 v8, v8, v25
	v_fma_mix_f32 v6, -v6, s4, v26 op_sel_hi:[1,0,0]
	s_delay_alu instid0(VALU_DEP_1) | instskip(SKIP_1) | instid1(VALU_DEP_2)
	v_add_f32_e32 v6, v8, v6
	v_cvt_i32_f32_e32 v8, v25
	v_exp_f32_e32 v6, v6
	s_waitcnt_depctr 0xfff
	v_ldexp_f32 v6, v6, v8
	s_delay_alu instid0(VALU_DEP_1) | instskip(SKIP_1) | instid1(VALU_DEP_2)
	v_cndmask_b32_e32 v6, 0, v6, vcc_lo
	v_cmp_nlt_f32_e32 vcc_lo, 0x42b17218, v7
	v_cndmask_b32_e32 v6, 0x7f800000, v6, vcc_lo
	s_delay_alu instid0(VALU_DEP_1) | instskip(NEXT) | instid1(VALU_DEP_1)
	v_add_f32_e32 v8, 1.0, v6
	v_div_scale_f32 v25, null, v8, v8, 1.0
	v_div_scale_f32 v34, vcc_lo, 1.0, v8, 1.0
	s_delay_alu instid0(VALU_DEP_2) | instskip(SKIP_2) | instid1(VALU_DEP_1)
	v_rcp_f32_e32 v26, v25
	s_waitcnt_depctr 0xfff
	v_fma_f32 v6, -v25, v26, 1.0
	v_fmac_f32_e32 v26, v6, v26
	v_mad_u64_u32 v[6:7], null, v27, s11, s[8:9]
	s_delay_alu instid0(VALU_DEP_2) | instskip(NEXT) | instid1(VALU_DEP_2)
	v_mul_f32_e32 v35, v34, v26
	v_ashrrev_i32_e32 v7, 31, v6
	s_delay_alu instid0(VALU_DEP_2) | instskip(NEXT) | instid1(VALU_DEP_2)
	v_fma_f32 v36, -v25, v35, v34
	v_lshlrev_b64 v[6:7], 2, v[6:7]
	s_delay_alu instid0(VALU_DEP_2) | instskip(NEXT) | instid1(VALU_DEP_1)
	v_fmac_f32_e32 v35, v36, v26
	v_fma_f32 v25, -v25, v35, v34
	s_delay_alu instid0(VALU_DEP_1) | instskip(NEXT) | instid1(VALU_DEP_4)
	v_div_fmas_f32 v25, v25, v26, v35
	v_add_co_u32 v6, vcc_lo, s12, v6
	v_add_co_ci_u32_e32 v7, vcc_lo, s13, v7, vcc_lo
	s_delay_alu instid0(VALU_DEP_3)
	v_div_fixup_f32 v8, v25, v8, 1.0
	global_store_b32 v[6:7], v8, off
.LBB198_6:
	s_or_b32 exec_lo, exec_lo, s3
	s_clause 0x2
	scratch_load_b128 v[34:37], off, off offset:84
	scratch_load_b128 v[38:41], off, off offset:100
	scratch_load_b96 v[42:44], off, off offset:116
	v_cmp_lt_f16_e32 vcc_lo, v0, v33
	v_or_b32_e32 v7, 1, v29
	v_or_b32_e32 v8, 2, v29
	;; [unrolled: 1-line block ×4, first 2 shown]
	v_cndmask_b32_e32 v6, v21, v22, vcc_lo
	v_cndmask_b32_e32 v0, v29, v7, vcc_lo
	v_or_b32_e32 v21, 3, v29
	v_or_b32_e32 v22, 4, v29
	;; [unrolled: 1-line block ×3, first 2 shown]
	v_cmp_lt_f32_e32 vcc_lo, v6, v23
	v_cndmask_b32_e32 v6, v6, v23, vcc_lo
	v_cndmask_b32_e32 v0, v0, v8, vcc_lo
	v_or_b32_e32 v23, 17, v29
	s_delay_alu instid0(VALU_DEP_3) | instskip(SKIP_1) | instid1(VALU_DEP_4)
	v_cmp_lt_f32_e32 vcc_lo, v6, v24
	v_cndmask_b32_e32 v6, v6, v24, vcc_lo
	v_cndmask_b32_e32 v0, v0, v21, vcc_lo
	v_or_b32_e32 v24, 18, v29
	s_delay_alu instid0(VALU_DEP_3) | instskip(SKIP_1) | instid1(VALU_DEP_4)
	v_cmp_lt_f32_e32 vcc_lo, v6, v17
	v_cndmask_b32_e32 v6, v6, v17, vcc_lo
	v_cndmask_b32_e32 v0, v0, v22, vcc_lo
	v_or_b32_e32 v17, 5, v29
	s_delay_alu instid0(VALU_DEP_3) | instskip(SKIP_1) | instid1(VALU_DEP_3)
	v_cmp_lt_f32_e32 vcc_lo, v6, v18
	v_cndmask_b32_e32 v6, v6, v18, vcc_lo
	v_cndmask_b32_e32 v0, v0, v17, vcc_lo
	v_or_b32_e32 v18, 6, v29
	s_delay_alu instid0(VALU_DEP_3) | instskip(SKIP_1) | instid1(VALU_DEP_3)
	;; [unrolled: 5-line block ×11, first 2 shown]
	v_cmp_lt_f32_e32 vcc_lo, v6, v12
	v_cndmask_b32_e32 v6, v6, v12, vcc_lo
	v_cndmask_b32_e32 v0, v0, v11, vcc_lo
	v_or_b32_e32 v12, 16, v29
	s_delay_alu instid0(VALU_DEP_3) | instskip(NEXT) | instid1(VALU_DEP_2)
	v_cmp_lt_f32_e32 vcc_lo, v6, v1
	v_dual_cndmask_b32 v1, v6, v1 :: v_dual_cndmask_b32 v0, v0, v12
	s_delay_alu instid0(VALU_DEP_1) | instskip(NEXT) | instid1(VALU_DEP_2)
	v_cmp_lt_f32_e32 vcc_lo, v1, v2
	v_dual_cndmask_b32 v1, v1, v2 :: v_dual_cndmask_b32 v0, v0, v23
	s_delay_alu instid0(VALU_DEP_1) | instskip(NEXT) | instid1(VALU_DEP_2)
	;; [unrolled: 3-line block ×4, first 2 shown]
	v_cmp_lt_f32_e32 vcc_lo, v1, v5
	v_dual_cndmask_b32 v1, v1, v5 :: v_dual_cndmask_b32 v0, v0, v26
	s_waitcnt vmcnt(2)
	s_delay_alu instid0(VALU_DEP_1) | instskip(NEXT) | instid1(VALU_DEP_2)
	v_cmp_lt_f32_e32 vcc_lo, v1, v34
	v_dual_cndmask_b32 v1, v1, v34 :: v_dual_cndmask_b32 v0, v0, v33
	v_or_b32_e32 v34, 22, v29
	s_delay_alu instid0(VALU_DEP_2) | instskip(NEXT) | instid1(VALU_DEP_2)
	v_cmp_lt_f32_e32 vcc_lo, v1, v35
	v_dual_cndmask_b32 v1, v1, v35 :: v_dual_cndmask_b32 v0, v0, v34
	v_or_b32_e32 v35, 23, v29
	s_delay_alu instid0(VALU_DEP_2) | instskip(NEXT) | instid1(VALU_DEP_2)
	;; [unrolled: 4-line block ×3, first 2 shown]
	v_cmp_lt_f32_e32 vcc_lo, v1, v37
	v_dual_cndmask_b32 v1, v1, v37 :: v_dual_cndmask_b32 v0, v0, v36
	v_or_b32_e32 v37, 25, v29
	s_waitcnt vmcnt(1)
	s_delay_alu instid0(VALU_DEP_2) | instskip(NEXT) | instid1(VALU_DEP_2)
	v_cmp_lt_f32_e32 vcc_lo, v1, v38
	v_dual_cndmask_b32 v1, v1, v38 :: v_dual_cndmask_b32 v0, v0, v37
	v_or_b32_e32 v38, 26, v29
	s_delay_alu instid0(VALU_DEP_2) | instskip(NEXT) | instid1(VALU_DEP_2)
	v_cmp_lt_f32_e32 vcc_lo, v1, v39
	v_dual_cndmask_b32 v1, v1, v39 :: v_dual_cndmask_b32 v0, v0, v38
	v_or_b32_e32 v39, 27, v29
	;; [unrolled: 4-line block ×4, first 2 shown]
	s_waitcnt vmcnt(0)
	s_delay_alu instid0(VALU_DEP_2) | instskip(NEXT) | instid1(VALU_DEP_2)
	v_cmp_lt_f32_e32 vcc_lo, v1, v42
	v_dual_cndmask_b32 v1, v1, v42 :: v_dual_cndmask_b32 v0, v0, v41
	v_or_b32_e32 v42, 30, v29
	s_delay_alu instid0(VALU_DEP_2) | instskip(NEXT) | instid1(VALU_DEP_2)
	v_cmp_lt_f32_e32 vcc_lo, v1, v43
	v_dual_cndmask_b32 v1, v1, v43 :: v_dual_cndmask_b32 v0, v0, v42
	v_or_b32_e32 v43, 31, v29
	s_delay_alu instid0(VALU_DEP_2) | instskip(NEXT) | instid1(VALU_DEP_2)
	v_cmp_lt_f32_e32 vcc_lo, v1, v44
	v_dual_cndmask_b32 v0, v0, v43 :: v_dual_cndmask_b32 v1, v1, v44
	s_delay_alu instid0(VALU_DEP_1) | instskip(NEXT) | instid1(VALU_DEP_2)
	v_mov_b32_dpp v2, v0 quad_perm:[1,0,3,2] row_mask:0xf bank_mask:0xf
	v_mov_b32_dpp v3, v1 quad_perm:[1,0,3,2] row_mask:0xf bank_mask:0xf
	s_delay_alu instid0(VALU_DEP_2) | instskip(NEXT) | instid1(VALU_DEP_2)
	v_cmp_lt_i32_e32 vcc_lo, v2, v0
	v_cmp_eq_f32_e64 s3, v1, v3
	v_cmp_lt_f32_e64 s4, v1, v3
	s_delay_alu instid0(VALU_DEP_2)
	s_and_b32 s3, s3, vcc_lo
	s_delay_alu instid0(VALU_DEP_1) | instid1(SALU_CYCLE_1)
	s_or_b32 vcc_lo, s4, s3
	v_dual_cndmask_b32 v1, v1, v3 :: v_dual_cndmask_b32 v0, v0, v2
	s_delay_alu instid0(VALU_DEP_1) | instskip(NEXT) | instid1(VALU_DEP_2)
	v_mov_b32_dpp v2, v1 quad_perm:[2,3,0,1] row_mask:0xf bank_mask:0xf
	v_mov_b32_dpp v3, v0 quad_perm:[2,3,0,1] row_mask:0xf bank_mask:0xf
	s_delay_alu instid0(VALU_DEP_2) | instskip(NEXT) | instid1(VALU_DEP_2)
	v_cmp_eq_f32_e32 vcc_lo, v1, v2
	v_cmp_lt_i32_e64 s3, v3, v0
	v_cmp_lt_f32_e64 s4, v1, v2
	s_delay_alu instid0(VALU_DEP_2)
	s_and_b32 s3, vcc_lo, s3
	s_delay_alu instid0(VALU_DEP_1) | instid1(SALU_CYCLE_1)
	s_or_b32 vcc_lo, s4, s3
	v_dual_cndmask_b32 v1, v1, v2 :: v_dual_cndmask_b32 v0, v0, v3
	s_delay_alu instid0(VALU_DEP_1) | instskip(NEXT) | instid1(VALU_DEP_2)
	v_mov_b32_dpp v2, v1 row_half_mirror row_mask:0xf bank_mask:0xf
	v_mov_b32_dpp v3, v0 row_half_mirror row_mask:0xf bank_mask:0xf
	s_delay_alu instid0(VALU_DEP_2) | instskip(NEXT) | instid1(VALU_DEP_2)
	v_cmp_eq_f32_e32 vcc_lo, v1, v2
	v_cmp_lt_i32_e64 s3, v3, v0
	v_cmp_lt_f32_e64 s4, v1, v2
	s_delay_alu instid0(VALU_DEP_2)
	s_and_b32 s3, vcc_lo, s3
	s_delay_alu instid0(VALU_DEP_1) | instid1(SALU_CYCLE_1)
	s_or_b32 vcc_lo, s4, s3
	s_cmp_gt_i32 s8, 0
	v_cndmask_b32_e32 v2, v1, v2, vcc_lo
	v_cndmask_b32_e32 v0, v0, v3, vcc_lo
	s_cselect_b32 s3, -1, 0
	s_delay_alu instid0(SALU_CYCLE_1) | instskip(NEXT) | instid1(VALU_DEP_2)
	s_and_b32 vcc_lo, exec_lo, s3
	v_mov_b32_dpp v4, v2 row_mirror row_mask:0xf bank_mask:0xf
	s_delay_alu instid0(VALU_DEP_2)
	v_mov_b32_dpp v6, v0 row_mirror row_mask:0xf bank_mask:0xf
	s_cbranch_vccz .LBB198_18
; %bb.7:
	s_load_b128 s[4:7], s[0:1], 0x20
	s_delay_alu instid0(VALU_DEP_2) | instskip(NEXT) | instid1(VALU_DEP_2)
	v_cmp_eq_f32_e32 vcc_lo, v2, v4
	v_cmp_lt_i32_e64 s0, v6, v0
	v_cmp_lt_f32_e64 s1, v2, v4
	v_mul_lo_u32 v1, v27, s11
	v_mul_lo_u32 v3, v27, s14
	;; [unrolled: 1-line block ×3, first 2 shown]
	s_and_b32 s0, vcc_lo, s0
	v_mov_b32_e32 v30, 0
	s_or_b32 vcc_lo, s1, s0
	v_cndmask_b32_e32 v0, v0, v6, vcc_lo
	v_cndmask_b32_e32 v44, v2, v4, vcc_lo
	s_and_saveexec_b32 s1, s2
	s_cbranch_execz .LBB198_9
; %bb.8:
	s_delay_alu instid0(VALU_DEP_1)
	v_sub_f32_e32 v30, v44, v44
	v_cmp_le_i32_e32 vcc_lo, s9, v0
	v_cmp_gt_i32_e64 s0, s10, v0
	v_subrev_nc_u32_e32 v51, s9, v0
	v_ashrrev_i32_e32 v6, 31, v5
	v_mul_f32_e32 v2, 0x3fb8aa3b, v30
	s_delay_alu instid0(VALU_DEP_4) | instskip(NEXT) | instid1(SALU_CYCLE_1)
	s_and_b32 s0, vcc_lo, s0
	s_and_b32 vcc_lo, s17, s0
	s_delay_alu instid0(VALU_DEP_1) | instskip(SKIP_2) | instid1(VALU_DEP_3)
	v_rndne_f32_e32 v47, v2
	v_fma_f32 v4, 0x3fb8aa3b, v30, -v2
	v_lshlrev_b64 v[49:50], 2, v[5:6]
	v_sub_f32_e32 v2, v2, v47
	s_delay_alu instid0(VALU_DEP_3) | instskip(NEXT) | instid1(VALU_DEP_1)
	v_fmamk_f32 v4, v30, 0x32a5705f, v4
	v_add_f32_e32 v4, v2, v4
	v_ashrrev_i32_e32 v2, 31, v1
	s_delay_alu instid0(VALU_DEP_2) | instskip(NEXT) | instid1(VALU_DEP_1)
	v_exp_f32_e32 v52, v4
	v_lshlrev_b64 v[45:46], 2, v[1:2]
	v_ashrrev_i32_e32 v4, 31, v3
	v_cvt_i32_f32_e32 v2, v47
	s_delay_alu instid0(VALU_DEP_2) | instskip(SKIP_3) | instid1(TRANS32_DEP_1)
	v_lshlrev_b64 v[47:48], 2, v[3:4]
	v_cndmask_b32_e32 v4, 0x200, v51, vcc_lo
	v_add_co_u32 v45, vcc_lo, s12, v45
	v_add_co_ci_u32_e32 v46, vcc_lo, s13, v46, vcc_lo
	v_ldexp_f32 v2, v52, v2
	v_cmp_ngt_f32_e32 vcc_lo, 0xc2ce8ed0, v30
	s_delay_alu instid0(VALU_DEP_2)
	v_cndmask_b32_e32 v2, 0, v2, vcc_lo
	s_waitcnt lgkmcnt(0)
	v_add_co_u32 v47, vcc_lo, s4, v47
	v_add_co_ci_u32_e32 v48, vcc_lo, s5, v48, vcc_lo
	v_cmp_nlt_f32_e32 vcc_lo, 0x42b17218, v30
	v_cndmask_b32_e32 v30, 0x7f800000, v2, vcc_lo
	v_add_co_u32 v49, vcc_lo, s6, v49
	v_add_co_ci_u32_e32 v50, vcc_lo, s7, v50, vcc_lo
	global_store_b32 v[47:48], v4, off
	global_store_b32 v[45:46], v30, off
	global_store_b32 v[49:50], v27, off
.LBB198_9:
	s_or_b32 exec_lo, exec_lo, s1
	v_ashrrev_i32_e32 v4, 31, v0
	s_mov_b32 s0, exec_lo
	s_delay_alu instid0(VALU_DEP_1) | instskip(NEXT) | instid1(VALU_DEP_1)
	v_lshrrev_b32_e32 v2, 27, v4
	v_add_nc_u32_e32 v2, v0, v2
	s_delay_alu instid0(VALU_DEP_1) | instskip(NEXT) | instid1(VALU_DEP_1)
	v_ashrrev_i32_e32 v2, 5, v2
	v_lshrrev_b32_e32 v6, 28, v2
	s_delay_alu instid0(VALU_DEP_1) | instskip(NEXT) | instid1(VALU_DEP_1)
	v_add_nc_u32_e32 v6, v2, v6
	v_and_b32_e32 v6, -16, v6
	s_delay_alu instid0(VALU_DEP_1) | instskip(NEXT) | instid1(VALU_DEP_1)
	v_sub_nc_u32_e32 v6, v2, v6
	v_cmpx_eq_u32_e64 v28, v6
	s_cbranch_execz .LBB198_11
; %bb.10:
	v_lshrrev_b32_e32 v4, 23, v4
	v_lshlrev_b32_e32 v2, 5, v2
	s_delay_alu instid0(VALU_DEP_2) | instskip(NEXT) | instid1(VALU_DEP_2)
	v_add_nc_u32_e32 v4, v0, v4
	v_sub_nc_u32_e32 v0, v0, v2
	s_delay_alu instid0(VALU_DEP_2) | instskip(NEXT) | instid1(VALU_DEP_1)
	v_ashrrev_i32_e32 v2, 9, v4
	v_lshl_add_u32 v0, v2, 5, v0
	v_mov_b32_e32 v2, 0xff800000
	s_delay_alu instid0(VALU_DEP_2)
	v_lshl_add_u32 v0, v0, 2, 0
	scratch_store_b32 v0, v2, off
.LBB198_11:
	s_or_b32 exec_lo, exec_lo, s0
	s_cmp_eq_u32 s8, 1
	s_cbranch_scc1 .LBB198_18
; %bb.12:
	s_add_i32 s18, s18, s16
	v_add_nc_u32_e32 v0, 1, v5
	v_add3_u32 v6, s18, v32, v31
	v_dual_mov_b32 v31, 0xff800000 :: v_dual_add_nc_u32 v2, 1, v3
	v_add_nc_u32_e32 v4, 1, v1
	s_add_i32 s14, s8, -1
	s_branch .LBB198_14
.LBB198_13:                             ;   in Loop: Header=BB198_14 Depth=1
	s_or_b32 exec_lo, exec_lo, s0
	v_add_nc_u32_e32 v6, s16, v6
	v_add_nc_u32_e32 v0, 1, v0
	;; [unrolled: 1-line block ×4, first 2 shown]
	s_add_i32 s14, s14, -1
	s_delay_alu instid0(SALU_CYCLE_1)
	s_cmp_eq_u32 s14, 0
	s_cbranch_scc1 .LBB198_18
.LBB198_14:                             ; =>This Inner Loop Header: Depth=1
	s_clause 0x7
	scratch_load_b128 v[45:48], off, off
	scratch_load_b128 v[49:52], off, off offset:16
	scratch_load_b128 v[53:56], off, off offset:32
	;; [unrolled: 1-line block ×7, first 2 shown]
	s_waitcnt vmcnt(7)
	v_cmp_gt_f32_e32 vcc_lo, v46, v45
	v_cndmask_b32_e32 v3, v45, v46, vcc_lo
	v_cndmask_b32_e32 v1, v29, v7, vcc_lo
	s_delay_alu instid0(VALU_DEP_2) | instskip(SKIP_1) | instid1(VALU_DEP_3)
	v_cmp_gt_f32_e32 vcc_lo, v47, v3
	v_cndmask_b32_e32 v3, v3, v47, vcc_lo
	v_cndmask_b32_e32 v1, v1, v8, vcc_lo
	s_delay_alu instid0(VALU_DEP_2) | instskip(SKIP_1) | instid1(VALU_DEP_3)
	v_cmp_gt_f32_e32 vcc_lo, v48, v3
	v_cndmask_b32_e32 v3, v3, v48, vcc_lo
	v_cndmask_b32_e32 v1, v1, v21, vcc_lo
	s_waitcnt vmcnt(6)
	s_delay_alu instid0(VALU_DEP_2) | instskip(SKIP_1) | instid1(VALU_DEP_3)
	v_cmp_gt_f32_e32 vcc_lo, v49, v3
	v_cndmask_b32_e32 v3, v3, v49, vcc_lo
	v_cndmask_b32_e32 v1, v1, v22, vcc_lo
	s_delay_alu instid0(VALU_DEP_2) | instskip(SKIP_1) | instid1(VALU_DEP_3)
	v_cmp_gt_f32_e32 vcc_lo, v50, v3
	v_cndmask_b32_e32 v3, v3, v50, vcc_lo
	v_cndmask_b32_e32 v1, v1, v17, vcc_lo
	s_delay_alu instid0(VALU_DEP_2) | instskip(SKIP_1) | instid1(VALU_DEP_3)
	v_cmp_gt_f32_e32 vcc_lo, v51, v3
	v_cndmask_b32_e32 v3, v3, v51, vcc_lo
	v_cndmask_b32_e32 v1, v1, v18, vcc_lo
	s_delay_alu instid0(VALU_DEP_2) | instskip(SKIP_1) | instid1(VALU_DEP_3)
	v_cmp_gt_f32_e32 vcc_lo, v52, v3
	v_cndmask_b32_e32 v3, v3, v52, vcc_lo
	v_cndmask_b32_e32 v1, v1, v19, vcc_lo
	s_waitcnt vmcnt(5)
	s_delay_alu instid0(VALU_DEP_2) | instskip(SKIP_1) | instid1(VALU_DEP_3)
	v_cmp_gt_f32_e32 vcc_lo, v53, v3
	v_cndmask_b32_e32 v3, v3, v53, vcc_lo
	v_cndmask_b32_e32 v1, v1, v20, vcc_lo
	s_delay_alu instid0(VALU_DEP_2) | instskip(SKIP_1) | instid1(VALU_DEP_3)
	;; [unrolled: 17-line block ×7, first 2 shown]
	v_cmp_gt_f32_e32 vcc_lo, v74, v3
	v_cndmask_b32_e32 v3, v3, v74, vcc_lo
	v_cndmask_b32_e32 v1, v1, v41, vcc_lo
	s_delay_alu instid0(VALU_DEP_2) | instskip(SKIP_1) | instid1(VALU_DEP_3)
	v_cmp_gt_f32_e32 vcc_lo, v75, v3
	v_cndmask_b32_e32 v3, v3, v75, vcc_lo
	v_cndmask_b32_e32 v1, v1, v42, vcc_lo
	s_delay_alu instid0(VALU_DEP_2) | instskip(NEXT) | instid1(VALU_DEP_2)
	v_cmp_gt_f32_e32 vcc_lo, v76, v3
	v_cndmask_b32_e32 v1, v1, v43, vcc_lo
	v_cndmask_b32_e32 v3, v3, v76, vcc_lo
	s_delay_alu instid0(VALU_DEP_2) | instskip(NEXT) | instid1(VALU_DEP_2)
	v_mov_b32_dpp v5, v1 quad_perm:[1,0,3,2] row_mask:0xf bank_mask:0xf
	v_mov_b32_dpp v32, v3 quad_perm:[1,0,3,2] row_mask:0xf bank_mask:0xf
	s_delay_alu instid0(VALU_DEP_2) | instskip(NEXT) | instid1(VALU_DEP_2)
	v_cmp_lt_i32_e32 vcc_lo, v5, v1
	v_cmp_eq_f32_e64 s0, v3, v32
	v_cmp_lt_f32_e64 s1, v3, v32
	s_delay_alu instid0(VALU_DEP_2)
	s_and_b32 s0, s0, vcc_lo
	s_delay_alu instid0(VALU_DEP_1) | instid1(SALU_CYCLE_1)
	s_or_b32 vcc_lo, s1, s0
	v_cndmask_b32_e32 v3, v3, v32, vcc_lo
	v_cndmask_b32_e32 v1, v1, v5, vcc_lo
	s_delay_alu instid0(VALU_DEP_2) | instskip(NEXT) | instid1(VALU_DEP_2)
	v_mov_b32_dpp v5, v3 quad_perm:[2,3,0,1] row_mask:0xf bank_mask:0xf
	v_mov_b32_dpp v32, v1 quad_perm:[2,3,0,1] row_mask:0xf bank_mask:0xf
	s_delay_alu instid0(VALU_DEP_2) | instskip(NEXT) | instid1(VALU_DEP_2)
	v_cmp_eq_f32_e32 vcc_lo, v3, v5
	v_cmp_lt_i32_e64 s0, v32, v1
	v_cmp_lt_f32_e64 s1, v3, v5
	s_delay_alu instid0(VALU_DEP_2)
	s_and_b32 s0, vcc_lo, s0
	s_delay_alu instid0(VALU_DEP_1) | instid1(SALU_CYCLE_1)
	s_or_b32 vcc_lo, s1, s0
	v_cndmask_b32_e32 v3, v3, v5, vcc_lo
	v_cndmask_b32_e32 v5, v1, v32, vcc_lo
	s_delay_alu instid0(VALU_DEP_2) | instskip(NEXT) | instid1(VALU_DEP_2)
	v_mov_b32_dpp v1, v3 row_half_mirror row_mask:0xf bank_mask:0xf
	v_mov_b32_dpp v32, v5 row_half_mirror row_mask:0xf bank_mask:0xf
	s_delay_alu instid0(VALU_DEP_2) | instskip(NEXT) | instid1(VALU_DEP_2)
	v_cmp_eq_f32_e32 vcc_lo, v3, v1
	v_cmp_lt_i32_e64 s0, v32, v5
	v_cmp_lt_f32_e64 s1, v3, v1
	s_delay_alu instid0(VALU_DEP_2)
	s_and_b32 s0, vcc_lo, s0
	s_delay_alu instid0(VALU_DEP_1) | instid1(SALU_CYCLE_1)
	s_or_b32 vcc_lo, s1, s0
	v_cndmask_b32_e32 v1, v3, v1, vcc_lo
	v_cndmask_b32_e32 v5, v5, v32, vcc_lo
	s_delay_alu instid0(VALU_DEP_2) | instskip(NEXT) | instid1(VALU_DEP_2)
	v_mov_b32_dpp v3, v1 row_mirror row_mask:0xf bank_mask:0xf
	v_mov_b32_dpp v32, v5 row_mirror row_mask:0xf bank_mask:0xf
	s_delay_alu instid0(VALU_DEP_2) | instskip(NEXT) | instid1(VALU_DEP_2)
	v_cmp_eq_f32_e32 vcc_lo, v1, v3
	v_cmp_lt_i32_e64 s0, v32, v5
	v_cmp_lt_f32_e64 s1, v1, v3
	s_delay_alu instid0(VALU_DEP_2)
	s_and_b32 s0, vcc_lo, s0
	s_delay_alu instid0(VALU_DEP_1) | instid1(SALU_CYCLE_1)
	s_or_b32 vcc_lo, s1, s0
	v_cndmask_b32_e32 v32, v5, v32, vcc_lo
	s_and_saveexec_b32 s1, s2
	s_cbranch_execz .LBB198_16
; %bb.15:                               ;   in Loop: Header=BB198_14 Depth=1
	v_cndmask_b32_e32 v1, v1, v3, vcc_lo
	s_delay_alu instid0(VALU_DEP_2) | instskip(SKIP_4) | instid1(VALU_DEP_4)
	v_cmp_le_i32_e32 vcc_lo, s9, v32
	v_cmp_gt_i32_e64 s0, s10, v32
	v_ashrrev_i32_e32 v5, 31, v4
	v_subrev_nc_u32_e32 v52, s9, v32
	v_sub_f32_e32 v51, v1, v44
	s_and_b32 s0, vcc_lo, s0
	s_delay_alu instid0(SALU_CYCLE_1) | instskip(NEXT) | instid1(VALU_DEP_1)
	s_and_b32 vcc_lo, s17, s0
	v_mul_f32_e32 v1, 0x3fb8aa3b, v51
	s_delay_alu instid0(VALU_DEP_1) | instskip(SKIP_1) | instid1(VALU_DEP_2)
	v_fma_f32 v3, 0x3fb8aa3b, v51, -v1
	v_rndne_f32_e32 v45, v1
	v_fmac_f32_e32 v3, 0x32a5705f, v51
	s_delay_alu instid0(VALU_DEP_2) | instskip(SKIP_2) | instid1(VALU_DEP_3)
	v_sub_f32_e32 v1, v1, v45
	v_cvt_i32_f32_e32 v50, v45
	v_lshlrev_b64 v[45:46], 2, v[4:5]
	v_add_f32_e32 v1, v1, v3
	v_ashrrev_i32_e32 v3, 31, v2
	s_delay_alu instid0(VALU_DEP_2) | instskip(SKIP_1) | instid1(VALU_DEP_2)
	v_exp_f32_e32 v49, v1
	v_ashrrev_i32_e32 v1, 31, v0
	v_lshlrev_b64 v[47:48], 2, v[2:3]
	s_waitcnt_depctr 0xfff
	v_ldexp_f32 v3, v49, v50
	v_lshlrev_b64 v[49:50], 2, v[0:1]
	v_cndmask_b32_e32 v1, 0x200, v52, vcc_lo
	v_cmp_ngt_f32_e32 vcc_lo, 0xc2ce8ed0, v51
	s_delay_alu instid0(VALU_DEP_4) | instskip(SKIP_3) | instid1(VALU_DEP_4)
	v_cndmask_b32_e32 v3, 0, v3, vcc_lo
	v_add_co_u32 v45, vcc_lo, s12, v45
	v_add_co_ci_u32_e32 v46, vcc_lo, s13, v46, vcc_lo
	v_cmp_nlt_f32_e32 vcc_lo, 0x42b17218, v51
	v_cndmask_b32_e32 v3, 0x7f800000, v3, vcc_lo
	s_waitcnt lgkmcnt(0)
	v_add_co_u32 v47, vcc_lo, s4, v47
	v_add_co_ci_u32_e32 v48, vcc_lo, s5, v48, vcc_lo
	s_delay_alu instid0(VALU_DEP_3)
	v_add_f32_e32 v30, v30, v3
	v_add_co_u32 v49, vcc_lo, s6, v49
	v_add_co_ci_u32_e32 v50, vcc_lo, s7, v50, vcc_lo
	global_store_b32 v[45:46], v3, off
	global_store_b32 v[47:48], v1, off
	;; [unrolled: 1-line block ×3, first 2 shown]
.LBB198_16:                             ;   in Loop: Header=BB198_14 Depth=1
	s_or_b32 exec_lo, exec_lo, s1
	s_delay_alu instid0(VALU_DEP_1) | instskip(SKIP_1) | instid1(VALU_DEP_1)
	v_ashrrev_i32_e32 v3, 31, v32
	s_mov_b32 s0, exec_lo
	v_lshrrev_b32_e32 v1, 27, v3
	s_delay_alu instid0(VALU_DEP_1) | instskip(NEXT) | instid1(VALU_DEP_1)
	v_add_nc_u32_e32 v1, v32, v1
	v_ashrrev_i32_e32 v1, 5, v1
	s_delay_alu instid0(VALU_DEP_1) | instskip(NEXT) | instid1(VALU_DEP_1)
	v_lshrrev_b32_e32 v5, 28, v1
	v_add_nc_u32_e32 v5, v1, v5
	s_delay_alu instid0(VALU_DEP_1) | instskip(NEXT) | instid1(VALU_DEP_1)
	v_and_b32_e32 v5, -16, v5
	v_sub_nc_u32_e32 v5, v1, v5
	s_delay_alu instid0(VALU_DEP_1)
	v_cmpx_eq_u32_e64 v28, v5
	s_cbranch_execz .LBB198_13
; %bb.17:                               ;   in Loop: Header=BB198_14 Depth=1
	v_lshrrev_b32_e32 v3, 23, v3
	v_lshlrev_b32_e32 v1, 5, v1
	s_delay_alu instid0(VALU_DEP_2) | instskip(NEXT) | instid1(VALU_DEP_2)
	v_add_nc_u32_e32 v3, v32, v3
	v_sub_nc_u32_e32 v1, v32, v1
	s_delay_alu instid0(VALU_DEP_2) | instskip(NEXT) | instid1(VALU_DEP_1)
	v_ashrrev_i32_e32 v3, 9, v3
	v_lshl_add_u32 v1, v3, 5, v1
	s_delay_alu instid0(VALU_DEP_1)
	v_lshl_add_u32 v1, v1, 2, 0
	scratch_store_b32 v1, v31, off
	s_branch .LBB198_13
.LBB198_18:
	v_cmp_neq_f32_e32 vcc_lo, 0, v30
	s_and_b32 s0, s2, vcc_lo
	s_delay_alu instid0(SALU_CYCLE_1)
	s_and_b32 exec_lo, exec_lo, s0
	s_cbranch_execz .LBB198_22
; %bb.19:
	s_and_not1_b32 vcc_lo, exec_lo, s3
	s_cbranch_vccnz .LBB198_22
; %bb.20:
	v_div_scale_f32 v1, null, v30, v30, 1.0
	v_div_scale_f32 v3, vcc_lo, 1.0, v30, 1.0
	s_delay_alu instid0(VALU_DEP_2) | instskip(SKIP_2) | instid1(VALU_DEP_1)
	v_rcp_f32_e32 v2, v1
	s_waitcnt_depctr 0xfff
	v_fma_f32 v0, -v1, v2, 1.0
	v_fmac_f32_e32 v2, v0, v2
	v_mul_lo_u32 v0, v27, s11
	s_delay_alu instid0(VALU_DEP_2) | instskip(NEXT) | instid1(VALU_DEP_1)
	v_mul_f32_e32 v4, v3, v2
	v_fma_f32 v5, -v1, v4, v3
	s_delay_alu instid0(VALU_DEP_1) | instskip(NEXT) | instid1(VALU_DEP_1)
	v_fmac_f32_e32 v4, v5, v2
	v_fma_f32 v3, -v1, v4, v3
	v_ashrrev_i32_e32 v1, 31, v0
	s_delay_alu instid0(VALU_DEP_2) | instskip(NEXT) | instid1(VALU_DEP_2)
	v_div_fmas_f32 v2, v3, v2, v4
	v_lshlrev_b64 v[0:1], 2, v[0:1]
	s_delay_alu instid0(VALU_DEP_2) | instskip(NEXT) | instid1(VALU_DEP_2)
	v_div_fixup_f32 v2, v2, v30, 1.0
	v_add_co_u32 v0, vcc_lo, s12, v0
	s_delay_alu instid0(VALU_DEP_3)
	v_add_co_ci_u32_e32 v1, vcc_lo, s13, v1, vcc_lo
.LBB198_21:                             ; =>This Inner Loop Header: Depth=1
	global_load_b32 v3, v[0:1], off
	s_add_i32 s8, s8, -1
	s_delay_alu instid0(SALU_CYCLE_1)
	s_cmp_lg_u32 s8, 0
	s_waitcnt vmcnt(0)
	v_mul_f32_e32 v3, v2, v3
	global_store_b32 v[0:1], v3, off
	v_add_co_u32 v0, vcc_lo, v0, 4
	v_add_co_ci_u32_e32 v1, vcc_lo, 0, v1, vcc_lo
	s_cbranch_scc1 .LBB198_21
.LBB198_22:
	s_endpgm
	.section	.rodata,"a",@progbits
	.p2align	6, 0x0
	.amdhsa_kernel _ZN4vllm3moe17topkGatingSoftmaxIDF16_Li32ELi512ELi2ELi64ELb1ELi1ELNS0_23SharedExpertScoringFuncE1EEEvPKT_PKbPfiPiS9_iiiiii
		.amdhsa_group_segment_fixed_size 0
		.amdhsa_private_segment_fixed_size 144
		.amdhsa_kernarg_size 72
		.amdhsa_user_sgpr_count 15
		.amdhsa_user_sgpr_dispatch_ptr 0
		.amdhsa_user_sgpr_queue_ptr 0
		.amdhsa_user_sgpr_kernarg_segment_ptr 1
		.amdhsa_user_sgpr_dispatch_id 0
		.amdhsa_user_sgpr_private_segment_size 0
		.amdhsa_wavefront_size32 1
		.amdhsa_uses_dynamic_stack 0
		.amdhsa_enable_private_segment 1
		.amdhsa_system_sgpr_workgroup_id_x 1
		.amdhsa_system_sgpr_workgroup_id_y 0
		.amdhsa_system_sgpr_workgroup_id_z 0
		.amdhsa_system_sgpr_workgroup_info 0
		.amdhsa_system_vgpr_workitem_id 1
		.amdhsa_next_free_vgpr 77
		.amdhsa_next_free_sgpr 19
		.amdhsa_reserve_vcc 1
		.amdhsa_float_round_mode_32 0
		.amdhsa_float_round_mode_16_64 0
		.amdhsa_float_denorm_mode_32 3
		.amdhsa_float_denorm_mode_16_64 3
		.amdhsa_dx10_clamp 1
		.amdhsa_ieee_mode 1
		.amdhsa_fp16_overflow 0
		.amdhsa_workgroup_processor_mode 1
		.amdhsa_memory_ordered 1
		.amdhsa_forward_progress 0
		.amdhsa_shared_vgpr_count 0
		.amdhsa_exception_fp_ieee_invalid_op 0
		.amdhsa_exception_fp_denorm_src 0
		.amdhsa_exception_fp_ieee_div_zero 0
		.amdhsa_exception_fp_ieee_overflow 0
		.amdhsa_exception_fp_ieee_underflow 0
		.amdhsa_exception_fp_ieee_inexact 0
		.amdhsa_exception_int_div_zero 0
	.end_amdhsa_kernel
	.section	.text._ZN4vllm3moe17topkGatingSoftmaxIDF16_Li32ELi512ELi2ELi64ELb1ELi1ELNS0_23SharedExpertScoringFuncE1EEEvPKT_PKbPfiPiS9_iiiiii,"axG",@progbits,_ZN4vllm3moe17topkGatingSoftmaxIDF16_Li32ELi512ELi2ELi64ELb1ELi1ELNS0_23SharedExpertScoringFuncE1EEEvPKT_PKbPfiPiS9_iiiiii,comdat
.Lfunc_end198:
	.size	_ZN4vllm3moe17topkGatingSoftmaxIDF16_Li32ELi512ELi2ELi64ELb1ELi1ELNS0_23SharedExpertScoringFuncE1EEEvPKT_PKbPfiPiS9_iiiiii, .Lfunc_end198-_ZN4vllm3moe17topkGatingSoftmaxIDF16_Li32ELi512ELi2ELi64ELb1ELi1ELNS0_23SharedExpertScoringFuncE1EEEvPKT_PKbPfiPiS9_iiiiii
                                        ; -- End function
	.section	.AMDGPU.csdata,"",@progbits
; Kernel info:
; codeLenInByte = 3804
; NumSgprs: 21
; NumVgprs: 77
; ScratchSize: 144
; MemoryBound: 0
; FloatMode: 240
; IeeeMode: 1
; LDSByteSize: 0 bytes/workgroup (compile time only)
; SGPRBlocks: 2
; VGPRBlocks: 9
; NumSGPRsForWavesPerEU: 21
; NumVGPRsForWavesPerEU: 77
; Occupancy: 16
; WaveLimiterHint : 0
; COMPUTE_PGM_RSRC2:SCRATCH_EN: 1
; COMPUTE_PGM_RSRC2:USER_SGPR: 15
; COMPUTE_PGM_RSRC2:TRAP_HANDLER: 0
; COMPUTE_PGM_RSRC2:TGID_X_EN: 1
; COMPUTE_PGM_RSRC2:TGID_Y_EN: 0
; COMPUTE_PGM_RSRC2:TGID_Z_EN: 0
; COMPUTE_PGM_RSRC2:TIDIG_COMP_CNT: 1
	.section	.text._ZN4vllm3moe17topkGatingSoftmaxIDF16_Li32ELi512ELi2ELi64ELb0ELi1ELNS0_23SharedExpertScoringFuncE1EEEvPKT_PKbPfiPiS9_iiiiii,"axG",@progbits,_ZN4vllm3moe17topkGatingSoftmaxIDF16_Li32ELi512ELi2ELi64ELb0ELi1ELNS0_23SharedExpertScoringFuncE1EEEvPKT_PKbPfiPiS9_iiiiii,comdat
	.protected	_ZN4vllm3moe17topkGatingSoftmaxIDF16_Li32ELi512ELi2ELi64ELb0ELi1ELNS0_23SharedExpertScoringFuncE1EEEvPKT_PKbPfiPiS9_iiiiii ; -- Begin function _ZN4vllm3moe17topkGatingSoftmaxIDF16_Li32ELi512ELi2ELi64ELb0ELi1ELNS0_23SharedExpertScoringFuncE1EEEvPKT_PKbPfiPiS9_iiiiii
	.globl	_ZN4vllm3moe17topkGatingSoftmaxIDF16_Li32ELi512ELi2ELi64ELb0ELi1ELNS0_23SharedExpertScoringFuncE1EEEvPKT_PKbPfiPiS9_iiiiii
	.p2align	8
	.type	_ZN4vllm3moe17topkGatingSoftmaxIDF16_Li32ELi512ELi2ELi64ELb0ELi1ELNS0_23SharedExpertScoringFuncE1EEEvPKT_PKbPfiPiS9_iiiiii,@function
_ZN4vllm3moe17topkGatingSoftmaxIDF16_Li32ELi512ELi2ELi64ELb0ELi1ELNS0_23SharedExpertScoringFuncE1EEEvPKT_PKbPfiPiS9_iiiiii: ; @_ZN4vllm3moe17topkGatingSoftmaxIDF16_Li32ELi512ELi2ELi64ELb0ELi1ELNS0_23SharedExpertScoringFuncE1EEEvPKT_PKbPfiPiS9_iiiiii
; %bb.0:
	s_load_b32 s16, s[0:1], 0x18
	v_bfe_u32 v1, v0, 10, 10
	v_and_b32_e32 v0, 0x3ff, v0
	s_lshl_b32 s18, s15, 2
	s_mov_b32 s2, exec_lo
	s_delay_alu instid0(VALU_DEP_2) | instskip(NEXT) | instid1(VALU_DEP_2)
	v_lshlrev_b32_e32 v33, 1, v1
	v_lshrrev_b32_e32 v34, 4, v0
	s_delay_alu instid0(VALU_DEP_1) | instskip(SKIP_1) | instid1(VALU_DEP_1)
	v_add3_u32 v29, s18, v33, v34
	s_waitcnt lgkmcnt(0)
	v_cmpx_gt_i32_e64 s16, v29
	s_cbranch_execz .LBB199_24
; %bb.1:
	s_clause 0x1
	s_load_b128 s[4:7], s[0:1], 0x0
	s_load_b64 s[12:13], s[0:1], 0x10
	s_waitcnt lgkmcnt(0)
	s_cmp_eq_u64 s[6:7], 0
	s_cbranch_scc1 .LBB199_3
; %bb.2:
	v_ashrrev_i32_e32 v2, 31, v29
	v_add_co_u32 v1, vcc_lo, s6, v29
	s_delay_alu instid0(VALU_DEP_2) | instskip(SKIP_3) | instid1(VALU_DEP_1)
	v_add_co_ci_u32_e32 v2, vcc_lo, s7, v2, vcc_lo
	global_load_u8 v1, v[1:2], off
	s_waitcnt vmcnt(0)
	v_and_b32_e32 v1, 1, v1
	v_cmp_eq_u32_e32 vcc_lo, 1, v1
	s_xor_b32 s2, vcc_lo, -1
	s_delay_alu instid0(SALU_CYCLE_1)
	s_or_not1_b32 s17, s2, exec_lo
	s_branch .LBB199_4
.LBB199_3:
	s_mov_b32 s17, -1
.LBB199_4:
	s_clause 0x1
	s_load_b64 s[14:15], s[0:1], 0x40
	s_load_b128 s[8:11], s[0:1], 0x30
	v_dual_mov_b32 v30, 0 :: v_dual_and_b32 v31, 15, v0
	s_delay_alu instid0(VALU_DEP_1) | instskip(SKIP_3) | instid1(VALU_DEP_1)
	v_lshlrev_b32_e32 v32, 5, v31
	v_cmp_eq_u32_e64 s2, 0, v31
	s_waitcnt lgkmcnt(0)
	v_mul_lo_u32 v1, v29, s15
	v_ashrrev_i32_e32 v2, 31, v1
	s_delay_alu instid0(VALU_DEP_1) | instskip(SKIP_1) | instid1(VALU_DEP_2)
	v_lshlrev_b64 v[0:1], 1, v[1:2]
	v_lshlrev_b32_e32 v2, 6, v31
	v_add_co_u32 v0, vcc_lo, s4, v0
	s_delay_alu instid0(VALU_DEP_3) | instskip(NEXT) | instid1(VALU_DEP_2)
	v_add_co_ci_u32_e32 v1, vcc_lo, s5, v1, vcc_lo
	v_add_co_u32 v2, vcc_lo, v0, v2
	s_delay_alu instid0(VALU_DEP_2)
	v_add_co_ci_u32_e32 v3, vcc_lo, 0, v1, vcc_lo
	s_clause 0x3
	global_load_b128 v[4:7], v[2:3], off
	global_load_b128 v[8:11], v[2:3], off offset:16
	global_load_b128 v[36:39], v[2:3], off offset:32
	;; [unrolled: 1-line block ×3, first 2 shown]
	s_waitcnt vmcnt(3)
	v_lshrrev_b32_e32 v35, 16, v4
	v_cvt_f32_f16_e32 v27, v5
	v_lshrrev_b32_e32 v2, 16, v5
	v_cvt_f32_f16_e32 v21, v6
	v_lshrrev_b32_e32 v3, 16, v6
	v_cvt_f32_f16_e32 v23, v7
	v_lshrrev_b32_e32 v6, 16, v7
	s_waitcnt vmcnt(2)
	v_cvt_f32_f16_e32 v17, v8
	v_lshrrev_b32_e32 v8, 16, v8
	v_cvt_f32_f16_e32 v19, v9
	v_lshrrev_b32_e32 v12, 16, v9
	v_cvt_f32_f16_e32 v13, v10
	v_lshrrev_b32_e32 v10, 16, v10
	v_cvt_f32_f16_e32 v15, v11
	v_lshrrev_b32_e32 v16, 16, v11
	s_waitcnt vmcnt(1)
	v_cvt_f32_f16_e32 v5, v36
	;; [unrolled: 9-line block ×3, first 2 shown]
	v_lshrrev_b32_e32 v39, 16, v40
	v_cvt_f32_f16_e32 v38, v41
	v_lshrrev_b32_e32 v47, 16, v41
	v_cvt_f32_f16_e32 v40, v42
	;; [unrolled: 2-line block ×4, first 2 shown]
	v_cvt_f32_f16_e32 v26, v35
	v_cvt_f32_f16_e32 v28, v2
	;; [unrolled: 1-line block ×16, first 2 shown]
	s_clause 0x7
	scratch_store_b128 off, v[40:43], off offset:112
	scratch_store_b128 off, v[36:39], off offset:96
	;; [unrolled: 1-line block ×7, first 2 shown]
	scratch_store_b128 off, v[25:28], off
	s_and_saveexec_b32 s3, s2
	s_cbranch_execz .LBB199_6
; %bb.5:
	global_load_u16 v0, v[0:1], off offset:1024
	s_mov_b32 s4, 0x3fb8aa3b
	s_waitcnt vmcnt(0)
	v_cvt_f32_f16_e64 v1, -v0
	s_delay_alu instid0(VALU_DEP_1) | instskip(SKIP_1) | instid1(VALU_DEP_2)
	v_mul_f32_e32 v2, 0x3fb8aa3b, v1
	v_cmp_ngt_f32_e32 vcc_lo, 0xc2ce8ed0, v1
	v_rndne_f32_e32 v3, v2
	v_fma_mix_f32 v10, -v0, s4, -v2 op_sel_hi:[1,0,0]
	s_mov_b32 s4, 0x32a5705f
	s_delay_alu instid0(VALU_DEP_2) | instskip(NEXT) | instid1(VALU_DEP_2)
	v_sub_f32_e32 v2, v2, v3
	v_fma_mix_f32 v0, -v0, s4, v10 op_sel_hi:[1,0,0]
	s_delay_alu instid0(VALU_DEP_1) | instskip(SKIP_1) | instid1(VALU_DEP_2)
	v_add_f32_e32 v0, v2, v0
	v_cvt_i32_f32_e32 v2, v3
	v_exp_f32_e32 v0, v0
	s_waitcnt_depctr 0xfff
	v_ldexp_f32 v0, v0, v2
	s_delay_alu instid0(VALU_DEP_1) | instskip(SKIP_1) | instid1(VALU_DEP_2)
	v_cndmask_b32_e32 v0, 0, v0, vcc_lo
	v_cmp_nlt_f32_e32 vcc_lo, 0x42b17218, v1
	v_cndmask_b32_e32 v0, 0x7f800000, v0, vcc_lo
	s_delay_alu instid0(VALU_DEP_1) | instskip(NEXT) | instid1(VALU_DEP_1)
	v_add_f32_e32 v2, 1.0, v0
	v_div_scale_f32 v3, null, v2, v2, 1.0
	v_div_scale_f32 v11, vcc_lo, 1.0, v2, 1.0
	s_delay_alu instid0(VALU_DEP_2) | instskip(SKIP_2) | instid1(VALU_DEP_1)
	v_rcp_f32_e32 v10, v3
	s_waitcnt_depctr 0xfff
	v_fma_f32 v0, -v3, v10, 1.0
	v_fmac_f32_e32 v10, v0, v10
	v_mad_u64_u32 v[0:1], null, v29, s11, s[8:9]
	s_delay_alu instid0(VALU_DEP_2) | instskip(NEXT) | instid1(VALU_DEP_2)
	v_mul_f32_e32 v12, v11, v10
	v_ashrrev_i32_e32 v1, 31, v0
	s_delay_alu instid0(VALU_DEP_2) | instskip(NEXT) | instid1(VALU_DEP_2)
	v_fma_f32 v36, -v3, v12, v11
	v_lshlrev_b64 v[0:1], 2, v[0:1]
	s_delay_alu instid0(VALU_DEP_2) | instskip(NEXT) | instid1(VALU_DEP_1)
	v_fmac_f32_e32 v12, v36, v10
	v_fma_f32 v3, -v3, v12, v11
	s_delay_alu instid0(VALU_DEP_1) | instskip(NEXT) | instid1(VALU_DEP_4)
	v_div_fmas_f32 v3, v3, v10, v12
	v_add_co_u32 v0, vcc_lo, s12, v0
	v_add_co_ci_u32_e32 v1, vcc_lo, s13, v1, vcc_lo
	s_delay_alu instid0(VALU_DEP_3)
	v_div_fixup_f32 v2, v3, v2, 1.0
	global_store_b32 v[0:1], v2, off
.LBB199_6:
	s_or_b32 exec_lo, exec_lo, s3
	s_clause 0x2
	scratch_load_b128 v[0:3], off, off offset:84
	scratch_load_b128 v[39:42], off, off offset:100
	scratch_load_b96 v[43:45], off, off offset:116
	v_cmp_lt_f16_e32 vcc_lo, v4, v35
	v_or_b32_e32 v10, 1, v32
	v_or_b32_e32 v36, 23, v32
	;; [unrolled: 1-line block ×4, first 2 shown]
	v_cndmask_b32_e32 v12, v25, v26, vcc_lo
	v_cndmask_b32_e32 v4, v32, v10, vcc_lo
	v_or_b32_e32 v37, 24, v32
	v_or_b32_e32 v35, 22, v32
	s_delay_alu instid0(VALU_DEP_4) | instskip(SKIP_4) | instid1(VALU_DEP_4)
	v_cmp_lt_f32_e32 vcc_lo, v12, v27
	v_cndmask_b32_e32 v25, v12, v27, vcc_lo
	v_cndmask_b32_e32 v4, v4, v11, vcc_lo
	v_or_b32_e32 v12, 3, v32
	v_or_b32_e32 v27, 18, v32
	v_cmp_lt_f32_e32 vcc_lo, v25, v28
	v_cndmask_b32_e32 v26, v25, v28, vcc_lo
	s_delay_alu instid0(VALU_DEP_4) | instskip(SKIP_2) | instid1(VALU_DEP_4)
	v_cndmask_b32_e32 v4, v4, v12, vcc_lo
	v_or_b32_e32 v25, 4, v32
	v_or_b32_e32 v28, 19, v32
	v_cmp_lt_f32_e32 vcc_lo, v26, v21
	v_cndmask_b32_e32 v26, v26, v21, vcc_lo
	s_delay_alu instid0(VALU_DEP_4) | instskip(SKIP_1) | instid1(VALU_DEP_3)
	v_cndmask_b32_e32 v4, v4, v25, vcc_lo
	v_or_b32_e32 v21, 5, v32
	v_cmp_lt_f32_e32 vcc_lo, v26, v22
	v_cndmask_b32_e32 v26, v26, v22, vcc_lo
	s_delay_alu instid0(VALU_DEP_3) | instskip(SKIP_1) | instid1(VALU_DEP_3)
	v_cndmask_b32_e32 v4, v4, v21, vcc_lo
	v_or_b32_e32 v22, 6, v32
	v_cmp_lt_f32_e32 vcc_lo, v26, v23
	v_cndmask_b32_e32 v26, v26, v23, vcc_lo
	s_delay_alu instid0(VALU_DEP_3) | instskip(SKIP_1) | instid1(VALU_DEP_3)
	;; [unrolled: 5-line block ×11, first 2 shown]
	v_cndmask_b32_e32 v4, v4, v15, vcc_lo
	v_or_b32_e32 v16, 16, v32
	v_cmp_lt_f32_e32 vcc_lo, v26, v5
	s_delay_alu instid0(VALU_DEP_2) | instskip(SKIP_1) | instid1(VALU_DEP_2)
	v_dual_cndmask_b32 v5, v26, v5 :: v_dual_cndmask_b32 v4, v4, v16
	v_or_b32_e32 v26, 17, v32
	v_cmp_lt_f32_e32 vcc_lo, v5, v6
	v_cndmask_b32_e32 v5, v5, v6, vcc_lo
	s_delay_alu instid0(VALU_DEP_3) | instskip(NEXT) | instid1(VALU_DEP_2)
	v_cndmask_b32_e32 v4, v4, v26, vcc_lo
	v_cmp_lt_f32_e32 vcc_lo, v5, v7
	v_cndmask_b32_e32 v5, v5, v7, vcc_lo
	s_delay_alu instid0(VALU_DEP_3) | instskip(NEXT) | instid1(VALU_DEP_2)
	v_cndmask_b32_e32 v4, v4, v27, vcc_lo
	v_cmp_lt_f32_e32 vcc_lo, v5, v8
	v_cndmask_b32_e32 v5, v5, v8, vcc_lo
	s_delay_alu instid0(VALU_DEP_3) | instskip(SKIP_1) | instid1(VALU_DEP_3)
	v_cndmask_b32_e32 v4, v4, v28, vcc_lo
	v_or_b32_e32 v8, 20, v32
	v_cmp_lt_f32_e32 vcc_lo, v5, v9
	s_delay_alu instid0(VALU_DEP_2) | instskip(SKIP_2) | instid1(VALU_DEP_2)
	v_dual_cndmask_b32 v5, v5, v9 :: v_dual_cndmask_b32 v4, v4, v8
	v_or_b32_e32 v9, 21, v32
	s_waitcnt vmcnt(2)
	v_cmp_lt_f32_e32 vcc_lo, v5, v0
	v_cndmask_b32_e32 v0, v5, v0, vcc_lo
	s_delay_alu instid0(VALU_DEP_3) | instskip(NEXT) | instid1(VALU_DEP_2)
	v_cndmask_b32_e32 v4, v4, v9, vcc_lo
	v_cmp_lt_f32_e32 vcc_lo, v0, v1
	v_cndmask_b32_e32 v0, v0, v1, vcc_lo
	s_delay_alu instid0(VALU_DEP_3) | instskip(NEXT) | instid1(VALU_DEP_2)
	v_cndmask_b32_e32 v4, v4, v35, vcc_lo
	;; [unrolled: 4-line block ×3, first 2 shown]
	v_cmp_lt_f32_e32 vcc_lo, v0, v3
	s_delay_alu instid0(VALU_DEP_2) | instskip(SKIP_1) | instid1(VALU_DEP_1)
	v_dual_cndmask_b32 v0, v0, v3 :: v_dual_cndmask_b32 v1, v1, v37
	s_waitcnt vmcnt(1)
	v_cmp_lt_f32_e32 vcc_lo, v0, v39
	s_delay_alu instid0(VALU_DEP_2) | instskip(SKIP_1) | instid1(VALU_DEP_2)
	v_dual_cndmask_b32 v0, v0, v39 :: v_dual_cndmask_b32 v1, v1, v38
	v_or_b32_e32 v39, 26, v32
	v_cmp_lt_f32_e32 vcc_lo, v0, v40
	s_delay_alu instid0(VALU_DEP_2) | instskip(SKIP_1) | instid1(VALU_DEP_2)
	v_dual_cndmask_b32 v0, v0, v40 :: v_dual_cndmask_b32 v1, v1, v39
	v_or_b32_e32 v40, 27, v32
	;; [unrolled: 4-line block ×3, first 2 shown]
	v_cmp_lt_f32_e32 vcc_lo, v0, v42
	s_delay_alu instid0(VALU_DEP_2) | instskip(SKIP_2) | instid1(VALU_DEP_2)
	v_dual_cndmask_b32 v0, v0, v42 :: v_dual_cndmask_b32 v1, v1, v41
	v_or_b32_e32 v42, 29, v32
	s_waitcnt vmcnt(0)
	v_cmp_lt_f32_e32 vcc_lo, v0, v43
	s_delay_alu instid0(VALU_DEP_2) | instskip(SKIP_1) | instid1(VALU_DEP_2)
	v_dual_cndmask_b32 v0, v0, v43 :: v_dual_cndmask_b32 v1, v1, v42
	v_or_b32_e32 v43, 30, v32
	v_cmp_lt_f32_e32 vcc_lo, v0, v44
	s_delay_alu instid0(VALU_DEP_2) | instskip(SKIP_1) | instid1(VALU_DEP_2)
	v_dual_cndmask_b32 v0, v0, v44 :: v_dual_cndmask_b32 v1, v1, v43
	v_or_b32_e32 v44, 31, v32
	v_cmp_lt_f32_e32 vcc_lo, v0, v45
	s_delay_alu instid0(VALU_DEP_2) | instskip(NEXT) | instid1(VALU_DEP_1)
	v_dual_cndmask_b32 v1, v1, v44 :: v_dual_cndmask_b32 v0, v0, v45
	v_mov_b32_dpp v5, v1 quad_perm:[1,0,3,2] row_mask:0xf bank_mask:0xf
	s_delay_alu instid0(VALU_DEP_2) | instskip(NEXT) | instid1(VALU_DEP_2)
	v_mov_b32_dpp v4, v0 quad_perm:[1,0,3,2] row_mask:0xf bank_mask:0xf
	v_cmp_lt_i32_e64 s3, v5, v1
	s_delay_alu instid0(VALU_DEP_2) | instskip(SKIP_1) | instid1(VALU_DEP_3)
	v_cmp_eq_f32_e32 vcc_lo, v0, v4
	v_cmp_lt_f32_e64 s4, v0, v4
	s_and_b32 s3, vcc_lo, s3
	s_delay_alu instid0(VALU_DEP_1) | instid1(SALU_CYCLE_1)
	s_or_b32 vcc_lo, s4, s3
	v_dual_cndmask_b32 v0, v0, v4 :: v_dual_cndmask_b32 v1, v1, v5
	s_delay_alu instid0(VALU_DEP_1) | instskip(NEXT) | instid1(VALU_DEP_2)
	v_mov_b32_dpp v4, v0 quad_perm:[2,3,0,1] row_mask:0xf bank_mask:0xf
	v_mov_b32_dpp v5, v1 quad_perm:[2,3,0,1] row_mask:0xf bank_mask:0xf
	s_delay_alu instid0(VALU_DEP_2) | instskip(NEXT) | instid1(VALU_DEP_2)
	v_cmp_eq_f32_e32 vcc_lo, v0, v4
	v_cmp_lt_i32_e64 s3, v5, v1
	v_cmp_lt_f32_e64 s4, v0, v4
	s_delay_alu instid0(VALU_DEP_2)
	s_and_b32 s3, vcc_lo, s3
	s_delay_alu instid0(VALU_DEP_1) | instid1(SALU_CYCLE_1)
	s_or_b32 vcc_lo, s4, s3
	v_dual_cndmask_b32 v1, v1, v5 :: v_dual_cndmask_b32 v0, v0, v4
	s_delay_alu instid0(VALU_DEP_1) | instskip(NEXT) | instid1(VALU_DEP_2)
	v_mov_b32_dpp v5, v1 row_half_mirror row_mask:0xf bank_mask:0xf
	v_mov_b32_dpp v4, v0 row_half_mirror row_mask:0xf bank_mask:0xf
	s_delay_alu instid0(VALU_DEP_2) | instskip(NEXT) | instid1(VALU_DEP_2)
	v_cmp_lt_i32_e64 s3, v5, v1
	v_cmp_eq_f32_e32 vcc_lo, v0, v4
	v_cmp_lt_f32_e64 s4, v0, v4
	s_delay_alu instid0(VALU_DEP_3)
	s_and_b32 s3, vcc_lo, s3
	s_delay_alu instid0(VALU_DEP_1) | instid1(SALU_CYCLE_1)
	s_or_b32 vcc_lo, s4, s3
	v_cndmask_b32_e32 v6, v0, v4, vcc_lo
	v_cndmask_b32_e32 v0, v1, v5, vcc_lo
	s_delay_alu instid0(VALU_DEP_2) | instskip(NEXT) | instid1(VALU_DEP_2)
	v_mov_b32_dpp v1, v6 row_mirror row_mask:0xf bank_mask:0xf
	v_mov_b32_dpp v4, v0 row_mirror row_mask:0xf bank_mask:0xf
	s_delay_alu instid0(VALU_DEP_2) | instskip(NEXT) | instid1(VALU_DEP_2)
	v_cmp_eq_f32_e32 vcc_lo, v6, v1
	v_cmp_lt_i32_e64 s3, v4, v0
	v_cmp_lt_f32_e64 s4, v6, v1
	s_delay_alu instid0(VALU_DEP_2)
	s_and_b32 s3, vcc_lo, s3
	s_delay_alu instid0(VALU_DEP_1) | instid1(SALU_CYCLE_1)
	s_or_b32 s3, s4, s3
	s_cmp_gt_i32 s8, 0
	v_cndmask_b32_e64 v7, v6, v1, s3
	s_cselect_b32 s15, -1, 0
	s_delay_alu instid0(SALU_CYCLE_1)
	s_and_b32 vcc_lo, exec_lo, s15
	s_cbranch_vccz .LBB199_19
; %bb.7:
	s_load_b128 s[4:7], s[0:1], 0x20
	v_mul_lo_u32 v1, v29, s11
	v_mul_lo_u32 v3, v29, s14
	;; [unrolled: 1-line block ×3, first 2 shown]
	v_cndmask_b32_e64 v0, v0, v4, s3
	v_mov_b32_e32 v30, 0
	s_and_saveexec_b32 s1, s2
	s_cbranch_execz .LBB199_9
; %bb.8:
	v_sub_f32_e32 v30, v7, v7
	v_cmp_le_i32_e32 vcc_lo, s9, v0
	v_cmp_gt_i32_e64 s0, s10, v0
	v_subrev_nc_u32_e32 v51, s9, v0
	v_ashrrev_i32_e32 v6, 31, v5
	v_mul_f32_e32 v2, 0x3fb8aa3b, v30
	s_delay_alu instid0(VALU_DEP_4) | instskip(NEXT) | instid1(SALU_CYCLE_1)
	s_and_b32 s0, vcc_lo, s0
	s_and_b32 vcc_lo, s17, s0
	s_delay_alu instid0(VALU_DEP_1) | instskip(SKIP_2) | instid1(VALU_DEP_3)
	v_rndne_f32_e32 v47, v2
	v_fma_f32 v4, 0x3fb8aa3b, v30, -v2
	v_lshlrev_b64 v[49:50], 2, v[5:6]
	v_sub_f32_e32 v2, v2, v47
	s_delay_alu instid0(VALU_DEP_3) | instskip(NEXT) | instid1(VALU_DEP_1)
	v_fmamk_f32 v4, v30, 0x32a5705f, v4
	v_add_f32_e32 v4, v2, v4
	v_ashrrev_i32_e32 v2, 31, v1
	s_delay_alu instid0(VALU_DEP_2) | instskip(NEXT) | instid1(VALU_DEP_1)
	v_exp_f32_e32 v52, v4
	v_lshlrev_b64 v[45:46], 2, v[1:2]
	v_ashrrev_i32_e32 v4, 31, v3
	v_cvt_i32_f32_e32 v2, v47
	s_delay_alu instid0(VALU_DEP_2) | instskip(SKIP_3) | instid1(TRANS32_DEP_1)
	v_lshlrev_b64 v[47:48], 2, v[3:4]
	v_cndmask_b32_e32 v4, 0x200, v51, vcc_lo
	v_add_co_u32 v45, vcc_lo, s12, v45
	v_add_co_ci_u32_e32 v46, vcc_lo, s13, v46, vcc_lo
	v_ldexp_f32 v2, v52, v2
	v_cmp_ngt_f32_e32 vcc_lo, 0xc2ce8ed0, v30
	s_delay_alu instid0(VALU_DEP_2)
	v_cndmask_b32_e32 v2, 0, v2, vcc_lo
	s_waitcnt lgkmcnt(0)
	v_add_co_u32 v47, vcc_lo, s4, v47
	v_add_co_ci_u32_e32 v48, vcc_lo, s5, v48, vcc_lo
	v_cmp_nlt_f32_e32 vcc_lo, 0x42b17218, v30
	v_cndmask_b32_e32 v30, 0x7f800000, v2, vcc_lo
	v_add_co_u32 v49, vcc_lo, s6, v49
	v_add_co_ci_u32_e32 v50, vcc_lo, s7, v50, vcc_lo
	global_store_b32 v[47:48], v4, off
	global_store_b32 v[45:46], v30, off
	;; [unrolled: 1-line block ×3, first 2 shown]
.LBB199_9:
	s_or_b32 exec_lo, exec_lo, s1
	v_ashrrev_i32_e32 v4, 31, v0
	s_mov_b32 s0, exec_lo
	s_delay_alu instid0(VALU_DEP_1) | instskip(NEXT) | instid1(VALU_DEP_1)
	v_lshrrev_b32_e32 v2, 27, v4
	v_add_nc_u32_e32 v2, v0, v2
	s_delay_alu instid0(VALU_DEP_1) | instskip(NEXT) | instid1(VALU_DEP_1)
	v_ashrrev_i32_e32 v2, 5, v2
	v_lshrrev_b32_e32 v6, 28, v2
	s_delay_alu instid0(VALU_DEP_1) | instskip(NEXT) | instid1(VALU_DEP_1)
	v_add_nc_u32_e32 v6, v2, v6
	v_and_b32_e32 v6, -16, v6
	s_delay_alu instid0(VALU_DEP_1) | instskip(NEXT) | instid1(VALU_DEP_1)
	v_sub_nc_u32_e32 v6, v2, v6
	v_cmpx_eq_u32_e64 v31, v6
	s_cbranch_execz .LBB199_11
; %bb.10:
	v_lshrrev_b32_e32 v4, 23, v4
	v_lshlrev_b32_e32 v2, 5, v2
	s_delay_alu instid0(VALU_DEP_2) | instskip(NEXT) | instid1(VALU_DEP_2)
	v_add_nc_u32_e32 v4, v0, v4
	v_sub_nc_u32_e32 v0, v0, v2
	s_delay_alu instid0(VALU_DEP_2) | instskip(NEXT) | instid1(VALU_DEP_1)
	v_ashrrev_i32_e32 v2, 9, v4
	v_lshl_add_u32 v0, v2, 5, v0
	v_mov_b32_e32 v2, 0xff800000
	s_delay_alu instid0(VALU_DEP_2)
	v_lshl_add_u32 v0, v0, 2, 0
	scratch_store_b32 v0, v2, off
.LBB199_11:
	s_or_b32 exec_lo, exec_lo, s0
	s_cmp_eq_u32 s8, 1
	s_cbranch_scc1 .LBB199_18
; %bb.12:
	s_add_i32 s18, s18, s16
	v_add_nc_u32_e32 v0, 1, v5
	v_add3_u32 v6, s18, v34, v33
	v_dual_mov_b32 v33, 0xff800000 :: v_dual_add_nc_u32 v2, 1, v3
	v_add_nc_u32_e32 v4, 1, v1
	s_add_i32 s3, s8, -1
	s_branch .LBB199_14
.LBB199_13:                             ;   in Loop: Header=BB199_14 Depth=1
	s_or_b32 exec_lo, exec_lo, s0
	v_add_nc_u32_e32 v6, s16, v6
	v_add_nc_u32_e32 v0, 1, v0
	;; [unrolled: 1-line block ×4, first 2 shown]
	s_add_i32 s3, s3, -1
	s_delay_alu instid0(SALU_CYCLE_1)
	s_cmp_eq_u32 s3, 0
	s_cbranch_scc1 .LBB199_18
.LBB199_14:                             ; =>This Inner Loop Header: Depth=1
	s_clause 0x7
	scratch_load_b128 v[45:48], off, off
	scratch_load_b128 v[49:52], off, off offset:16
	scratch_load_b128 v[53:56], off, off offset:32
	;; [unrolled: 1-line block ×7, first 2 shown]
	s_waitcnt vmcnt(7)
	v_cmp_gt_f32_e32 vcc_lo, v46, v45
	v_cndmask_b32_e32 v3, v45, v46, vcc_lo
	v_cndmask_b32_e32 v1, v32, v10, vcc_lo
	s_delay_alu instid0(VALU_DEP_2) | instskip(SKIP_1) | instid1(VALU_DEP_3)
	v_cmp_gt_f32_e32 vcc_lo, v47, v3
	v_cndmask_b32_e32 v3, v3, v47, vcc_lo
	v_cndmask_b32_e32 v1, v1, v11, vcc_lo
	s_delay_alu instid0(VALU_DEP_2) | instskip(SKIP_1) | instid1(VALU_DEP_3)
	v_cmp_gt_f32_e32 vcc_lo, v48, v3
	v_cndmask_b32_e32 v3, v3, v48, vcc_lo
	v_cndmask_b32_e32 v1, v1, v12, vcc_lo
	s_waitcnt vmcnt(6)
	s_delay_alu instid0(VALU_DEP_2) | instskip(SKIP_1) | instid1(VALU_DEP_3)
	v_cmp_gt_f32_e32 vcc_lo, v49, v3
	v_cndmask_b32_e32 v3, v3, v49, vcc_lo
	v_cndmask_b32_e32 v1, v1, v25, vcc_lo
	s_delay_alu instid0(VALU_DEP_2) | instskip(SKIP_1) | instid1(VALU_DEP_3)
	v_cmp_gt_f32_e32 vcc_lo, v50, v3
	v_cndmask_b32_e32 v3, v3, v50, vcc_lo
	v_cndmask_b32_e32 v1, v1, v21, vcc_lo
	s_delay_alu instid0(VALU_DEP_2) | instskip(SKIP_1) | instid1(VALU_DEP_3)
	v_cmp_gt_f32_e32 vcc_lo, v51, v3
	v_cndmask_b32_e32 v3, v3, v51, vcc_lo
	v_cndmask_b32_e32 v1, v1, v22, vcc_lo
	s_delay_alu instid0(VALU_DEP_2) | instskip(SKIP_1) | instid1(VALU_DEP_3)
	v_cmp_gt_f32_e32 vcc_lo, v52, v3
	v_cndmask_b32_e32 v3, v3, v52, vcc_lo
	v_cndmask_b32_e32 v1, v1, v23, vcc_lo
	s_waitcnt vmcnt(5)
	s_delay_alu instid0(VALU_DEP_2) | instskip(SKIP_1) | instid1(VALU_DEP_3)
	v_cmp_gt_f32_e32 vcc_lo, v53, v3
	v_cndmask_b32_e32 v3, v3, v53, vcc_lo
	v_cndmask_b32_e32 v1, v1, v24, vcc_lo
	s_delay_alu instid0(VALU_DEP_2) | instskip(SKIP_1) | instid1(VALU_DEP_3)
	;; [unrolled: 17-line block ×7, first 2 shown]
	v_cmp_gt_f32_e32 vcc_lo, v74, v3
	v_cndmask_b32_e32 v3, v3, v74, vcc_lo
	v_cndmask_b32_e32 v1, v1, v42, vcc_lo
	s_delay_alu instid0(VALU_DEP_2) | instskip(SKIP_1) | instid1(VALU_DEP_3)
	v_cmp_gt_f32_e32 vcc_lo, v75, v3
	v_cndmask_b32_e32 v3, v3, v75, vcc_lo
	v_cndmask_b32_e32 v1, v1, v43, vcc_lo
	s_delay_alu instid0(VALU_DEP_2) | instskip(NEXT) | instid1(VALU_DEP_2)
	v_cmp_gt_f32_e32 vcc_lo, v76, v3
	v_cndmask_b32_e32 v1, v1, v44, vcc_lo
	v_cndmask_b32_e32 v3, v3, v76, vcc_lo
	s_delay_alu instid0(VALU_DEP_2) | instskip(NEXT) | instid1(VALU_DEP_2)
	v_mov_b32_dpp v5, v1 quad_perm:[1,0,3,2] row_mask:0xf bank_mask:0xf
	v_mov_b32_dpp v34, v3 quad_perm:[1,0,3,2] row_mask:0xf bank_mask:0xf
	s_delay_alu instid0(VALU_DEP_2) | instskip(NEXT) | instid1(VALU_DEP_2)
	v_cmp_lt_i32_e32 vcc_lo, v5, v1
	v_cmp_eq_f32_e64 s0, v3, v34
	v_cmp_lt_f32_e64 s1, v3, v34
	s_delay_alu instid0(VALU_DEP_2)
	s_and_b32 s0, s0, vcc_lo
	s_delay_alu instid0(VALU_DEP_1) | instid1(SALU_CYCLE_1)
	s_or_b32 vcc_lo, s1, s0
	v_cndmask_b32_e32 v3, v3, v34, vcc_lo
	v_cndmask_b32_e32 v1, v1, v5, vcc_lo
	s_delay_alu instid0(VALU_DEP_2) | instskip(NEXT) | instid1(VALU_DEP_2)
	v_mov_b32_dpp v5, v3 quad_perm:[2,3,0,1] row_mask:0xf bank_mask:0xf
	v_mov_b32_dpp v34, v1 quad_perm:[2,3,0,1] row_mask:0xf bank_mask:0xf
	s_delay_alu instid0(VALU_DEP_2) | instskip(NEXT) | instid1(VALU_DEP_2)
	v_cmp_eq_f32_e32 vcc_lo, v3, v5
	v_cmp_lt_i32_e64 s0, v34, v1
	v_cmp_lt_f32_e64 s1, v3, v5
	s_delay_alu instid0(VALU_DEP_2)
	s_and_b32 s0, vcc_lo, s0
	s_delay_alu instid0(VALU_DEP_1) | instid1(SALU_CYCLE_1)
	s_or_b32 vcc_lo, s1, s0
	v_cndmask_b32_e32 v3, v3, v5, vcc_lo
	v_cndmask_b32_e32 v5, v1, v34, vcc_lo
	s_delay_alu instid0(VALU_DEP_2) | instskip(NEXT) | instid1(VALU_DEP_2)
	v_mov_b32_dpp v1, v3 row_half_mirror row_mask:0xf bank_mask:0xf
	v_mov_b32_dpp v34, v5 row_half_mirror row_mask:0xf bank_mask:0xf
	s_delay_alu instid0(VALU_DEP_2) | instskip(NEXT) | instid1(VALU_DEP_2)
	v_cmp_eq_f32_e32 vcc_lo, v3, v1
	v_cmp_lt_i32_e64 s0, v34, v5
	v_cmp_lt_f32_e64 s1, v3, v1
	s_delay_alu instid0(VALU_DEP_2)
	s_and_b32 s0, vcc_lo, s0
	s_delay_alu instid0(VALU_DEP_1) | instid1(SALU_CYCLE_1)
	s_or_b32 vcc_lo, s1, s0
	v_cndmask_b32_e32 v1, v3, v1, vcc_lo
	v_cndmask_b32_e32 v5, v5, v34, vcc_lo
	s_delay_alu instid0(VALU_DEP_2) | instskip(NEXT) | instid1(VALU_DEP_2)
	v_mov_b32_dpp v3, v1 row_mirror row_mask:0xf bank_mask:0xf
	v_mov_b32_dpp v34, v5 row_mirror row_mask:0xf bank_mask:0xf
	s_delay_alu instid0(VALU_DEP_2) | instskip(NEXT) | instid1(VALU_DEP_2)
	v_cmp_eq_f32_e32 vcc_lo, v1, v3
	v_cmp_lt_i32_e64 s0, v34, v5
	v_cmp_lt_f32_e64 s1, v1, v3
	s_delay_alu instid0(VALU_DEP_2)
	s_and_b32 s0, vcc_lo, s0
	s_delay_alu instid0(VALU_DEP_1) | instid1(SALU_CYCLE_1)
	s_or_b32 vcc_lo, s1, s0
	v_cndmask_b32_e32 v34, v5, v34, vcc_lo
	s_and_saveexec_b32 s1, s2
	s_cbranch_execz .LBB199_16
; %bb.15:                               ;   in Loop: Header=BB199_14 Depth=1
	v_cndmask_b32_e32 v1, v1, v3, vcc_lo
	s_delay_alu instid0(VALU_DEP_2) | instskip(SKIP_4) | instid1(VALU_DEP_4)
	v_cmp_le_i32_e32 vcc_lo, s9, v34
	v_cmp_gt_i32_e64 s0, s10, v34
	v_ashrrev_i32_e32 v5, 31, v4
	v_subrev_nc_u32_e32 v52, s9, v34
	v_sub_f32_e32 v51, v1, v7
	s_and_b32 s0, vcc_lo, s0
	s_delay_alu instid0(SALU_CYCLE_1) | instskip(NEXT) | instid1(VALU_DEP_1)
	s_and_b32 vcc_lo, s17, s0
	v_mul_f32_e32 v1, 0x3fb8aa3b, v51
	s_delay_alu instid0(VALU_DEP_1) | instskip(SKIP_1) | instid1(VALU_DEP_2)
	v_fma_f32 v3, 0x3fb8aa3b, v51, -v1
	v_rndne_f32_e32 v45, v1
	v_fmac_f32_e32 v3, 0x32a5705f, v51
	s_delay_alu instid0(VALU_DEP_2) | instskip(SKIP_2) | instid1(VALU_DEP_3)
	v_sub_f32_e32 v1, v1, v45
	v_cvt_i32_f32_e32 v50, v45
	v_lshlrev_b64 v[45:46], 2, v[4:5]
	v_add_f32_e32 v1, v1, v3
	v_ashrrev_i32_e32 v3, 31, v2
	s_delay_alu instid0(VALU_DEP_2) | instskip(SKIP_1) | instid1(VALU_DEP_2)
	v_exp_f32_e32 v49, v1
	v_ashrrev_i32_e32 v1, 31, v0
	v_lshlrev_b64 v[47:48], 2, v[2:3]
	s_waitcnt_depctr 0xfff
	v_ldexp_f32 v3, v49, v50
	v_lshlrev_b64 v[49:50], 2, v[0:1]
	v_cndmask_b32_e32 v1, 0x200, v52, vcc_lo
	v_cmp_ngt_f32_e32 vcc_lo, 0xc2ce8ed0, v51
	s_delay_alu instid0(VALU_DEP_4) | instskip(SKIP_3) | instid1(VALU_DEP_4)
	v_cndmask_b32_e32 v3, 0, v3, vcc_lo
	v_add_co_u32 v45, vcc_lo, s12, v45
	v_add_co_ci_u32_e32 v46, vcc_lo, s13, v46, vcc_lo
	v_cmp_nlt_f32_e32 vcc_lo, 0x42b17218, v51
	v_cndmask_b32_e32 v3, 0x7f800000, v3, vcc_lo
	s_waitcnt lgkmcnt(0)
	v_add_co_u32 v47, vcc_lo, s4, v47
	v_add_co_ci_u32_e32 v48, vcc_lo, s5, v48, vcc_lo
	s_delay_alu instid0(VALU_DEP_3)
	v_add_f32_e32 v30, v30, v3
	v_add_co_u32 v49, vcc_lo, s6, v49
	v_add_co_ci_u32_e32 v50, vcc_lo, s7, v50, vcc_lo
	global_store_b32 v[45:46], v3, off
	global_store_b32 v[47:48], v1, off
	;; [unrolled: 1-line block ×3, first 2 shown]
.LBB199_16:                             ;   in Loop: Header=BB199_14 Depth=1
	s_or_b32 exec_lo, exec_lo, s1
	s_delay_alu instid0(VALU_DEP_1) | instskip(SKIP_1) | instid1(VALU_DEP_1)
	v_ashrrev_i32_e32 v3, 31, v34
	s_mov_b32 s0, exec_lo
	v_lshrrev_b32_e32 v1, 27, v3
	s_delay_alu instid0(VALU_DEP_1) | instskip(NEXT) | instid1(VALU_DEP_1)
	v_add_nc_u32_e32 v1, v34, v1
	v_ashrrev_i32_e32 v1, 5, v1
	s_delay_alu instid0(VALU_DEP_1) | instskip(NEXT) | instid1(VALU_DEP_1)
	v_lshrrev_b32_e32 v5, 28, v1
	v_add_nc_u32_e32 v5, v1, v5
	s_delay_alu instid0(VALU_DEP_1) | instskip(NEXT) | instid1(VALU_DEP_1)
	v_and_b32_e32 v5, -16, v5
	v_sub_nc_u32_e32 v5, v1, v5
	s_delay_alu instid0(VALU_DEP_1)
	v_cmpx_eq_u32_e64 v31, v5
	s_cbranch_execz .LBB199_13
; %bb.17:                               ;   in Loop: Header=BB199_14 Depth=1
	v_lshrrev_b32_e32 v3, 23, v3
	v_lshlrev_b32_e32 v1, 5, v1
	s_delay_alu instid0(VALU_DEP_2) | instskip(NEXT) | instid1(VALU_DEP_2)
	v_add_nc_u32_e32 v3, v34, v3
	v_sub_nc_u32_e32 v1, v34, v1
	s_delay_alu instid0(VALU_DEP_2) | instskip(NEXT) | instid1(VALU_DEP_1)
	v_ashrrev_i32_e32 v3, 9, v3
	v_lshl_add_u32 v1, v3, 5, v1
	s_delay_alu instid0(VALU_DEP_1)
	v_lshl_add_u32 v1, v1, 2, 0
	scratch_store_b32 v1, v33, off
	s_branch .LBB199_13
.LBB199_18:
	scratch_load_b64 v[2:3], off, off offset:92
.LBB199_19:
	scratch_load_b128 v[8:11], off, off
	s_waitcnt vmcnt(0)
	v_sub_f32_e32 v0, v8, v7
	s_delay_alu instid0(VALU_DEP_1) | instskip(NEXT) | instid1(VALU_DEP_1)
	v_mul_f32_e32 v1, 0x3fb8aa3b, v0
	v_fma_f32 v4, 0x3fb8aa3b, v0, -v1
	v_rndne_f32_e32 v5, v1
	s_delay_alu instid0(VALU_DEP_1) | instskip(SKIP_1) | instid1(VALU_DEP_4)
	v_sub_f32_e32 v1, v1, v5
	v_cmp_ngt_f32_e32 vcc_lo, 0xc2ce8ed0, v0
	v_fmac_f32_e32 v4, 0x32a5705f, v0
	s_delay_alu instid0(VALU_DEP_1) | instskip(SKIP_1) | instid1(VALU_DEP_2)
	v_add_f32_e32 v1, v1, v4
	v_cvt_i32_f32_e32 v4, v5
	v_exp_f32_e32 v1, v1
	s_waitcnt_depctr 0xfff
	v_ldexp_f32 v1, v1, v4
	s_delay_alu instid0(VALU_DEP_1) | instskip(SKIP_1) | instid1(VALU_DEP_2)
	v_cndmask_b32_e32 v1, 0, v1, vcc_lo
	v_cmp_nlt_f32_e32 vcc_lo, 0x42b17218, v0
	v_dual_cndmask_b32 v0, 0x7f800000, v1 :: v_dual_sub_f32 v1, v9, v7
	s_delay_alu instid0(VALU_DEP_1) | instskip(SKIP_1) | instid1(VALU_DEP_2)
	v_mul_f32_e32 v4, 0x3fb8aa3b, v1
	v_cmp_ngt_f32_e32 vcc_lo, 0xc2ce8ed0, v1
	v_fma_f32 v5, 0x3fb8aa3b, v1, -v4
	v_rndne_f32_e32 v6, v4
	s_delay_alu instid0(VALU_DEP_1) | instskip(NEXT) | instid1(VALU_DEP_1)
	v_dual_fmac_f32 v5, 0x32a5705f, v1 :: v_dual_sub_f32 v4, v4, v6
	v_add_f32_e32 v4, v4, v5
	v_cvt_i32_f32_e32 v5, v6
	s_delay_alu instid0(VALU_DEP_2) | instskip(SKIP_2) | instid1(VALU_DEP_1)
	v_exp_f32_e32 v4, v4
	s_waitcnt_depctr 0xfff
	v_ldexp_f32 v4, v4, v5
	v_cndmask_b32_e32 v4, 0, v4, vcc_lo
	v_cmp_nlt_f32_e32 vcc_lo, 0x42b17218, v1
	s_delay_alu instid0(VALU_DEP_2) | instskip(NEXT) | instid1(VALU_DEP_1)
	v_cndmask_b32_e32 v1, 0x7f800000, v4, vcc_lo
	v_dual_add_f32 v0, v0, v1 :: v_dual_sub_f32 v1, v10, v7
	s_delay_alu instid0(VALU_DEP_1) | instskip(SKIP_1) | instid1(VALU_DEP_2)
	v_mul_f32_e32 v4, 0x3fb8aa3b, v1
	v_cmp_ngt_f32_e32 vcc_lo, 0xc2ce8ed0, v1
	v_fma_f32 v5, 0x3fb8aa3b, v1, -v4
	v_rndne_f32_e32 v6, v4
	s_delay_alu instid0(VALU_DEP_1) | instskip(NEXT) | instid1(VALU_DEP_1)
	v_dual_fmac_f32 v5, 0x32a5705f, v1 :: v_dual_sub_f32 v4, v4, v6
	v_add_f32_e32 v4, v4, v5
	v_cvt_i32_f32_e32 v5, v6
	s_delay_alu instid0(VALU_DEP_2) | instskip(SKIP_2) | instid1(VALU_DEP_1)
	v_exp_f32_e32 v4, v4
	s_waitcnt_depctr 0xfff
	v_ldexp_f32 v4, v4, v5
	v_cndmask_b32_e32 v4, 0, v4, vcc_lo
	v_cmp_nlt_f32_e32 vcc_lo, 0x42b17218, v1
	s_delay_alu instid0(VALU_DEP_2) | instskip(NEXT) | instid1(VALU_DEP_1)
	v_cndmask_b32_e32 v1, 0x7f800000, v4, vcc_lo
	v_dual_add_f32 v0, v0, v1 :: v_dual_sub_f32 v1, v11, v7
	scratch_load_b128 v[8:11], off, off offset:16
	v_mul_f32_e32 v4, 0x3fb8aa3b, v1
	v_cmp_ngt_f32_e32 vcc_lo, 0xc2ce8ed0, v1
	s_delay_alu instid0(VALU_DEP_2) | instskip(SKIP_1) | instid1(VALU_DEP_1)
	v_fma_f32 v5, 0x3fb8aa3b, v1, -v4
	v_rndne_f32_e32 v6, v4
	v_dual_fmac_f32 v5, 0x32a5705f, v1 :: v_dual_sub_f32 v4, v4, v6
	s_delay_alu instid0(VALU_DEP_1) | instskip(SKIP_1) | instid1(VALU_DEP_2)
	v_add_f32_e32 v4, v4, v5
	v_cvt_i32_f32_e32 v5, v6
	v_exp_f32_e32 v4, v4
	s_waitcnt_depctr 0xfff
	v_ldexp_f32 v4, v4, v5
	s_delay_alu instid0(VALU_DEP_1) | instskip(SKIP_1) | instid1(VALU_DEP_2)
	v_cndmask_b32_e32 v4, 0, v4, vcc_lo
	v_cmp_nlt_f32_e32 vcc_lo, 0x42b17218, v1
	v_cndmask_b32_e32 v1, 0x7f800000, v4, vcc_lo
	s_delay_alu instid0(VALU_DEP_1) | instskip(SKIP_2) | instid1(VALU_DEP_1)
	v_add_f32_e32 v0, v0, v1
	s_waitcnt vmcnt(0)
	v_sub_f32_e32 v1, v8, v7
	v_mul_f32_e32 v4, 0x3fb8aa3b, v1
	v_cmp_ngt_f32_e32 vcc_lo, 0xc2ce8ed0, v1
	s_delay_alu instid0(VALU_DEP_2) | instskip(SKIP_1) | instid1(VALU_DEP_1)
	v_fma_f32 v5, 0x3fb8aa3b, v1, -v4
	v_rndne_f32_e32 v6, v4
	v_dual_fmac_f32 v5, 0x32a5705f, v1 :: v_dual_sub_f32 v4, v4, v6
	s_delay_alu instid0(VALU_DEP_1) | instskip(SKIP_1) | instid1(VALU_DEP_2)
	v_add_f32_e32 v4, v4, v5
	v_cvt_i32_f32_e32 v5, v6
	v_exp_f32_e32 v4, v4
	s_waitcnt_depctr 0xfff
	v_ldexp_f32 v4, v4, v5
	s_delay_alu instid0(VALU_DEP_1) | instskip(SKIP_1) | instid1(VALU_DEP_2)
	v_cndmask_b32_e32 v4, 0, v4, vcc_lo
	v_cmp_nlt_f32_e32 vcc_lo, 0x42b17218, v1
	v_cndmask_b32_e32 v1, 0x7f800000, v4, vcc_lo
	s_delay_alu instid0(VALU_DEP_1) | instskip(NEXT) | instid1(VALU_DEP_1)
	v_dual_add_f32 v0, v0, v1 :: v_dual_sub_f32 v1, v9, v7
	v_mul_f32_e32 v4, 0x3fb8aa3b, v1
	v_cmp_ngt_f32_e32 vcc_lo, 0xc2ce8ed0, v1
	s_delay_alu instid0(VALU_DEP_2) | instskip(SKIP_1) | instid1(VALU_DEP_1)
	v_fma_f32 v5, 0x3fb8aa3b, v1, -v4
	v_rndne_f32_e32 v6, v4
	v_dual_fmac_f32 v5, 0x32a5705f, v1 :: v_dual_sub_f32 v4, v4, v6
	s_delay_alu instid0(VALU_DEP_1) | instskip(SKIP_1) | instid1(VALU_DEP_2)
	v_add_f32_e32 v4, v4, v5
	v_cvt_i32_f32_e32 v5, v6
	v_exp_f32_e32 v4, v4
	s_waitcnt_depctr 0xfff
	v_ldexp_f32 v4, v4, v5
	s_delay_alu instid0(VALU_DEP_1) | instskip(SKIP_1) | instid1(VALU_DEP_2)
	v_cndmask_b32_e32 v4, 0, v4, vcc_lo
	v_cmp_nlt_f32_e32 vcc_lo, 0x42b17218, v1
	v_cndmask_b32_e32 v1, 0x7f800000, v4, vcc_lo
	s_delay_alu instid0(VALU_DEP_1) | instskip(NEXT) | instid1(VALU_DEP_1)
	v_dual_add_f32 v0, v0, v1 :: v_dual_sub_f32 v1, v10, v7
	v_mul_f32_e32 v4, 0x3fb8aa3b, v1
	v_cmp_ngt_f32_e32 vcc_lo, 0xc2ce8ed0, v1
	s_delay_alu instid0(VALU_DEP_2) | instskip(SKIP_1) | instid1(VALU_DEP_1)
	v_fma_f32 v5, 0x3fb8aa3b, v1, -v4
	v_rndne_f32_e32 v6, v4
	v_dual_fmac_f32 v5, 0x32a5705f, v1 :: v_dual_sub_f32 v4, v4, v6
	s_delay_alu instid0(VALU_DEP_1) | instskip(SKIP_1) | instid1(VALU_DEP_2)
	v_add_f32_e32 v4, v4, v5
	v_cvt_i32_f32_e32 v5, v6
	v_exp_f32_e32 v4, v4
	s_waitcnt_depctr 0xfff
	v_ldexp_f32 v4, v4, v5
	s_delay_alu instid0(VALU_DEP_1) | instskip(SKIP_1) | instid1(VALU_DEP_2)
	v_cndmask_b32_e32 v4, 0, v4, vcc_lo
	v_cmp_nlt_f32_e32 vcc_lo, 0x42b17218, v1
	v_cndmask_b32_e32 v1, 0x7f800000, v4, vcc_lo
	s_delay_alu instid0(VALU_DEP_1) | instskip(SKIP_3) | instid1(VALU_DEP_2)
	v_dual_add_f32 v0, v0, v1 :: v_dual_sub_f32 v1, v11, v7
	scratch_load_b128 v[8:11], off, off offset:32
	v_mul_f32_e32 v4, 0x3fb8aa3b, v1
	v_cmp_ngt_f32_e32 vcc_lo, 0xc2ce8ed0, v1
	v_fma_f32 v5, 0x3fb8aa3b, v1, -v4
	v_rndne_f32_e32 v6, v4
	s_delay_alu instid0(VALU_DEP_1) | instskip(NEXT) | instid1(VALU_DEP_1)
	v_dual_fmac_f32 v5, 0x32a5705f, v1 :: v_dual_sub_f32 v4, v4, v6
	v_add_f32_e32 v4, v4, v5
	v_cvt_i32_f32_e32 v5, v6
	s_delay_alu instid0(VALU_DEP_2) | instskip(SKIP_2) | instid1(VALU_DEP_1)
	v_exp_f32_e32 v4, v4
	s_waitcnt_depctr 0xfff
	v_ldexp_f32 v4, v4, v5
	v_cndmask_b32_e32 v4, 0, v4, vcc_lo
	v_cmp_nlt_f32_e32 vcc_lo, 0x42b17218, v1
	s_delay_alu instid0(VALU_DEP_2) | instskip(NEXT) | instid1(VALU_DEP_1)
	v_cndmask_b32_e32 v1, 0x7f800000, v4, vcc_lo
	v_add_f32_e32 v0, v0, v1
	s_waitcnt vmcnt(0)
	v_sub_f32_e32 v1, v8, v7
	s_delay_alu instid0(VALU_DEP_1) | instskip(SKIP_1) | instid1(VALU_DEP_2)
	v_mul_f32_e32 v4, 0x3fb8aa3b, v1
	v_cmp_ngt_f32_e32 vcc_lo, 0xc2ce8ed0, v1
	v_fma_f32 v5, 0x3fb8aa3b, v1, -v4
	v_rndne_f32_e32 v6, v4
	s_delay_alu instid0(VALU_DEP_1) | instskip(NEXT) | instid1(VALU_DEP_1)
	v_dual_fmac_f32 v5, 0x32a5705f, v1 :: v_dual_sub_f32 v4, v4, v6
	v_add_f32_e32 v4, v4, v5
	v_cvt_i32_f32_e32 v5, v6
	s_delay_alu instid0(VALU_DEP_2) | instskip(SKIP_2) | instid1(VALU_DEP_1)
	v_exp_f32_e32 v4, v4
	s_waitcnt_depctr 0xfff
	v_ldexp_f32 v4, v4, v5
	v_cndmask_b32_e32 v4, 0, v4, vcc_lo
	v_cmp_nlt_f32_e32 vcc_lo, 0x42b17218, v1
	s_delay_alu instid0(VALU_DEP_2) | instskip(NEXT) | instid1(VALU_DEP_1)
	v_cndmask_b32_e32 v1, 0x7f800000, v4, vcc_lo
	v_dual_add_f32 v0, v0, v1 :: v_dual_sub_f32 v1, v9, v7
	s_delay_alu instid0(VALU_DEP_1) | instskip(SKIP_1) | instid1(VALU_DEP_2)
	v_mul_f32_e32 v4, 0x3fb8aa3b, v1
	v_cmp_ngt_f32_e32 vcc_lo, 0xc2ce8ed0, v1
	v_fma_f32 v5, 0x3fb8aa3b, v1, -v4
	v_rndne_f32_e32 v6, v4
	s_delay_alu instid0(VALU_DEP_1) | instskip(NEXT) | instid1(VALU_DEP_1)
	v_dual_fmac_f32 v5, 0x32a5705f, v1 :: v_dual_sub_f32 v4, v4, v6
	v_add_f32_e32 v4, v4, v5
	v_cvt_i32_f32_e32 v5, v6
	s_delay_alu instid0(VALU_DEP_2) | instskip(SKIP_2) | instid1(VALU_DEP_1)
	v_exp_f32_e32 v4, v4
	s_waitcnt_depctr 0xfff
	v_ldexp_f32 v4, v4, v5
	v_cndmask_b32_e32 v4, 0, v4, vcc_lo
	v_cmp_nlt_f32_e32 vcc_lo, 0x42b17218, v1
	s_delay_alu instid0(VALU_DEP_2) | instskip(NEXT) | instid1(VALU_DEP_1)
	v_cndmask_b32_e32 v1, 0x7f800000, v4, vcc_lo
	v_dual_add_f32 v0, v0, v1 :: v_dual_sub_f32 v1, v10, v7
	;; [unrolled: 18-line block ×3, first 2 shown]
	scratch_load_b128 v[8:11], off, off offset:48
	v_mul_f32_e32 v4, 0x3fb8aa3b, v1
	v_cmp_ngt_f32_e32 vcc_lo, 0xc2ce8ed0, v1
	s_delay_alu instid0(VALU_DEP_2) | instskip(SKIP_1) | instid1(VALU_DEP_1)
	v_fma_f32 v5, 0x3fb8aa3b, v1, -v4
	v_rndne_f32_e32 v6, v4
	v_dual_fmac_f32 v5, 0x32a5705f, v1 :: v_dual_sub_f32 v4, v4, v6
	s_delay_alu instid0(VALU_DEP_1) | instskip(SKIP_1) | instid1(VALU_DEP_2)
	v_add_f32_e32 v4, v4, v5
	v_cvt_i32_f32_e32 v5, v6
	v_exp_f32_e32 v4, v4
	s_waitcnt_depctr 0xfff
	v_ldexp_f32 v4, v4, v5
	s_delay_alu instid0(VALU_DEP_1) | instskip(SKIP_1) | instid1(VALU_DEP_2)
	v_cndmask_b32_e32 v4, 0, v4, vcc_lo
	v_cmp_nlt_f32_e32 vcc_lo, 0x42b17218, v1
	v_cndmask_b32_e32 v1, 0x7f800000, v4, vcc_lo
	s_delay_alu instid0(VALU_DEP_1) | instskip(SKIP_2) | instid1(VALU_DEP_1)
	v_add_f32_e32 v0, v0, v1
	s_waitcnt vmcnt(0)
	v_sub_f32_e32 v1, v8, v7
	v_mul_f32_e32 v4, 0x3fb8aa3b, v1
	v_cmp_ngt_f32_e32 vcc_lo, 0xc2ce8ed0, v1
	s_delay_alu instid0(VALU_DEP_2) | instskip(SKIP_1) | instid1(VALU_DEP_1)
	v_fma_f32 v5, 0x3fb8aa3b, v1, -v4
	v_rndne_f32_e32 v6, v4
	v_dual_fmac_f32 v5, 0x32a5705f, v1 :: v_dual_sub_f32 v4, v4, v6
	s_delay_alu instid0(VALU_DEP_1) | instskip(SKIP_1) | instid1(VALU_DEP_2)
	v_add_f32_e32 v4, v4, v5
	v_cvt_i32_f32_e32 v5, v6
	v_exp_f32_e32 v4, v4
	s_waitcnt_depctr 0xfff
	v_ldexp_f32 v4, v4, v5
	s_delay_alu instid0(VALU_DEP_1) | instskip(SKIP_1) | instid1(VALU_DEP_2)
	v_cndmask_b32_e32 v4, 0, v4, vcc_lo
	v_cmp_nlt_f32_e32 vcc_lo, 0x42b17218, v1
	v_cndmask_b32_e32 v1, 0x7f800000, v4, vcc_lo
	s_delay_alu instid0(VALU_DEP_1) | instskip(NEXT) | instid1(VALU_DEP_1)
	v_dual_add_f32 v0, v0, v1 :: v_dual_sub_f32 v1, v9, v7
	v_mul_f32_e32 v4, 0x3fb8aa3b, v1
	v_cmp_ngt_f32_e32 vcc_lo, 0xc2ce8ed0, v1
	s_delay_alu instid0(VALU_DEP_2) | instskip(SKIP_1) | instid1(VALU_DEP_1)
	v_fma_f32 v5, 0x3fb8aa3b, v1, -v4
	v_rndne_f32_e32 v6, v4
	v_dual_fmac_f32 v5, 0x32a5705f, v1 :: v_dual_sub_f32 v4, v4, v6
	s_delay_alu instid0(VALU_DEP_1) | instskip(SKIP_1) | instid1(VALU_DEP_2)
	v_add_f32_e32 v4, v4, v5
	v_cvt_i32_f32_e32 v5, v6
	v_exp_f32_e32 v4, v4
	s_waitcnt_depctr 0xfff
	v_ldexp_f32 v4, v4, v5
	s_delay_alu instid0(VALU_DEP_1) | instskip(SKIP_1) | instid1(VALU_DEP_2)
	v_cndmask_b32_e32 v4, 0, v4, vcc_lo
	v_cmp_nlt_f32_e32 vcc_lo, 0x42b17218, v1
	v_cndmask_b32_e32 v1, 0x7f800000, v4, vcc_lo
	s_delay_alu instid0(VALU_DEP_1) | instskip(NEXT) | instid1(VALU_DEP_1)
	v_dual_add_f32 v0, v0, v1 :: v_dual_sub_f32 v1, v10, v7
	v_mul_f32_e32 v4, 0x3fb8aa3b, v1
	v_cmp_ngt_f32_e32 vcc_lo, 0xc2ce8ed0, v1
	s_delay_alu instid0(VALU_DEP_2) | instskip(SKIP_1) | instid1(VALU_DEP_1)
	v_fma_f32 v5, 0x3fb8aa3b, v1, -v4
	v_rndne_f32_e32 v6, v4
	v_dual_fmac_f32 v5, 0x32a5705f, v1 :: v_dual_sub_f32 v4, v4, v6
	s_delay_alu instid0(VALU_DEP_1) | instskip(SKIP_1) | instid1(VALU_DEP_2)
	v_add_f32_e32 v4, v4, v5
	v_cvt_i32_f32_e32 v5, v6
	v_exp_f32_e32 v4, v4
	s_waitcnt_depctr 0xfff
	v_ldexp_f32 v4, v4, v5
	s_delay_alu instid0(VALU_DEP_1) | instskip(SKIP_1) | instid1(VALU_DEP_2)
	v_cndmask_b32_e32 v4, 0, v4, vcc_lo
	v_cmp_nlt_f32_e32 vcc_lo, 0x42b17218, v1
	v_cndmask_b32_e32 v1, 0x7f800000, v4, vcc_lo
	s_delay_alu instid0(VALU_DEP_1) | instskip(SKIP_3) | instid1(VALU_DEP_2)
	v_dual_add_f32 v0, v0, v1 :: v_dual_sub_f32 v1, v11, v7
	scratch_load_b128 v[8:11], off, off offset:64
	v_mul_f32_e32 v4, 0x3fb8aa3b, v1
	v_cmp_ngt_f32_e32 vcc_lo, 0xc2ce8ed0, v1
	v_fma_f32 v5, 0x3fb8aa3b, v1, -v4
	v_rndne_f32_e32 v6, v4
	s_delay_alu instid0(VALU_DEP_1) | instskip(NEXT) | instid1(VALU_DEP_1)
	v_dual_fmac_f32 v5, 0x32a5705f, v1 :: v_dual_sub_f32 v4, v4, v6
	v_add_f32_e32 v4, v4, v5
	v_cvt_i32_f32_e32 v5, v6
	s_delay_alu instid0(VALU_DEP_2) | instskip(SKIP_2) | instid1(VALU_DEP_1)
	v_exp_f32_e32 v4, v4
	s_waitcnt_depctr 0xfff
	v_ldexp_f32 v4, v4, v5
	v_cndmask_b32_e32 v4, 0, v4, vcc_lo
	v_cmp_nlt_f32_e32 vcc_lo, 0x42b17218, v1
	s_delay_alu instid0(VALU_DEP_2) | instskip(NEXT) | instid1(VALU_DEP_1)
	v_cndmask_b32_e32 v1, 0x7f800000, v4, vcc_lo
	v_add_f32_e32 v0, v0, v1
	s_waitcnt vmcnt(0)
	v_sub_f32_e32 v1, v8, v7
	s_delay_alu instid0(VALU_DEP_1) | instskip(SKIP_1) | instid1(VALU_DEP_2)
	v_mul_f32_e32 v4, 0x3fb8aa3b, v1
	v_cmp_ngt_f32_e32 vcc_lo, 0xc2ce8ed0, v1
	v_fma_f32 v5, 0x3fb8aa3b, v1, -v4
	v_rndne_f32_e32 v6, v4
	s_delay_alu instid0(VALU_DEP_1) | instskip(NEXT) | instid1(VALU_DEP_1)
	v_dual_fmac_f32 v5, 0x32a5705f, v1 :: v_dual_sub_f32 v4, v4, v6
	v_add_f32_e32 v4, v4, v5
	v_cvt_i32_f32_e32 v5, v6
	s_delay_alu instid0(VALU_DEP_2) | instskip(SKIP_2) | instid1(VALU_DEP_1)
	v_exp_f32_e32 v4, v4
	s_waitcnt_depctr 0xfff
	v_ldexp_f32 v4, v4, v5
	v_cndmask_b32_e32 v4, 0, v4, vcc_lo
	v_cmp_nlt_f32_e32 vcc_lo, 0x42b17218, v1
	s_delay_alu instid0(VALU_DEP_2) | instskip(NEXT) | instid1(VALU_DEP_1)
	v_cndmask_b32_e32 v1, 0x7f800000, v4, vcc_lo
	v_dual_add_f32 v0, v0, v1 :: v_dual_sub_f32 v1, v9, v7
	s_delay_alu instid0(VALU_DEP_1) | instskip(SKIP_1) | instid1(VALU_DEP_2)
	v_mul_f32_e32 v4, 0x3fb8aa3b, v1
	v_cmp_ngt_f32_e32 vcc_lo, 0xc2ce8ed0, v1
	v_fma_f32 v5, 0x3fb8aa3b, v1, -v4
	v_rndne_f32_e32 v6, v4
	s_delay_alu instid0(VALU_DEP_1) | instskip(NEXT) | instid1(VALU_DEP_1)
	v_dual_fmac_f32 v5, 0x32a5705f, v1 :: v_dual_sub_f32 v4, v4, v6
	v_add_f32_e32 v4, v4, v5
	v_cvt_i32_f32_e32 v5, v6
	s_delay_alu instid0(VALU_DEP_2) | instskip(SKIP_2) | instid1(VALU_DEP_1)
	v_exp_f32_e32 v4, v4
	s_waitcnt_depctr 0xfff
	v_ldexp_f32 v4, v4, v5
	v_cndmask_b32_e32 v4, 0, v4, vcc_lo
	v_cmp_nlt_f32_e32 vcc_lo, 0x42b17218, v1
	s_delay_alu instid0(VALU_DEP_2) | instskip(NEXT) | instid1(VALU_DEP_1)
	v_cndmask_b32_e32 v1, 0x7f800000, v4, vcc_lo
	v_dual_add_f32 v0, v0, v1 :: v_dual_sub_f32 v1, v10, v7
	;; [unrolled: 18-line block ×3, first 2 shown]
	s_delay_alu instid0(VALU_DEP_1) | instskip(SKIP_1) | instid1(VALU_DEP_2)
	v_mul_f32_e32 v4, 0x3fb8aa3b, v1
	v_cmp_ngt_f32_e32 vcc_lo, 0xc2ce8ed0, v1
	v_fma_f32 v5, 0x3fb8aa3b, v1, -v4
	v_rndne_f32_e32 v6, v4
	s_delay_alu instid0(VALU_DEP_1) | instskip(NEXT) | instid1(VALU_DEP_1)
	v_dual_fmac_f32 v5, 0x32a5705f, v1 :: v_dual_sub_f32 v4, v4, v6
	v_add_f32_e32 v4, v4, v5
	v_cvt_i32_f32_e32 v5, v6
	s_delay_alu instid0(VALU_DEP_2) | instskip(SKIP_2) | instid1(VALU_DEP_1)
	v_exp_f32_e32 v4, v4
	s_waitcnt_depctr 0xfff
	v_ldexp_f32 v4, v4, v5
	v_cndmask_b32_e32 v4, 0, v4, vcc_lo
	v_cmp_nlt_f32_e32 vcc_lo, 0x42b17218, v1
	s_delay_alu instid0(VALU_DEP_2) | instskip(SKIP_4) | instid1(VALU_DEP_1)
	v_cndmask_b32_e32 v1, 0x7f800000, v4, vcc_lo
	scratch_load_b96 v[4:6], off, off offset:80
	v_add_f32_e32 v0, v0, v1
	s_waitcnt vmcnt(0)
	v_sub_f32_e32 v1, v4, v7
	v_mul_f32_e32 v4, 0x3fb8aa3b, v1
	v_cmp_ngt_f32_e32 vcc_lo, 0xc2ce8ed0, v1
	s_delay_alu instid0(VALU_DEP_2) | instskip(SKIP_1) | instid1(VALU_DEP_2)
	v_fma_f32 v8, 0x3fb8aa3b, v1, -v4
	v_rndne_f32_e32 v9, v4
	v_fmac_f32_e32 v8, 0x32a5705f, v1
	s_delay_alu instid0(VALU_DEP_2) | instskip(NEXT) | instid1(VALU_DEP_1)
	v_sub_f32_e32 v4, v4, v9
	v_add_f32_e32 v4, v4, v8
	v_cvt_i32_f32_e32 v8, v9
	s_delay_alu instid0(VALU_DEP_2) | instskip(SKIP_2) | instid1(VALU_DEP_1)
	v_exp_f32_e32 v4, v4
	s_waitcnt_depctr 0xfff
	v_ldexp_f32 v4, v4, v8
	v_cndmask_b32_e32 v4, 0, v4, vcc_lo
	v_cmp_nlt_f32_e32 vcc_lo, 0x42b17218, v1
	s_delay_alu instid0(VALU_DEP_2) | instskip(NEXT) | instid1(VALU_DEP_1)
	v_cndmask_b32_e32 v1, 0x7f800000, v4, vcc_lo
	v_dual_add_f32 v0, v0, v1 :: v_dual_sub_f32 v1, v5, v7
	s_delay_alu instid0(VALU_DEP_1) | instskip(SKIP_1) | instid1(VALU_DEP_2)
	v_mul_f32_e32 v4, 0x3fb8aa3b, v1
	v_cmp_ngt_f32_e32 vcc_lo, 0xc2ce8ed0, v1
	v_fma_f32 v5, 0x3fb8aa3b, v1, -v4
	v_rndne_f32_e32 v8, v4
	s_delay_alu instid0(VALU_DEP_1) | instskip(NEXT) | instid1(VALU_DEP_1)
	v_dual_fmac_f32 v5, 0x32a5705f, v1 :: v_dual_sub_f32 v4, v4, v8
	v_add_f32_e32 v4, v4, v5
	v_cvt_i32_f32_e32 v5, v8
	s_delay_alu instid0(VALU_DEP_2) | instskip(SKIP_2) | instid1(VALU_DEP_1)
	v_exp_f32_e32 v4, v4
	s_waitcnt_depctr 0xfff
	v_ldexp_f32 v4, v4, v5
	v_cndmask_b32_e32 v4, 0, v4, vcc_lo
	v_cmp_nlt_f32_e32 vcc_lo, 0x42b17218, v1
	s_delay_alu instid0(VALU_DEP_2) | instskip(NEXT) | instid1(VALU_DEP_1)
	v_cndmask_b32_e32 v1, 0x7f800000, v4, vcc_lo
	v_dual_add_f32 v0, v0, v1 :: v_dual_sub_f32 v1, v6, v7
	s_delay_alu instid0(VALU_DEP_1) | instskip(SKIP_1) | instid1(VALU_DEP_2)
	v_mul_f32_e32 v4, 0x3fb8aa3b, v1
	v_cmp_ngt_f32_e32 vcc_lo, 0xc2ce8ed0, v1
	v_fma_f32 v5, 0x3fb8aa3b, v1, -v4
	v_rndne_f32_e32 v6, v4
	s_delay_alu instid0(VALU_DEP_1) | instskip(NEXT) | instid1(VALU_DEP_1)
	v_dual_fmac_f32 v5, 0x32a5705f, v1 :: v_dual_sub_f32 v4, v4, v6
	v_add_f32_e32 v4, v4, v5
	v_cvt_i32_f32_e32 v5, v6
	s_delay_alu instid0(VALU_DEP_2) | instskip(SKIP_2) | instid1(VALU_DEP_1)
	v_exp_f32_e32 v4, v4
	s_waitcnt_depctr 0xfff
	v_ldexp_f32 v4, v4, v5
	v_cndmask_b32_e32 v4, 0, v4, vcc_lo
	v_cmp_nlt_f32_e32 vcc_lo, 0x42b17218, v1
	s_delay_alu instid0(VALU_DEP_2) | instskip(NEXT) | instid1(VALU_DEP_1)
	v_cndmask_b32_e32 v1, 0x7f800000, v4, vcc_lo
	v_dual_add_f32 v0, v0, v1 :: v_dual_sub_f32 v1, v2, v7
	s_delay_alu instid0(VALU_DEP_1) | instskip(SKIP_1) | instid1(VALU_DEP_2)
	v_mul_f32_e32 v2, 0x3fb8aa3b, v1
	v_cmp_ngt_f32_e32 vcc_lo, 0xc2ce8ed0, v1
	v_fma_f32 v4, 0x3fb8aa3b, v1, -v2
	v_rndne_f32_e32 v5, v2
	s_delay_alu instid0(VALU_DEP_2) | instskip(NEXT) | instid1(VALU_DEP_2)
	v_fmac_f32_e32 v4, 0x32a5705f, v1
	v_sub_f32_e32 v2, v2, v5
	s_delay_alu instid0(VALU_DEP_1) | instskip(SKIP_1) | instid1(VALU_DEP_2)
	v_add_f32_e32 v2, v2, v4
	v_cvt_i32_f32_e32 v4, v5
	v_exp_f32_e32 v2, v2
	s_waitcnt_depctr 0xfff
	v_ldexp_f32 v2, v2, v4
	s_delay_alu instid0(VALU_DEP_1) | instskip(SKIP_1) | instid1(VALU_DEP_2)
	v_cndmask_b32_e32 v2, 0, v2, vcc_lo
	v_cmp_nlt_f32_e32 vcc_lo, 0x42b17218, v1
	v_cndmask_b32_e32 v1, 0x7f800000, v2, vcc_lo
	s_delay_alu instid0(VALU_DEP_1) | instskip(NEXT) | instid1(VALU_DEP_1)
	v_dual_add_f32 v0, v0, v1 :: v_dual_sub_f32 v1, v3, v7
	v_mul_f32_e32 v2, 0x3fb8aa3b, v1
	v_cmp_ngt_f32_e32 vcc_lo, 0xc2ce8ed0, v1
	s_delay_alu instid0(VALU_DEP_2) | instskip(SKIP_1) | instid1(VALU_DEP_1)
	v_fma_f32 v3, 0x3fb8aa3b, v1, -v2
	v_rndne_f32_e32 v4, v2
	v_dual_fmac_f32 v3, 0x32a5705f, v1 :: v_dual_sub_f32 v2, v2, v4
	s_delay_alu instid0(VALU_DEP_1) | instskip(SKIP_1) | instid1(VALU_DEP_2)
	v_add_f32_e32 v2, v2, v3
	v_cvt_i32_f32_e32 v3, v4
	v_exp_f32_e32 v2, v2
	s_waitcnt_depctr 0xfff
	v_ldexp_f32 v2, v2, v3
	s_delay_alu instid0(VALU_DEP_1) | instskip(SKIP_1) | instid1(VALU_DEP_2)
	v_cndmask_b32_e32 v2, 0, v2, vcc_lo
	v_cmp_nlt_f32_e32 vcc_lo, 0x42b17218, v1
	v_cndmask_b32_e32 v1, 0x7f800000, v2, vcc_lo
	s_delay_alu instid0(VALU_DEP_1) | instskip(SKIP_4) | instid1(VALU_DEP_2)
	v_add_f32_e32 v4, v0, v1
	scratch_load_b128 v[0:3], off, off offset:100
	s_waitcnt vmcnt(0)
	v_sub_f32_e32 v0, v0, v7
	v_sub_f32_e32 v1, v1, v7
	v_mul_f32_e32 v5, 0x3fb8aa3b, v0
	v_cmp_ngt_f32_e32 vcc_lo, 0xc2ce8ed0, v0
	s_delay_alu instid0(VALU_DEP_2) | instskip(SKIP_1) | instid1(VALU_DEP_2)
	v_fma_f32 v6, 0x3fb8aa3b, v0, -v5
	v_rndne_f32_e32 v8, v5
	v_fmac_f32_e32 v6, 0x32a5705f, v0
	s_delay_alu instid0(VALU_DEP_2) | instskip(NEXT) | instid1(VALU_DEP_1)
	v_sub_f32_e32 v5, v5, v8
	v_add_f32_e32 v5, v5, v6
	v_cvt_i32_f32_e32 v6, v8
	s_delay_alu instid0(VALU_DEP_2) | instskip(SKIP_2) | instid1(VALU_DEP_1)
	v_exp_f32_e32 v5, v5
	s_waitcnt_depctr 0xfff
	v_ldexp_f32 v5, v5, v6
	v_cndmask_b32_e32 v5, 0, v5, vcc_lo
	v_cmp_nlt_f32_e32 vcc_lo, 0x42b17218, v0
	s_delay_alu instid0(VALU_DEP_2) | instskip(SKIP_1) | instid1(VALU_DEP_2)
	v_cndmask_b32_e32 v0, 0x7f800000, v5, vcc_lo
	v_cmp_ngt_f32_e32 vcc_lo, 0xc2ce8ed0, v1
	v_add_f32_e32 v0, v4, v0
	v_mul_f32_e32 v4, 0x3fb8aa3b, v1
	s_delay_alu instid0(VALU_DEP_1) | instskip(SKIP_1) | instid1(VALU_DEP_1)
	v_fma_f32 v5, 0x3fb8aa3b, v1, -v4
	v_rndne_f32_e32 v6, v4
	v_dual_fmac_f32 v5, 0x32a5705f, v1 :: v_dual_sub_f32 v4, v4, v6
	s_delay_alu instid0(VALU_DEP_1) | instskip(SKIP_1) | instid1(VALU_DEP_2)
	v_add_f32_e32 v4, v4, v5
	v_cvt_i32_f32_e32 v5, v6
	v_exp_f32_e32 v4, v4
	s_waitcnt_depctr 0xfff
	v_ldexp_f32 v4, v4, v5
	s_delay_alu instid0(VALU_DEP_1) | instskip(SKIP_1) | instid1(VALU_DEP_2)
	v_cndmask_b32_e32 v4, 0, v4, vcc_lo
	v_cmp_nlt_f32_e32 vcc_lo, 0x42b17218, v1
	v_cndmask_b32_e32 v1, 0x7f800000, v4, vcc_lo
	s_delay_alu instid0(VALU_DEP_1) | instskip(NEXT) | instid1(VALU_DEP_1)
	v_dual_add_f32 v0, v0, v1 :: v_dual_sub_f32 v1, v2, v7
	v_mul_f32_e32 v2, 0x3fb8aa3b, v1
	v_cmp_ngt_f32_e32 vcc_lo, 0xc2ce8ed0, v1
	s_delay_alu instid0(VALU_DEP_2) | instskip(SKIP_1) | instid1(VALU_DEP_2)
	v_fma_f32 v4, 0x3fb8aa3b, v1, -v2
	v_rndne_f32_e32 v5, v2
	v_fmac_f32_e32 v4, 0x32a5705f, v1
	s_delay_alu instid0(VALU_DEP_2) | instskip(NEXT) | instid1(VALU_DEP_1)
	v_sub_f32_e32 v2, v2, v5
	v_add_f32_e32 v2, v2, v4
	v_cvt_i32_f32_e32 v4, v5
	s_delay_alu instid0(VALU_DEP_2) | instskip(SKIP_2) | instid1(VALU_DEP_1)
	v_exp_f32_e32 v2, v2
	s_waitcnt_depctr 0xfff
	v_ldexp_f32 v2, v2, v4
	v_cndmask_b32_e32 v2, 0, v2, vcc_lo
	v_cmp_nlt_f32_e32 vcc_lo, 0x42b17218, v1
	s_delay_alu instid0(VALU_DEP_2) | instskip(NEXT) | instid1(VALU_DEP_1)
	v_cndmask_b32_e32 v1, 0x7f800000, v2, vcc_lo
	v_dual_add_f32 v0, v0, v1 :: v_dual_sub_f32 v1, v3, v7
	s_delay_alu instid0(VALU_DEP_1) | instskip(SKIP_1) | instid1(VALU_DEP_2)
	v_mul_f32_e32 v2, 0x3fb8aa3b, v1
	v_cmp_ngt_f32_e32 vcc_lo, 0xc2ce8ed0, v1
	v_fma_f32 v3, 0x3fb8aa3b, v1, -v2
	v_rndne_f32_e32 v4, v2
	s_delay_alu instid0(VALU_DEP_1) | instskip(NEXT) | instid1(VALU_DEP_1)
	v_dual_fmac_f32 v3, 0x32a5705f, v1 :: v_dual_sub_f32 v2, v2, v4
	v_add_f32_e32 v2, v2, v3
	v_cvt_i32_f32_e32 v3, v4
	s_delay_alu instid0(VALU_DEP_2) | instskip(SKIP_2) | instid1(VALU_DEP_1)
	v_exp_f32_e32 v2, v2
	s_waitcnt_depctr 0xfff
	v_ldexp_f32 v2, v2, v3
	v_cndmask_b32_e32 v2, 0, v2, vcc_lo
	v_cmp_nlt_f32_e32 vcc_lo, 0x42b17218, v1
	s_delay_alu instid0(VALU_DEP_2) | instskip(NEXT) | instid1(VALU_DEP_1)
	v_cndmask_b32_e32 v1, 0x7f800000, v2, vcc_lo
	v_add_f32_e32 v3, v0, v1
	scratch_load_b96 v[0:2], off, off offset:116
	s_waitcnt vmcnt(0)
	v_sub_f32_e32 v0, v0, v7
	s_delay_alu instid0(VALU_DEP_1) | instskip(SKIP_1) | instid1(VALU_DEP_2)
	v_dual_sub_f32 v1, v1, v7 :: v_dual_mul_f32 v4, 0x3fb8aa3b, v0
	v_cmp_ngt_f32_e32 vcc_lo, 0xc2ce8ed0, v0
	v_fma_f32 v5, 0x3fb8aa3b, v0, -v4
	v_rndne_f32_e32 v6, v4
	s_delay_alu instid0(VALU_DEP_1) | instskip(NEXT) | instid1(VALU_DEP_1)
	v_dual_fmac_f32 v5, 0x32a5705f, v0 :: v_dual_sub_f32 v4, v4, v6
	v_add_f32_e32 v4, v4, v5
	v_cvt_i32_f32_e32 v5, v6
	s_delay_alu instid0(VALU_DEP_2) | instskip(SKIP_2) | instid1(VALU_DEP_1)
	v_exp_f32_e32 v4, v4
	s_waitcnt_depctr 0xfff
	v_ldexp_f32 v4, v4, v5
	v_cndmask_b32_e32 v4, 0, v4, vcc_lo
	v_cmp_nlt_f32_e32 vcc_lo, 0x42b17218, v0
	s_delay_alu instid0(VALU_DEP_2) | instskip(SKIP_1) | instid1(VALU_DEP_2)
	v_cndmask_b32_e32 v0, 0x7f800000, v4, vcc_lo
	v_cmp_ngt_f32_e32 vcc_lo, 0xc2ce8ed0, v1
	v_dual_add_f32 v0, v3, v0 :: v_dual_mul_f32 v3, 0x3fb8aa3b, v1
	s_delay_alu instid0(VALU_DEP_1) | instskip(SKIP_1) | instid1(VALU_DEP_2)
	v_fma_f32 v4, 0x3fb8aa3b, v1, -v3
	v_rndne_f32_e32 v5, v3
	v_fmac_f32_e32 v4, 0x32a5705f, v1
	s_delay_alu instid0(VALU_DEP_2) | instskip(NEXT) | instid1(VALU_DEP_1)
	v_sub_f32_e32 v3, v3, v5
	v_add_f32_e32 v3, v3, v4
	v_cvt_i32_f32_e32 v4, v5
	s_delay_alu instid0(VALU_DEP_2) | instskip(SKIP_2) | instid1(VALU_DEP_1)
	v_exp_f32_e32 v3, v3
	s_waitcnt_depctr 0xfff
	v_ldexp_f32 v3, v3, v4
	v_cndmask_b32_e32 v3, 0, v3, vcc_lo
	v_cmp_nlt_f32_e32 vcc_lo, 0x42b17218, v1
	s_delay_alu instid0(VALU_DEP_2) | instskip(NEXT) | instid1(VALU_DEP_1)
	v_cndmask_b32_e32 v1, 0x7f800000, v3, vcc_lo
	v_dual_add_f32 v0, v0, v1 :: v_dual_sub_f32 v1, v2, v7
	s_delay_alu instid0(VALU_DEP_1) | instskip(SKIP_1) | instid1(VALU_DEP_2)
	v_mul_f32_e32 v2, 0x3fb8aa3b, v1
	v_cmp_ngt_f32_e32 vcc_lo, 0xc2ce8ed0, v1
	v_fma_f32 v3, 0x3fb8aa3b, v1, -v2
	v_rndne_f32_e32 v4, v2
	s_delay_alu instid0(VALU_DEP_1) | instskip(NEXT) | instid1(VALU_DEP_1)
	v_dual_fmac_f32 v3, 0x32a5705f, v1 :: v_dual_sub_f32 v2, v2, v4
	v_add_f32_e32 v2, v2, v3
	v_cvt_i32_f32_e32 v3, v4
	s_delay_alu instid0(VALU_DEP_2) | instskip(SKIP_2) | instid1(VALU_DEP_1)
	v_exp_f32_e32 v2, v2
	s_waitcnt_depctr 0xfff
	v_ldexp_f32 v2, v2, v3
	v_cndmask_b32_e32 v2, 0, v2, vcc_lo
	v_cmp_nlt_f32_e32 vcc_lo, 0x42b17218, v1
	s_delay_alu instid0(VALU_DEP_2) | instskip(NEXT) | instid1(VALU_DEP_1)
	v_cndmask_b32_e32 v1, 0x7f800000, v2, vcc_lo
	v_add_f32_e32 v0, v0, v1
	s_delay_alu instid0(VALU_DEP_1) | instskip(NEXT) | instid1(VALU_DEP_1)
	v_mov_b32_dpp v1, v0 quad_perm:[1,0,3,2] row_mask:0xf bank_mask:0xf
	v_add_f32_e32 v0, v0, v1
	s_delay_alu instid0(VALU_DEP_1) | instskip(NEXT) | instid1(VALU_DEP_1)
	v_mov_b32_dpp v1, v0 quad_perm:[2,3,0,1] row_mask:0xf bank_mask:0xf
	v_add_f32_e32 v0, v0, v1
	s_delay_alu instid0(VALU_DEP_1) | instskip(NEXT) | instid1(VALU_DEP_1)
	v_mov_b32_dpp v1, v0 row_half_mirror row_mask:0xf bank_mask:0xf
	v_add_f32_e32 v0, v0, v1
	s_delay_alu instid0(VALU_DEP_1)
	v_mov_b32_dpp v1, v0 row_mirror row_mask:0xf bank_mask:0xf
	s_and_b32 exec_lo, exec_lo, s2
	s_cbranch_execz .LBB199_24
; %bb.20:
	s_delay_alu instid0(VALU_DEP_1) | instskip(NEXT) | instid1(VALU_DEP_1)
	v_add_f32_e32 v0, v0, v1
	v_add_f32_e32 v0, v30, v0
	s_delay_alu instid0(VALU_DEP_1)
	v_cmp_neq_f32_e32 vcc_lo, 0, v0
	s_and_b32 exec_lo, exec_lo, vcc_lo
	s_cbranch_execz .LBB199_24
; %bb.21:
	s_and_not1_b32 vcc_lo, exec_lo, s15
	s_cbranch_vccnz .LBB199_24
; %bb.22:
	v_div_scale_f32 v2, null, v0, v0, 1.0
	v_div_scale_f32 v4, vcc_lo, 1.0, v0, 1.0
	s_delay_alu instid0(VALU_DEP_2) | instskip(SKIP_2) | instid1(VALU_DEP_1)
	v_rcp_f32_e32 v3, v2
	s_waitcnt_depctr 0xfff
	v_fma_f32 v1, -v2, v3, 1.0
	v_fmac_f32_e32 v3, v1, v3
	v_mul_lo_u32 v1, v29, s11
	s_delay_alu instid0(VALU_DEP_2) | instskip(NEXT) | instid1(VALU_DEP_1)
	v_mul_f32_e32 v5, v4, v3
	v_fma_f32 v6, -v2, v5, v4
	s_delay_alu instid0(VALU_DEP_1) | instskip(NEXT) | instid1(VALU_DEP_1)
	v_fmac_f32_e32 v5, v6, v3
	v_fma_f32 v4, -v2, v5, v4
	v_ashrrev_i32_e32 v2, 31, v1
	s_delay_alu instid0(VALU_DEP_2) | instskip(NEXT) | instid1(VALU_DEP_2)
	v_div_fmas_f32 v5, v4, v3, v5
	v_lshlrev_b64 v[3:4], 2, v[1:2]
	s_delay_alu instid0(VALU_DEP_2) | instskip(NEXT) | instid1(VALU_DEP_2)
	v_div_fixup_f32 v2, v5, v0, 1.0
	v_add_co_u32 v0, vcc_lo, s12, v3
	s_delay_alu instid0(VALU_DEP_3)
	v_add_co_ci_u32_e32 v1, vcc_lo, s13, v4, vcc_lo
.LBB199_23:                             ; =>This Inner Loop Header: Depth=1
	global_load_b32 v3, v[0:1], off
	s_add_i32 s8, s8, -1
	s_delay_alu instid0(SALU_CYCLE_1)
	s_cmp_lg_u32 s8, 0
	s_waitcnt vmcnt(0)
	v_mul_f32_e32 v3, v2, v3
	global_store_b32 v[0:1], v3, off
	v_add_co_u32 v0, vcc_lo, v0, 4
	v_add_co_ci_u32_e32 v1, vcc_lo, 0, v1, vcc_lo
	s_cbranch_scc1 .LBB199_23
.LBB199_24:
	s_endpgm
	.section	.rodata,"a",@progbits
	.p2align	6, 0x0
	.amdhsa_kernel _ZN4vllm3moe17topkGatingSoftmaxIDF16_Li32ELi512ELi2ELi64ELb0ELi1ELNS0_23SharedExpertScoringFuncE1EEEvPKT_PKbPfiPiS9_iiiiii
		.amdhsa_group_segment_fixed_size 0
		.amdhsa_private_segment_fixed_size 144
		.amdhsa_kernarg_size 72
		.amdhsa_user_sgpr_count 15
		.amdhsa_user_sgpr_dispatch_ptr 0
		.amdhsa_user_sgpr_queue_ptr 0
		.amdhsa_user_sgpr_kernarg_segment_ptr 1
		.amdhsa_user_sgpr_dispatch_id 0
		.amdhsa_user_sgpr_private_segment_size 0
		.amdhsa_wavefront_size32 1
		.amdhsa_uses_dynamic_stack 0
		.amdhsa_enable_private_segment 1
		.amdhsa_system_sgpr_workgroup_id_x 1
		.amdhsa_system_sgpr_workgroup_id_y 0
		.amdhsa_system_sgpr_workgroup_id_z 0
		.amdhsa_system_sgpr_workgroup_info 0
		.amdhsa_system_vgpr_workitem_id 1
		.amdhsa_next_free_vgpr 77
		.amdhsa_next_free_sgpr 19
		.amdhsa_reserve_vcc 1
		.amdhsa_float_round_mode_32 0
		.amdhsa_float_round_mode_16_64 0
		.amdhsa_float_denorm_mode_32 3
		.amdhsa_float_denorm_mode_16_64 3
		.amdhsa_dx10_clamp 1
		.amdhsa_ieee_mode 1
		.amdhsa_fp16_overflow 0
		.amdhsa_workgroup_processor_mode 1
		.amdhsa_memory_ordered 1
		.amdhsa_forward_progress 0
		.amdhsa_shared_vgpr_count 0
		.amdhsa_exception_fp_ieee_invalid_op 0
		.amdhsa_exception_fp_denorm_src 0
		.amdhsa_exception_fp_ieee_div_zero 0
		.amdhsa_exception_fp_ieee_overflow 0
		.amdhsa_exception_fp_ieee_underflow 0
		.amdhsa_exception_fp_ieee_inexact 0
		.amdhsa_exception_int_div_zero 0
	.end_amdhsa_kernel
	.section	.text._ZN4vllm3moe17topkGatingSoftmaxIDF16_Li32ELi512ELi2ELi64ELb0ELi1ELNS0_23SharedExpertScoringFuncE1EEEvPKT_PKbPfiPiS9_iiiiii,"axG",@progbits,_ZN4vllm3moe17topkGatingSoftmaxIDF16_Li32ELi512ELi2ELi64ELb0ELi1ELNS0_23SharedExpertScoringFuncE1EEEvPKT_PKbPfiPiS9_iiiiii,comdat
.Lfunc_end199:
	.size	_ZN4vllm3moe17topkGatingSoftmaxIDF16_Li32ELi512ELi2ELi64ELb0ELi1ELNS0_23SharedExpertScoringFuncE1EEEvPKT_PKbPfiPiS9_iiiiii, .Lfunc_end199-_ZN4vllm3moe17topkGatingSoftmaxIDF16_Li32ELi512ELi2ELi64ELb0ELi1ELNS0_23SharedExpertScoringFuncE1EEEvPKT_PKbPfiPiS9_iiiiii
                                        ; -- End function
	.section	.AMDGPU.csdata,"",@progbits
; Kernel info:
; codeLenInByte = 7572
; NumSgprs: 21
; NumVgprs: 77
; ScratchSize: 144
; MemoryBound: 0
; FloatMode: 240
; IeeeMode: 1
; LDSByteSize: 0 bytes/workgroup (compile time only)
; SGPRBlocks: 2
; VGPRBlocks: 9
; NumSGPRsForWavesPerEU: 21
; NumVGPRsForWavesPerEU: 77
; Occupancy: 16
; WaveLimiterHint : 0
; COMPUTE_PGM_RSRC2:SCRATCH_EN: 1
; COMPUTE_PGM_RSRC2:USER_SGPR: 15
; COMPUTE_PGM_RSRC2:TRAP_HANDLER: 0
; COMPUTE_PGM_RSRC2:TGID_X_EN: 1
; COMPUTE_PGM_RSRC2:TGID_Y_EN: 0
; COMPUTE_PGM_RSRC2:TGID_Z_EN: 0
; COMPUTE_PGM_RSRC2:TIDIG_COMP_CNT: 1
	.section	.text._ZN4vllm3moe17topkGatingSoftmaxIDF16_Li32ELi512ELi2ELi64ELb1ELi2ELNS0_23SharedExpertScoringFuncE1EEEvPKT_PKbPfiPiS9_iiiiii,"axG",@progbits,_ZN4vllm3moe17topkGatingSoftmaxIDF16_Li32ELi512ELi2ELi64ELb1ELi2ELNS0_23SharedExpertScoringFuncE1EEEvPKT_PKbPfiPiS9_iiiiii,comdat
	.protected	_ZN4vllm3moe17topkGatingSoftmaxIDF16_Li32ELi512ELi2ELi64ELb1ELi2ELNS0_23SharedExpertScoringFuncE1EEEvPKT_PKbPfiPiS9_iiiiii ; -- Begin function _ZN4vllm3moe17topkGatingSoftmaxIDF16_Li32ELi512ELi2ELi64ELb1ELi2ELNS0_23SharedExpertScoringFuncE1EEEvPKT_PKbPfiPiS9_iiiiii
	.globl	_ZN4vllm3moe17topkGatingSoftmaxIDF16_Li32ELi512ELi2ELi64ELb1ELi2ELNS0_23SharedExpertScoringFuncE1EEEvPKT_PKbPfiPiS9_iiiiii
	.p2align	8
	.type	_ZN4vllm3moe17topkGatingSoftmaxIDF16_Li32ELi512ELi2ELi64ELb1ELi2ELNS0_23SharedExpertScoringFuncE1EEEvPKT_PKbPfiPiS9_iiiiii,@function
_ZN4vllm3moe17topkGatingSoftmaxIDF16_Li32ELi512ELi2ELi64ELb1ELi2ELNS0_23SharedExpertScoringFuncE1EEEvPKT_PKbPfiPiS9_iiiiii: ; @_ZN4vllm3moe17topkGatingSoftmaxIDF16_Li32ELi512ELi2ELi64ELb1ELi2ELNS0_23SharedExpertScoringFuncE1EEEvPKT_PKbPfiPiS9_iiiiii
; %bb.0:
	s_load_b32 s16, s[0:1], 0x18
	v_bfe_u32 v1, v0, 10, 10
	v_and_b32_e32 v0, 0x3ff, v0
	s_lshl_b32 s18, s15, 2
	s_mov_b32 s2, exec_lo
	s_delay_alu instid0(VALU_DEP_2) | instskip(NEXT) | instid1(VALU_DEP_2)
	v_lshlrev_b32_e32 v29, 1, v1
	v_lshrrev_b32_e32 v30, 4, v0
	s_delay_alu instid0(VALU_DEP_1) | instskip(SKIP_1) | instid1(VALU_DEP_1)
	v_add3_u32 v25, s18, v29, v30
	s_waitcnt lgkmcnt(0)
	v_cmpx_gt_i32_e64 s16, v25
	s_cbranch_execz .LBB200_22
; %bb.1:
	s_clause 0x1
	s_load_b128 s[4:7], s[0:1], 0x0
	s_load_b64 s[12:13], s[0:1], 0x10
	s_waitcnt lgkmcnt(0)
	s_cmp_eq_u64 s[6:7], 0
	s_cbranch_scc1 .LBB200_3
; %bb.2:
	v_ashrrev_i32_e32 v2, 31, v25
	v_add_co_u32 v1, vcc_lo, s6, v25
	s_delay_alu instid0(VALU_DEP_2) | instskip(SKIP_3) | instid1(VALU_DEP_1)
	v_add_co_ci_u32_e32 v2, vcc_lo, s7, v2, vcc_lo
	global_load_u8 v1, v[1:2], off
	s_waitcnt vmcnt(0)
	v_and_b32_e32 v1, 1, v1
	v_cmp_eq_u32_e32 vcc_lo, 1, v1
	s_xor_b32 s2, vcc_lo, -1
	s_delay_alu instid0(SALU_CYCLE_1)
	s_or_not1_b32 s17, s2, exec_lo
	s_branch .LBB200_4
.LBB200_3:
	s_mov_b32 s17, -1
.LBB200_4:
	s_load_b64 s[14:15], s[0:1], 0x40
	v_and_b32_e32 v26, 15, v0
	s_delay_alu instid0(VALU_DEP_1) | instskip(SKIP_2) | instid1(VALU_DEP_1)
	v_dual_mov_b32 v28, 0 :: v_dual_lshlrev_b32 v27, 5, v26
	s_waitcnt lgkmcnt(0)
	v_mul_lo_u32 v1, v25, s15
	v_ashrrev_i32_e32 v2, 31, v1
	s_delay_alu instid0(VALU_DEP_1) | instskip(SKIP_1) | instid1(VALU_DEP_2)
	v_lshlrev_b64 v[0:1], 1, v[1:2]
	v_lshlrev_b32_e32 v2, 6, v26
	v_add_co_u32 v32, vcc_lo, s4, v0
	s_delay_alu instid0(VALU_DEP_3) | instskip(SKIP_1) | instid1(VALU_DEP_2)
	v_add_co_ci_u32_e32 v33, vcc_lo, s5, v1, vcc_lo
	s_load_b128 s[4:7], s[0:1], 0x30
	v_add_co_u32 v8, vcc_lo, v32, v2
	s_delay_alu instid0(VALU_DEP_2)
	v_add_co_ci_u32_e32 v9, vcc_lo, 0, v33, vcc_lo
	v_cmp_gt_u32_e32 vcc_lo, 2, v26
	s_clause 0x3
	global_load_b128 v[0:3], v[8:9], off
	global_load_b128 v[4:7], v[8:9], off offset:16
	global_load_b128 v[34:37], v[8:9], off offset:32
	;; [unrolled: 1-line block ×3, first 2 shown]
	s_waitcnt vmcnt(3)
	v_lshrrev_b32_e32 v31, 16, v0
	v_cvt_f32_f16_e32 v23, v1
	v_lshrrev_b32_e32 v8, 16, v1
	v_cvt_f32_f16_e32 v17, v2
	v_lshrrev_b32_e32 v2, 16, v2
	v_cvt_f32_f16_e32 v19, v3
	v_lshrrev_b32_e32 v10, 16, v3
	s_waitcnt vmcnt(2)
	v_cvt_f32_f16_e32 v13, v4
	v_lshrrev_b32_e32 v4, 16, v4
	v_cvt_f32_f16_e32 v15, v5
	v_lshrrev_b32_e32 v12, 16, v5
	v_cvt_f32_f16_e32 v9, v6
	v_lshrrev_b32_e32 v6, 16, v6
	v_cvt_f32_f16_e32 v11, v7
	v_lshrrev_b32_e32 v42, 16, v7
	s_waitcnt vmcnt(1)
	v_cvt_f32_f16_e32 v1, v34
	;; [unrolled: 9-line block ×3, first 2 shown]
	v_lshrrev_b32_e32 v37, 16, v38
	v_cvt_f32_f16_e32 v36, v39
	v_lshrrev_b32_e32 v46, 16, v39
	v_cvt_f32_f16_e32 v38, v40
	;; [unrolled: 2-line block ×4, first 2 shown]
	v_cvt_f32_f16_e32 v22, v31
	v_cvt_f32_f16_e32 v24, v8
	;; [unrolled: 1-line block ×16, first 2 shown]
	s_clause 0x7
	scratch_store_b128 off, v[38:41], off offset:112
	scratch_store_b128 off, v[34:37], off offset:96
	;; [unrolled: 1-line block ×7, first 2 shown]
	scratch_store_b128 off, v[21:24], off
	s_and_saveexec_b32 s2, vcc_lo
	s_cbranch_execz .LBB200_6
; %bb.5:
	v_lshlrev_b32_e32 v6, 1, v26
	s_mov_b32 s3, 0x3fb8aa3b
	s_delay_alu instid0(VALU_DEP_1) | instskip(SKIP_4) | instid1(VALU_DEP_1)
	v_add_co_u32 v6, vcc_lo, v32, v6
	v_add_co_ci_u32_e32 v7, vcc_lo, 0, v33, vcc_lo
	global_load_u16 v6, v[6:7], off offset:1024
	s_waitcnt vmcnt(0)
	v_cvt_f32_f16_e64 v7, -v6
	v_mul_f32_e32 v8, 0x3fb8aa3b, v7
	v_cmp_ngt_f32_e32 vcc_lo, 0xc2ce8ed0, v7
	s_delay_alu instid0(VALU_DEP_2)
	v_fma_mix_f32 v32, -v6, s3, -v8 op_sel_hi:[1,0,0]
	v_rndne_f32_e32 v33, v8
	s_mov_b32 s3, 0x32a5705f
	s_delay_alu instid0(VALU_DEP_2) | instid1(SALU_CYCLE_1)
	v_fma_mix_f32 v6, -v6, s3, v32 op_sel_hi:[1,0,0]
	s_delay_alu instid0(VALU_DEP_2) | instskip(NEXT) | instid1(VALU_DEP_1)
	v_sub_f32_e32 v8, v8, v33
	v_add_f32_e32 v6, v8, v6
	v_cvt_i32_f32_e32 v8, v33
	s_delay_alu instid0(VALU_DEP_2) | instskip(SKIP_2) | instid1(VALU_DEP_1)
	v_exp_f32_e32 v6, v6
	s_waitcnt_depctr 0xfff
	v_ldexp_f32 v6, v6, v8
	v_cndmask_b32_e32 v6, 0, v6, vcc_lo
	v_cmp_nlt_f32_e32 vcc_lo, 0x42b17218, v7
	s_delay_alu instid0(VALU_DEP_2) | instskip(NEXT) | instid1(VALU_DEP_1)
	v_cndmask_b32_e32 v6, 0x7f800000, v6, vcc_lo
	v_add_f32_e32 v8, 1.0, v6
	s_delay_alu instid0(VALU_DEP_1) | instskip(SKIP_1) | instid1(VALU_DEP_2)
	v_div_scale_f32 v7, null, v8, v8, 1.0
	v_div_scale_f32 v33, vcc_lo, 1.0, v8, 1.0
	v_rcp_f32_e32 v32, v7
	s_waitcnt_depctr 0xfff
	v_fma_f32 v6, -v7, v32, 1.0
	s_delay_alu instid0(VALU_DEP_1) | instskip(SKIP_2) | instid1(VALU_DEP_2)
	v_fmac_f32_e32 v32, v6, v32
	s_waitcnt lgkmcnt(0)
	v_mul_lo_u32 v6, v25, s7
	v_mul_f32_e32 v34, v33, v32
	s_delay_alu instid0(VALU_DEP_2) | instskip(NEXT) | instid1(VALU_DEP_2)
	v_add3_u32 v6, v6, s4, v26
	v_fma_f32 v35, -v7, v34, v33
	s_delay_alu instid0(VALU_DEP_1) | instskip(NEXT) | instid1(VALU_DEP_1)
	v_fmac_f32_e32 v34, v35, v32
	v_fma_f32 v33, -v7, v34, v33
	s_delay_alu instid0(VALU_DEP_4) | instskip(NEXT) | instid1(VALU_DEP_2)
	v_ashrrev_i32_e32 v7, 31, v6
	v_div_fmas_f32 v32, v33, v32, v34
	s_delay_alu instid0(VALU_DEP_2) | instskip(NEXT) | instid1(VALU_DEP_2)
	v_lshlrev_b64 v[6:7], 2, v[6:7]
	v_div_fixup_f32 v8, v32, v8, 1.0
	s_delay_alu instid0(VALU_DEP_2) | instskip(NEXT) | instid1(VALU_DEP_3)
	v_add_co_u32 v6, vcc_lo, s12, v6
	v_add_co_ci_u32_e32 v7, vcc_lo, s13, v7, vcc_lo
	global_store_b32 v[6:7], v8, off
.LBB200_6:
	s_or_b32 exec_lo, exec_lo, s2
	s_clause 0x2
	scratch_load_b128 v[34:37], off, off offset:84
	scratch_load_b128 v[38:41], off, off offset:100
	scratch_load_b96 v[42:44], off, off offset:116
	v_cmp_lt_f16_e32 vcc_lo, v0, v31
	v_or_b32_e32 v7, 1, v27
	v_or_b32_e32 v8, 2, v27
	;; [unrolled: 1-line block ×4, first 2 shown]
	v_cndmask_b32_e32 v6, v21, v22, vcc_lo
	v_cndmask_b32_e32 v0, v27, v7, vcc_lo
	v_or_b32_e32 v21, 3, v27
	v_or_b32_e32 v22, 4, v27
	;; [unrolled: 1-line block ×3, first 2 shown]
	v_cmp_lt_f32_e32 vcc_lo, v6, v23
	v_cndmask_b32_e32 v6, v6, v23, vcc_lo
	v_cndmask_b32_e32 v0, v0, v8, vcc_lo
	v_or_b32_e32 v23, 17, v27
	s_delay_alu instid0(VALU_DEP_3) | instskip(SKIP_1) | instid1(VALU_DEP_4)
	v_cmp_lt_f32_e32 vcc_lo, v6, v24
	v_cndmask_b32_e32 v6, v6, v24, vcc_lo
	v_cndmask_b32_e32 v0, v0, v21, vcc_lo
	v_or_b32_e32 v24, 18, v27
	s_delay_alu instid0(VALU_DEP_3) | instskip(SKIP_1) | instid1(VALU_DEP_4)
	v_cmp_lt_f32_e32 vcc_lo, v6, v17
	v_cndmask_b32_e32 v6, v6, v17, vcc_lo
	v_cndmask_b32_e32 v0, v0, v22, vcc_lo
	v_or_b32_e32 v17, 5, v27
	s_delay_alu instid0(VALU_DEP_3) | instskip(SKIP_1) | instid1(VALU_DEP_3)
	v_cmp_lt_f32_e32 vcc_lo, v6, v18
	v_cndmask_b32_e32 v6, v6, v18, vcc_lo
	v_cndmask_b32_e32 v0, v0, v17, vcc_lo
	v_or_b32_e32 v18, 6, v27
	s_delay_alu instid0(VALU_DEP_3) | instskip(SKIP_1) | instid1(VALU_DEP_3)
	;; [unrolled: 5-line block ×11, first 2 shown]
	v_cmp_lt_f32_e32 vcc_lo, v6, v12
	v_cndmask_b32_e32 v6, v6, v12, vcc_lo
	v_cndmask_b32_e32 v0, v0, v11, vcc_lo
	v_or_b32_e32 v12, 16, v27
	s_delay_alu instid0(VALU_DEP_3) | instskip(NEXT) | instid1(VALU_DEP_2)
	v_cmp_lt_f32_e32 vcc_lo, v6, v1
	v_dual_cndmask_b32 v1, v6, v1 :: v_dual_cndmask_b32 v0, v0, v12
	s_delay_alu instid0(VALU_DEP_1) | instskip(NEXT) | instid1(VALU_DEP_2)
	v_cmp_lt_f32_e32 vcc_lo, v1, v2
	v_dual_cndmask_b32 v1, v1, v2 :: v_dual_cndmask_b32 v0, v0, v23
	s_delay_alu instid0(VALU_DEP_1) | instskip(NEXT) | instid1(VALU_DEP_2)
	v_cmp_lt_f32_e32 vcc_lo, v1, v3
	v_dual_cndmask_b32 v1, v1, v3 :: v_dual_cndmask_b32 v0, v0, v24
	s_delay_alu instid0(VALU_DEP_1) | instskip(NEXT) | instid1(VALU_DEP_2)
	v_cmp_lt_f32_e32 vcc_lo, v1, v4
	v_dual_cndmask_b32 v1, v1, v4 :: v_dual_cndmask_b32 v0, v0, v31
	s_delay_alu instid0(VALU_DEP_1) | instskip(NEXT) | instid1(VALU_DEP_2)
	v_cmp_lt_f32_e32 vcc_lo, v1, v5
	v_dual_cndmask_b32 v1, v1, v5 :: v_dual_cndmask_b32 v0, v0, v32
	s_waitcnt vmcnt(2)
	s_delay_alu instid0(VALU_DEP_1) | instskip(NEXT) | instid1(VALU_DEP_2)
	v_cmp_lt_f32_e32 vcc_lo, v1, v34
	v_dual_cndmask_b32 v1, v1, v34 :: v_dual_cndmask_b32 v0, v0, v33
	v_or_b32_e32 v34, 22, v27
	s_delay_alu instid0(VALU_DEP_2) | instskip(NEXT) | instid1(VALU_DEP_2)
	v_cmp_lt_f32_e32 vcc_lo, v1, v35
	v_dual_cndmask_b32 v1, v1, v35 :: v_dual_cndmask_b32 v0, v0, v34
	v_or_b32_e32 v35, 23, v27
	s_delay_alu instid0(VALU_DEP_2) | instskip(NEXT) | instid1(VALU_DEP_2)
	;; [unrolled: 4-line block ×3, first 2 shown]
	v_cmp_lt_f32_e32 vcc_lo, v1, v37
	v_dual_cndmask_b32 v1, v1, v37 :: v_dual_cndmask_b32 v0, v0, v36
	v_or_b32_e32 v37, 25, v27
	s_waitcnt vmcnt(1)
	s_delay_alu instid0(VALU_DEP_2) | instskip(NEXT) | instid1(VALU_DEP_2)
	v_cmp_lt_f32_e32 vcc_lo, v1, v38
	v_dual_cndmask_b32 v1, v1, v38 :: v_dual_cndmask_b32 v0, v0, v37
	v_or_b32_e32 v38, 26, v27
	s_delay_alu instid0(VALU_DEP_2) | instskip(NEXT) | instid1(VALU_DEP_2)
	v_cmp_lt_f32_e32 vcc_lo, v1, v39
	v_dual_cndmask_b32 v1, v1, v39 :: v_dual_cndmask_b32 v0, v0, v38
	v_or_b32_e32 v39, 27, v27
	;; [unrolled: 4-line block ×4, first 2 shown]
	s_waitcnt vmcnt(0)
	s_delay_alu instid0(VALU_DEP_2) | instskip(NEXT) | instid1(VALU_DEP_2)
	v_cmp_lt_f32_e32 vcc_lo, v1, v42
	v_dual_cndmask_b32 v1, v1, v42 :: v_dual_cndmask_b32 v0, v0, v41
	v_or_b32_e32 v42, 30, v27
	s_delay_alu instid0(VALU_DEP_2) | instskip(NEXT) | instid1(VALU_DEP_2)
	v_cmp_lt_f32_e32 vcc_lo, v1, v43
	v_dual_cndmask_b32 v1, v1, v43 :: v_dual_cndmask_b32 v0, v0, v42
	v_or_b32_e32 v43, 31, v27
	s_delay_alu instid0(VALU_DEP_2) | instskip(NEXT) | instid1(VALU_DEP_2)
	v_cmp_lt_f32_e32 vcc_lo, v1, v44
	v_dual_cndmask_b32 v0, v0, v43 :: v_dual_cndmask_b32 v1, v1, v44
	s_delay_alu instid0(VALU_DEP_1) | instskip(NEXT) | instid1(VALU_DEP_2)
	v_mov_b32_dpp v2, v0 quad_perm:[1,0,3,2] row_mask:0xf bank_mask:0xf
	v_mov_b32_dpp v3, v1 quad_perm:[1,0,3,2] row_mask:0xf bank_mask:0xf
	s_delay_alu instid0(VALU_DEP_2) | instskip(NEXT) | instid1(VALU_DEP_2)
	v_cmp_lt_i32_e32 vcc_lo, v2, v0
	v_cmp_eq_f32_e64 s2, v1, v3
	v_cmp_lt_f32_e64 s3, v1, v3
	s_delay_alu instid0(VALU_DEP_2)
	s_and_b32 s2, s2, vcc_lo
	s_delay_alu instid0(VALU_DEP_1) | instid1(SALU_CYCLE_1)
	s_or_b32 vcc_lo, s3, s2
	v_dual_cndmask_b32 v1, v1, v3 :: v_dual_cndmask_b32 v0, v0, v2
	s_delay_alu instid0(VALU_DEP_1) | instskip(NEXT) | instid1(VALU_DEP_2)
	v_mov_b32_dpp v2, v1 quad_perm:[2,3,0,1] row_mask:0xf bank_mask:0xf
	v_mov_b32_dpp v3, v0 quad_perm:[2,3,0,1] row_mask:0xf bank_mask:0xf
	s_delay_alu instid0(VALU_DEP_2) | instskip(NEXT) | instid1(VALU_DEP_2)
	v_cmp_eq_f32_e32 vcc_lo, v1, v2
	v_cmp_lt_i32_e64 s2, v3, v0
	v_cmp_lt_f32_e64 s3, v1, v2
	s_delay_alu instid0(VALU_DEP_2)
	s_and_b32 s2, vcc_lo, s2
	s_delay_alu instid0(VALU_DEP_1) | instid1(SALU_CYCLE_1)
	s_or_b32 vcc_lo, s3, s2
	v_dual_cndmask_b32 v1, v1, v2 :: v_dual_cndmask_b32 v0, v0, v3
	s_delay_alu instid0(VALU_DEP_1) | instskip(NEXT) | instid1(VALU_DEP_2)
	v_mov_b32_dpp v2, v1 row_half_mirror row_mask:0xf bank_mask:0xf
	v_mov_b32_dpp v3, v0 row_half_mirror row_mask:0xf bank_mask:0xf
	s_delay_alu instid0(VALU_DEP_2) | instskip(NEXT) | instid1(VALU_DEP_2)
	v_cmp_eq_f32_e32 vcc_lo, v1, v2
	v_cmp_lt_i32_e64 s2, v3, v0
	v_cmp_lt_f32_e64 s3, v1, v2
	s_delay_alu instid0(VALU_DEP_2)
	s_and_b32 s2, vcc_lo, s2
	s_delay_alu instid0(VALU_DEP_1) | instid1(SALU_CYCLE_1)
	s_or_b32 vcc_lo, s3, s2
	s_waitcnt lgkmcnt(0)
	s_cmp_gt_i32 s4, 0
	v_cndmask_b32_e32 v2, v1, v2, vcc_lo
	v_cndmask_b32_e32 v0, v0, v3, vcc_lo
	v_cmp_eq_u32_e32 vcc_lo, 0, v26
	s_cselect_b32 s3, -1, 0
	s_cmp_lt_i32 s4, 1
	v_mov_b32_dpp v4, v2 row_mirror row_mask:0xf bank_mask:0xf
	v_mov_b32_dpp v6, v0 row_mirror row_mask:0xf bank_mask:0xf
	s_cbranch_scc1 .LBB200_18
; %bb.7:
	s_load_b128 s[8:11], s[0:1], 0x20
	s_delay_alu instid0(VALU_DEP_2) | instskip(NEXT) | instid1(VALU_DEP_2)
	v_cmp_eq_f32_e64 s0, v2, v4
	v_cmp_lt_i32_e64 s1, v6, v0
	v_cmp_lt_f32_e64 s2, v2, v4
	v_mul_lo_u32 v1, v25, s7
	v_mul_lo_u32 v3, v25, s14
	;; [unrolled: 1-line block ×3, first 2 shown]
	s_and_b32 s0, s0, s1
	v_mov_b32_e32 v28, 0
	s_or_b32 s0, s2, s0
	s_delay_alu instid0(SALU_CYCLE_1)
	v_cndmask_b32_e64 v0, v0, v6, s0
	v_cndmask_b32_e64 v44, v2, v4, s0
	s_and_saveexec_b32 s2, vcc_lo
	s_cbranch_execz .LBB200_9
; %bb.8:
	s_delay_alu instid0(VALU_DEP_1)
	v_sub_f32_e32 v28, v44, v44
	v_cmp_le_i32_e64 s0, s5, v0
	v_cmp_gt_i32_e64 s1, s6, v0
	v_subrev_nc_u32_e32 v51, s5, v0
	v_ashrrev_i32_e32 v6, 31, v5
	v_mul_f32_e32 v2, 0x3fb8aa3b, v28
	s_delay_alu instid0(VALU_DEP_4) | instskip(NEXT) | instid1(SALU_CYCLE_1)
	s_and_b32 s0, s0, s1
	s_and_b32 s0, s17, s0
	s_delay_alu instid0(VALU_DEP_1) | instskip(SKIP_2) | instid1(VALU_DEP_3)
	v_rndne_f32_e32 v47, v2
	v_fma_f32 v4, 0x3fb8aa3b, v28, -v2
	v_lshlrev_b64 v[49:50], 2, v[5:6]
	v_sub_f32_e32 v2, v2, v47
	s_delay_alu instid0(VALU_DEP_3) | instskip(NEXT) | instid1(VALU_DEP_1)
	v_fmamk_f32 v4, v28, 0x32a5705f, v4
	v_add_f32_e32 v4, v2, v4
	v_ashrrev_i32_e32 v2, 31, v1
	s_delay_alu instid0(VALU_DEP_2) | instskip(NEXT) | instid1(VALU_DEP_1)
	v_exp_f32_e32 v52, v4
	v_lshlrev_b64 v[45:46], 2, v[1:2]
	v_ashrrev_i32_e32 v4, 31, v3
	v_cvt_i32_f32_e32 v2, v47
	s_delay_alu instid0(VALU_DEP_2) | instskip(SKIP_2) | instid1(VALU_DEP_1)
	v_lshlrev_b64 v[47:48], 2, v[3:4]
	v_cndmask_b32_e64 v4, 0x200, v51, s0
	v_add_co_u32 v45, s0, s12, v45
	v_add_co_ci_u32_e64 v46, s0, s13, v46, s0
	s_delay_alu instid0(TRANS32_DEP_1) | instskip(SKIP_1) | instid1(VALU_DEP_1)
	v_ldexp_f32 v2, v52, v2
	v_cmp_ngt_f32_e64 s0, 0xc2ce8ed0, v28
	v_cndmask_b32_e64 v2, 0, v2, s0
	s_waitcnt lgkmcnt(0)
	v_add_co_u32 v47, s0, s8, v47
	s_delay_alu instid0(VALU_DEP_1) | instskip(SKIP_1) | instid1(VALU_DEP_1)
	v_add_co_ci_u32_e64 v48, s0, s9, v48, s0
	v_cmp_nlt_f32_e64 s0, 0x42b17218, v28
	v_cndmask_b32_e64 v28, 0x7f800000, v2, s0
	v_add_co_u32 v49, s0, s10, v49
	s_delay_alu instid0(VALU_DEP_1)
	v_add_co_ci_u32_e64 v50, s0, s11, v50, s0
	global_store_b32 v[47:48], v4, off
	global_store_b32 v[45:46], v28, off
	;; [unrolled: 1-line block ×3, first 2 shown]
.LBB200_9:
	s_or_b32 exec_lo, exec_lo, s2
	v_ashrrev_i32_e32 v4, 31, v0
	s_mov_b32 s1, exec_lo
	s_delay_alu instid0(VALU_DEP_1) | instskip(NEXT) | instid1(VALU_DEP_1)
	v_lshrrev_b32_e32 v2, 27, v4
	v_add_nc_u32_e32 v2, v0, v2
	s_delay_alu instid0(VALU_DEP_1) | instskip(NEXT) | instid1(VALU_DEP_1)
	v_ashrrev_i32_e32 v2, 5, v2
	v_lshrrev_b32_e32 v6, 28, v2
	s_delay_alu instid0(VALU_DEP_1) | instskip(NEXT) | instid1(VALU_DEP_1)
	v_add_nc_u32_e32 v6, v2, v6
	v_and_b32_e32 v6, -16, v6
	s_delay_alu instid0(VALU_DEP_1) | instskip(NEXT) | instid1(VALU_DEP_1)
	v_sub_nc_u32_e32 v6, v2, v6
	v_cmpx_eq_u32_e64 v26, v6
	s_cbranch_execz .LBB200_11
; %bb.10:
	v_lshrrev_b32_e32 v4, 23, v4
	v_lshlrev_b32_e32 v2, 5, v2
	s_delay_alu instid0(VALU_DEP_2) | instskip(NEXT) | instid1(VALU_DEP_2)
	v_add_nc_u32_e32 v4, v0, v4
	v_sub_nc_u32_e32 v0, v0, v2
	s_delay_alu instid0(VALU_DEP_2) | instskip(NEXT) | instid1(VALU_DEP_1)
	v_ashrrev_i32_e32 v2, 9, v4
	v_lshl_add_u32 v0, v2, 5, v0
	v_mov_b32_e32 v2, 0xff800000
	s_delay_alu instid0(VALU_DEP_2)
	v_lshl_add_u32 v0, v0, 2, 0
	scratch_store_b32 v0, v2, off
.LBB200_11:
	s_or_b32 exec_lo, exec_lo, s1
	s_cmp_eq_u32 s4, 1
	s_cbranch_scc1 .LBB200_18
; %bb.12:
	s_add_i32 s18, s18, s16
	v_add_nc_u32_e32 v0, 1, v5
	v_add3_u32 v6, s18, v30, v29
	v_dual_mov_b32 v29, 0xff800000 :: v_dual_add_nc_u32 v2, 1, v3
	v_add_nc_u32_e32 v4, 1, v1
	s_add_i32 s14, s4, -1
	s_branch .LBB200_14
.LBB200_13:                             ;   in Loop: Header=BB200_14 Depth=1
	s_or_b32 exec_lo, exec_lo, s1
	v_add_nc_u32_e32 v6, s16, v6
	v_add_nc_u32_e32 v0, 1, v0
	v_add_nc_u32_e32 v2, 1, v2
	v_add_nc_u32_e32 v4, 1, v4
	s_add_i32 s14, s14, -1
	s_delay_alu instid0(SALU_CYCLE_1)
	s_cmp_eq_u32 s14, 0
	s_cbranch_scc1 .LBB200_18
.LBB200_14:                             ; =>This Inner Loop Header: Depth=1
	s_clause 0x7
	scratch_load_b128 v[45:48], off, off
	scratch_load_b128 v[49:52], off, off offset:16
	scratch_load_b128 v[53:56], off, off offset:32
	;; [unrolled: 1-line block ×7, first 2 shown]
	s_waitcnt vmcnt(7)
	v_cmp_gt_f32_e64 s0, v46, v45
	s_delay_alu instid0(VALU_DEP_1) | instskip(SKIP_1) | instid1(VALU_DEP_2)
	v_cndmask_b32_e64 v3, v45, v46, s0
	v_cndmask_b32_e64 v1, v27, v7, s0
	v_cmp_gt_f32_e64 s0, v47, v3
	s_delay_alu instid0(VALU_DEP_1) | instskip(NEXT) | instid1(VALU_DEP_3)
	v_cndmask_b32_e64 v3, v3, v47, s0
	v_cndmask_b32_e64 v1, v1, v8, s0
	s_delay_alu instid0(VALU_DEP_2) | instskip(NEXT) | instid1(VALU_DEP_1)
	v_cmp_gt_f32_e64 s0, v48, v3
	v_cndmask_b32_e64 v3, v3, v48, s0
	s_delay_alu instid0(VALU_DEP_3) | instskip(SKIP_1) | instid1(VALU_DEP_2)
	v_cndmask_b32_e64 v1, v1, v21, s0
	s_waitcnt vmcnt(6)
	v_cmp_gt_f32_e64 s0, v49, v3
	s_delay_alu instid0(VALU_DEP_1) | instskip(NEXT) | instid1(VALU_DEP_3)
	v_cndmask_b32_e64 v3, v3, v49, s0
	v_cndmask_b32_e64 v1, v1, v22, s0
	s_delay_alu instid0(VALU_DEP_2) | instskip(NEXT) | instid1(VALU_DEP_1)
	v_cmp_gt_f32_e64 s0, v50, v3
	v_cndmask_b32_e64 v3, v3, v50, s0
	s_delay_alu instid0(VALU_DEP_3) | instskip(NEXT) | instid1(VALU_DEP_2)
	v_cndmask_b32_e64 v1, v1, v17, s0
	v_cmp_gt_f32_e64 s0, v51, v3
	s_delay_alu instid0(VALU_DEP_1) | instskip(NEXT) | instid1(VALU_DEP_3)
	v_cndmask_b32_e64 v3, v3, v51, s0
	v_cndmask_b32_e64 v1, v1, v18, s0
	s_delay_alu instid0(VALU_DEP_2) | instskip(NEXT) | instid1(VALU_DEP_1)
	v_cmp_gt_f32_e64 s0, v52, v3
	v_cndmask_b32_e64 v3, v3, v52, s0
	s_delay_alu instid0(VALU_DEP_3) | instskip(SKIP_1) | instid1(VALU_DEP_2)
	v_cndmask_b32_e64 v1, v1, v19, s0
	s_waitcnt vmcnt(5)
	v_cmp_gt_f32_e64 s0, v53, v3
	s_delay_alu instid0(VALU_DEP_1) | instskip(NEXT) | instid1(VALU_DEP_3)
	v_cndmask_b32_e64 v3, v3, v53, s0
	v_cndmask_b32_e64 v1, v1, v20, s0
	s_delay_alu instid0(VALU_DEP_2) | instskip(NEXT) | instid1(VALU_DEP_1)
	v_cmp_gt_f32_e64 s0, v54, v3
	v_cndmask_b32_e64 v3, v3, v54, s0
	s_delay_alu instid0(VALU_DEP_3) | instskip(NEXT) | instid1(VALU_DEP_2)
	;; [unrolled: 19-line block ×7, first 2 shown]
	v_cndmask_b32_e64 v1, v1, v41, s0
	v_cmp_gt_f32_e64 s0, v75, v3
	s_delay_alu instid0(VALU_DEP_1) | instskip(NEXT) | instid1(VALU_DEP_3)
	v_cndmask_b32_e64 v3, v3, v75, s0
	v_cndmask_b32_e64 v1, v1, v42, s0
	s_delay_alu instid0(VALU_DEP_2) | instskip(NEXT) | instid1(VALU_DEP_1)
	v_cmp_gt_f32_e64 s0, v76, v3
	v_cndmask_b32_e64 v1, v1, v43, s0
	v_cndmask_b32_e64 v3, v3, v76, s0
	s_delay_alu instid0(VALU_DEP_2) | instskip(NEXT) | instid1(VALU_DEP_2)
	v_mov_b32_dpp v5, v1 quad_perm:[1,0,3,2] row_mask:0xf bank_mask:0xf
	v_mov_b32_dpp v30, v3 quad_perm:[1,0,3,2] row_mask:0xf bank_mask:0xf
	s_delay_alu instid0(VALU_DEP_2) | instskip(NEXT) | instid1(VALU_DEP_2)
	v_cmp_lt_i32_e64 s0, v5, v1
	v_cmp_eq_f32_e64 s1, v3, v30
	v_cmp_lt_f32_e64 s2, v3, v30
	s_delay_alu instid0(VALU_DEP_2)
	s_and_b32 s0, s1, s0
	s_delay_alu instid0(VALU_DEP_1) | instid1(SALU_CYCLE_1)
	s_or_b32 s0, s2, s0
	s_delay_alu instid0(SALU_CYCLE_1) | instskip(SKIP_1) | instid1(VALU_DEP_2)
	v_cndmask_b32_e64 v3, v3, v30, s0
	v_cndmask_b32_e64 v1, v1, v5, s0
	v_mov_b32_dpp v5, v3 quad_perm:[2,3,0,1] row_mask:0xf bank_mask:0xf
	s_delay_alu instid0(VALU_DEP_2) | instskip(NEXT) | instid1(VALU_DEP_2)
	v_mov_b32_dpp v30, v1 quad_perm:[2,3,0,1] row_mask:0xf bank_mask:0xf
	v_cmp_eq_f32_e64 s0, v3, v5
	s_delay_alu instid0(VALU_DEP_2) | instskip(SKIP_1) | instid1(VALU_DEP_2)
	v_cmp_lt_i32_e64 s1, v30, v1
	v_cmp_lt_f32_e64 s2, v3, v5
	s_and_b32 s0, s0, s1
	s_delay_alu instid0(VALU_DEP_1) | instid1(SALU_CYCLE_1)
	s_or_b32 s0, s2, s0
	s_delay_alu instid0(SALU_CYCLE_1) | instskip(SKIP_1) | instid1(VALU_DEP_2)
	v_cndmask_b32_e64 v3, v3, v5, s0
	v_cndmask_b32_e64 v5, v1, v30, s0
	v_mov_b32_dpp v1, v3 row_half_mirror row_mask:0xf bank_mask:0xf
	s_delay_alu instid0(VALU_DEP_2) | instskip(NEXT) | instid1(VALU_DEP_2)
	v_mov_b32_dpp v30, v5 row_half_mirror row_mask:0xf bank_mask:0xf
	v_cmp_eq_f32_e64 s0, v3, v1
	s_delay_alu instid0(VALU_DEP_2) | instskip(SKIP_1) | instid1(VALU_DEP_2)
	v_cmp_lt_i32_e64 s1, v30, v5
	v_cmp_lt_f32_e64 s2, v3, v1
	s_and_b32 s0, s0, s1
	s_delay_alu instid0(VALU_DEP_1) | instid1(SALU_CYCLE_1)
	s_or_b32 s0, s2, s0
	s_delay_alu instid0(SALU_CYCLE_1) | instskip(SKIP_1) | instid1(VALU_DEP_2)
	v_cndmask_b32_e64 v1, v3, v1, s0
	v_cndmask_b32_e64 v5, v5, v30, s0
	v_mov_b32_dpp v3, v1 row_mirror row_mask:0xf bank_mask:0xf
	s_delay_alu instid0(VALU_DEP_2) | instskip(NEXT) | instid1(VALU_DEP_2)
	v_mov_b32_dpp v30, v5 row_mirror row_mask:0xf bank_mask:0xf
	v_cmp_eq_f32_e64 s0, v1, v3
	s_delay_alu instid0(VALU_DEP_2) | instskip(SKIP_1) | instid1(VALU_DEP_2)
	v_cmp_lt_i32_e64 s1, v30, v5
	v_cmp_lt_f32_e64 s2, v1, v3
	s_and_b32 s0, s0, s1
	s_delay_alu instid0(VALU_DEP_1) | instid1(SALU_CYCLE_1)
	s_or_b32 s0, s2, s0
	s_delay_alu instid0(SALU_CYCLE_1)
	v_cndmask_b32_e64 v30, v5, v30, s0
	s_and_saveexec_b32 s2, vcc_lo
	s_cbranch_execz .LBB200_16
; %bb.15:                               ;   in Loop: Header=BB200_14 Depth=1
	v_cndmask_b32_e64 v1, v1, v3, s0
	s_delay_alu instid0(VALU_DEP_2) | instskip(SKIP_4) | instid1(VALU_DEP_4)
	v_cmp_le_i32_e64 s0, s5, v30
	v_cmp_gt_i32_e64 s1, s6, v30
	v_ashrrev_i32_e32 v5, 31, v4
	v_subrev_nc_u32_e32 v52, s5, v30
	v_sub_f32_e32 v51, v1, v44
	s_and_b32 s0, s0, s1
	s_delay_alu instid0(SALU_CYCLE_1) | instskip(NEXT) | instid1(VALU_DEP_1)
	s_and_b32 s0, s17, s0
	v_mul_f32_e32 v1, 0x3fb8aa3b, v51
	s_delay_alu instid0(VALU_DEP_1) | instskip(SKIP_1) | instid1(VALU_DEP_2)
	v_fma_f32 v3, 0x3fb8aa3b, v51, -v1
	v_rndne_f32_e32 v45, v1
	v_fmac_f32_e32 v3, 0x32a5705f, v51
	s_delay_alu instid0(VALU_DEP_2) | instskip(SKIP_2) | instid1(VALU_DEP_3)
	v_sub_f32_e32 v1, v1, v45
	v_cvt_i32_f32_e32 v50, v45
	v_lshlrev_b64 v[45:46], 2, v[4:5]
	v_add_f32_e32 v1, v1, v3
	v_ashrrev_i32_e32 v3, 31, v2
	s_delay_alu instid0(VALU_DEP_2) | instskip(SKIP_1) | instid1(VALU_DEP_2)
	v_exp_f32_e32 v49, v1
	v_ashrrev_i32_e32 v1, 31, v0
	v_lshlrev_b64 v[47:48], 2, v[2:3]
	s_waitcnt_depctr 0xfff
	v_ldexp_f32 v3, v49, v50
	v_lshlrev_b64 v[49:50], 2, v[0:1]
	v_cndmask_b32_e64 v1, 0x200, v52, s0
	v_cmp_ngt_f32_e64 s0, 0xc2ce8ed0, v51
	s_delay_alu instid0(VALU_DEP_1) | instskip(SKIP_1) | instid1(VALU_DEP_1)
	v_cndmask_b32_e64 v3, 0, v3, s0
	v_add_co_u32 v45, s0, s12, v45
	v_add_co_ci_u32_e64 v46, s0, s13, v46, s0
	v_cmp_nlt_f32_e64 s0, 0x42b17218, v51
	s_delay_alu instid0(VALU_DEP_1) | instskip(SKIP_2) | instid1(VALU_DEP_1)
	v_cndmask_b32_e64 v3, 0x7f800000, v3, s0
	s_waitcnt lgkmcnt(0)
	v_add_co_u32 v47, s0, s8, v47
	v_add_co_ci_u32_e64 v48, s0, s9, v48, s0
	s_delay_alu instid0(VALU_DEP_3) | instskip(SKIP_1) | instid1(VALU_DEP_1)
	v_add_f32_e32 v28, v28, v3
	v_add_co_u32 v49, s0, s10, v49
	v_add_co_ci_u32_e64 v50, s0, s11, v50, s0
	global_store_b32 v[45:46], v3, off
	global_store_b32 v[47:48], v1, off
	;; [unrolled: 1-line block ×3, first 2 shown]
.LBB200_16:                             ;   in Loop: Header=BB200_14 Depth=1
	s_or_b32 exec_lo, exec_lo, s2
	s_delay_alu instid0(VALU_DEP_1) | instskip(SKIP_1) | instid1(VALU_DEP_1)
	v_ashrrev_i32_e32 v3, 31, v30
	s_mov_b32 s1, exec_lo
	v_lshrrev_b32_e32 v1, 27, v3
	s_delay_alu instid0(VALU_DEP_1) | instskip(NEXT) | instid1(VALU_DEP_1)
	v_add_nc_u32_e32 v1, v30, v1
	v_ashrrev_i32_e32 v1, 5, v1
	s_delay_alu instid0(VALU_DEP_1) | instskip(NEXT) | instid1(VALU_DEP_1)
	v_lshrrev_b32_e32 v5, 28, v1
	v_add_nc_u32_e32 v5, v1, v5
	s_delay_alu instid0(VALU_DEP_1) | instskip(NEXT) | instid1(VALU_DEP_1)
	v_and_b32_e32 v5, -16, v5
	v_sub_nc_u32_e32 v5, v1, v5
	s_delay_alu instid0(VALU_DEP_1)
	v_cmpx_eq_u32_e64 v26, v5
	s_cbranch_execz .LBB200_13
; %bb.17:                               ;   in Loop: Header=BB200_14 Depth=1
	v_lshrrev_b32_e32 v3, 23, v3
	v_lshlrev_b32_e32 v1, 5, v1
	s_delay_alu instid0(VALU_DEP_2) | instskip(NEXT) | instid1(VALU_DEP_2)
	v_add_nc_u32_e32 v3, v30, v3
	v_sub_nc_u32_e32 v1, v30, v1
	s_delay_alu instid0(VALU_DEP_2) | instskip(NEXT) | instid1(VALU_DEP_1)
	v_ashrrev_i32_e32 v3, 9, v3
	v_lshl_add_u32 v1, v3, 5, v1
	s_delay_alu instid0(VALU_DEP_1)
	v_lshl_add_u32 v1, v1, 2, 0
	scratch_store_b32 v1, v29, off
	s_branch .LBB200_13
.LBB200_18:
	v_cmp_eq_u32_e32 vcc_lo, 0, v26
	v_cmp_neq_f32_e64 s0, 0, v28
	s_delay_alu instid0(VALU_DEP_1) | instskip(NEXT) | instid1(SALU_CYCLE_1)
	s_and_b32 s0, vcc_lo, s0
	s_and_b32 exec_lo, exec_lo, s0
	s_cbranch_execz .LBB200_22
; %bb.19:
	s_and_not1_b32 vcc_lo, exec_lo, s3
	s_cbranch_vccnz .LBB200_22
; %bb.20:
	v_div_scale_f32 v1, null, v28, v28, 1.0
	v_div_scale_f32 v3, vcc_lo, 1.0, v28, 1.0
	s_delay_alu instid0(VALU_DEP_2) | instskip(SKIP_2) | instid1(VALU_DEP_1)
	v_rcp_f32_e32 v2, v1
	s_waitcnt_depctr 0xfff
	v_fma_f32 v0, -v1, v2, 1.0
	v_fmac_f32_e32 v2, v0, v2
	v_mul_lo_u32 v0, v25, s7
	s_delay_alu instid0(VALU_DEP_2) | instskip(NEXT) | instid1(VALU_DEP_1)
	v_mul_f32_e32 v4, v3, v2
	v_fma_f32 v5, -v1, v4, v3
	s_delay_alu instid0(VALU_DEP_1) | instskip(NEXT) | instid1(VALU_DEP_1)
	v_fmac_f32_e32 v4, v5, v2
	v_fma_f32 v3, -v1, v4, v3
	v_ashrrev_i32_e32 v1, 31, v0
	s_delay_alu instid0(VALU_DEP_2) | instskip(NEXT) | instid1(VALU_DEP_2)
	v_div_fmas_f32 v2, v3, v2, v4
	v_lshlrev_b64 v[0:1], 2, v[0:1]
	s_delay_alu instid0(VALU_DEP_2) | instskip(NEXT) | instid1(VALU_DEP_2)
	v_div_fixup_f32 v2, v2, v28, 1.0
	v_add_co_u32 v0, vcc_lo, s12, v0
	s_delay_alu instid0(VALU_DEP_3)
	v_add_co_ci_u32_e32 v1, vcc_lo, s13, v1, vcc_lo
.LBB200_21:                             ; =>This Inner Loop Header: Depth=1
	global_load_b32 v3, v[0:1], off
	s_add_i32 s4, s4, -1
	s_delay_alu instid0(SALU_CYCLE_1)
	s_cmp_lg_u32 s4, 0
	s_waitcnt vmcnt(0)
	v_mul_f32_e32 v3, v2, v3
	global_store_b32 v[0:1], v3, off
	v_add_co_u32 v0, vcc_lo, v0, 4
	v_add_co_ci_u32_e32 v1, vcc_lo, 0, v1, vcc_lo
	s_cbranch_scc1 .LBB200_21
.LBB200_22:
	s_endpgm
	.section	.rodata,"a",@progbits
	.p2align	6, 0x0
	.amdhsa_kernel _ZN4vllm3moe17topkGatingSoftmaxIDF16_Li32ELi512ELi2ELi64ELb1ELi2ELNS0_23SharedExpertScoringFuncE1EEEvPKT_PKbPfiPiS9_iiiiii
		.amdhsa_group_segment_fixed_size 0
		.amdhsa_private_segment_fixed_size 144
		.amdhsa_kernarg_size 72
		.amdhsa_user_sgpr_count 15
		.amdhsa_user_sgpr_dispatch_ptr 0
		.amdhsa_user_sgpr_queue_ptr 0
		.amdhsa_user_sgpr_kernarg_segment_ptr 1
		.amdhsa_user_sgpr_dispatch_id 0
		.amdhsa_user_sgpr_private_segment_size 0
		.amdhsa_wavefront_size32 1
		.amdhsa_uses_dynamic_stack 0
		.amdhsa_enable_private_segment 1
		.amdhsa_system_sgpr_workgroup_id_x 1
		.amdhsa_system_sgpr_workgroup_id_y 0
		.amdhsa_system_sgpr_workgroup_id_z 0
		.amdhsa_system_sgpr_workgroup_info 0
		.amdhsa_system_vgpr_workitem_id 1
		.amdhsa_next_free_vgpr 77
		.amdhsa_next_free_sgpr 19
		.amdhsa_reserve_vcc 1
		.amdhsa_float_round_mode_32 0
		.amdhsa_float_round_mode_16_64 0
		.amdhsa_float_denorm_mode_32 3
		.amdhsa_float_denorm_mode_16_64 3
		.amdhsa_dx10_clamp 1
		.amdhsa_ieee_mode 1
		.amdhsa_fp16_overflow 0
		.amdhsa_workgroup_processor_mode 1
		.amdhsa_memory_ordered 1
		.amdhsa_forward_progress 0
		.amdhsa_shared_vgpr_count 0
		.amdhsa_exception_fp_ieee_invalid_op 0
		.amdhsa_exception_fp_denorm_src 0
		.amdhsa_exception_fp_ieee_div_zero 0
		.amdhsa_exception_fp_ieee_overflow 0
		.amdhsa_exception_fp_ieee_underflow 0
		.amdhsa_exception_fp_ieee_inexact 0
		.amdhsa_exception_int_div_zero 0
	.end_amdhsa_kernel
	.section	.text._ZN4vllm3moe17topkGatingSoftmaxIDF16_Li32ELi512ELi2ELi64ELb1ELi2ELNS0_23SharedExpertScoringFuncE1EEEvPKT_PKbPfiPiS9_iiiiii,"axG",@progbits,_ZN4vllm3moe17topkGatingSoftmaxIDF16_Li32ELi512ELi2ELi64ELb1ELi2ELNS0_23SharedExpertScoringFuncE1EEEvPKT_PKbPfiPiS9_iiiiii,comdat
.Lfunc_end200:
	.size	_ZN4vllm3moe17topkGatingSoftmaxIDF16_Li32ELi512ELi2ELi64ELb1ELi2ELNS0_23SharedExpertScoringFuncE1EEEvPKT_PKbPfiPiS9_iiiiii, .Lfunc_end200-_ZN4vllm3moe17topkGatingSoftmaxIDF16_Li32ELi512ELi2ELi64ELb1ELi2ELNS0_23SharedExpertScoringFuncE1EEEvPKT_PKbPfiPiS9_iiiiii
                                        ; -- End function
	.section	.AMDGPU.csdata,"",@progbits
; Kernel info:
; codeLenInByte = 4424
; NumSgprs: 21
; NumVgprs: 77
; ScratchSize: 144
; MemoryBound: 0
; FloatMode: 240
; IeeeMode: 1
; LDSByteSize: 0 bytes/workgroup (compile time only)
; SGPRBlocks: 2
; VGPRBlocks: 9
; NumSGPRsForWavesPerEU: 21
; NumVGPRsForWavesPerEU: 77
; Occupancy: 16
; WaveLimiterHint : 0
; COMPUTE_PGM_RSRC2:SCRATCH_EN: 1
; COMPUTE_PGM_RSRC2:USER_SGPR: 15
; COMPUTE_PGM_RSRC2:TRAP_HANDLER: 0
; COMPUTE_PGM_RSRC2:TGID_X_EN: 1
; COMPUTE_PGM_RSRC2:TGID_Y_EN: 0
; COMPUTE_PGM_RSRC2:TGID_Z_EN: 0
; COMPUTE_PGM_RSRC2:TIDIG_COMP_CNT: 1
	.section	.text._ZN4vllm3moe17topkGatingSoftmaxIDF16_Li32ELi512ELi2ELi64ELb0ELi2ELNS0_23SharedExpertScoringFuncE1EEEvPKT_PKbPfiPiS9_iiiiii,"axG",@progbits,_ZN4vllm3moe17topkGatingSoftmaxIDF16_Li32ELi512ELi2ELi64ELb0ELi2ELNS0_23SharedExpertScoringFuncE1EEEvPKT_PKbPfiPiS9_iiiiii,comdat
	.protected	_ZN4vllm3moe17topkGatingSoftmaxIDF16_Li32ELi512ELi2ELi64ELb0ELi2ELNS0_23SharedExpertScoringFuncE1EEEvPKT_PKbPfiPiS9_iiiiii ; -- Begin function _ZN4vllm3moe17topkGatingSoftmaxIDF16_Li32ELi512ELi2ELi64ELb0ELi2ELNS0_23SharedExpertScoringFuncE1EEEvPKT_PKbPfiPiS9_iiiiii
	.globl	_ZN4vllm3moe17topkGatingSoftmaxIDF16_Li32ELi512ELi2ELi64ELb0ELi2ELNS0_23SharedExpertScoringFuncE1EEEvPKT_PKbPfiPiS9_iiiiii
	.p2align	8
	.type	_ZN4vllm3moe17topkGatingSoftmaxIDF16_Li32ELi512ELi2ELi64ELb0ELi2ELNS0_23SharedExpertScoringFuncE1EEEvPKT_PKbPfiPiS9_iiiiii,@function
_ZN4vllm3moe17topkGatingSoftmaxIDF16_Li32ELi512ELi2ELi64ELb0ELi2ELNS0_23SharedExpertScoringFuncE1EEEvPKT_PKbPfiPiS9_iiiiii: ; @_ZN4vllm3moe17topkGatingSoftmaxIDF16_Li32ELi512ELi2ELi64ELb0ELi2ELNS0_23SharedExpertScoringFuncE1EEEvPKT_PKbPfiPiS9_iiiiii
; %bb.0:
	s_load_b32 s16, s[0:1], 0x18
	v_bfe_u32 v1, v0, 10, 10
	v_and_b32_e32 v0, 0x3ff, v0
	s_lshl_b32 s18, s15, 2
	s_mov_b32 s2, exec_lo
	s_delay_alu instid0(VALU_DEP_2) | instskip(NEXT) | instid1(VALU_DEP_2)
	v_lshlrev_b32_e32 v33, 1, v1
	v_lshrrev_b32_e32 v34, 4, v0
	s_delay_alu instid0(VALU_DEP_1) | instskip(SKIP_1) | instid1(VALU_DEP_1)
	v_add3_u32 v29, s18, v33, v34
	s_waitcnt lgkmcnt(0)
	v_cmpx_gt_i32_e64 s16, v29
	s_cbranch_execz .LBB201_24
; %bb.1:
	s_clause 0x1
	s_load_b128 s[4:7], s[0:1], 0x0
	s_load_b64 s[12:13], s[0:1], 0x10
	s_waitcnt lgkmcnt(0)
	s_cmp_eq_u64 s[6:7], 0
	s_cbranch_scc1 .LBB201_3
; %bb.2:
	v_ashrrev_i32_e32 v2, 31, v29
	v_add_co_u32 v1, vcc_lo, s6, v29
	s_delay_alu instid0(VALU_DEP_2) | instskip(SKIP_3) | instid1(VALU_DEP_1)
	v_add_co_ci_u32_e32 v2, vcc_lo, s7, v2, vcc_lo
	global_load_u8 v1, v[1:2], off
	s_waitcnt vmcnt(0)
	v_and_b32_e32 v1, 1, v1
	v_cmp_eq_u32_e32 vcc_lo, 1, v1
	s_xor_b32 s2, vcc_lo, -1
	s_delay_alu instid0(SALU_CYCLE_1)
	s_or_not1_b32 s17, s2, exec_lo
	s_branch .LBB201_4
.LBB201_3:
	s_mov_b32 s17, -1
.LBB201_4:
	s_load_b64 s[14:15], s[0:1], 0x40
	v_dual_mov_b32 v31, 0 :: v_dual_and_b32 v30, 15, v0
	s_delay_alu instid0(VALU_DEP_1) | instskip(SKIP_2) | instid1(VALU_DEP_1)
	v_lshlrev_b32_e32 v32, 5, v30
	s_waitcnt lgkmcnt(0)
	v_mul_lo_u32 v1, v29, s15
	v_ashrrev_i32_e32 v2, 31, v1
	s_delay_alu instid0(VALU_DEP_1) | instskip(SKIP_1) | instid1(VALU_DEP_2)
	v_lshlrev_b64 v[0:1], 1, v[1:2]
	v_lshlrev_b32_e32 v2, 6, v30
	v_add_co_u32 v0, vcc_lo, s4, v0
	s_delay_alu instid0(VALU_DEP_3) | instskip(SKIP_1) | instid1(VALU_DEP_2)
	v_add_co_ci_u32_e32 v1, vcc_lo, s5, v1, vcc_lo
	s_load_b128 s[4:7], s[0:1], 0x30
	v_add_co_u32 v2, vcc_lo, v0, v2
	s_delay_alu instid0(VALU_DEP_2)
	v_add_co_ci_u32_e32 v3, vcc_lo, 0, v1, vcc_lo
	v_cmp_gt_u32_e32 vcc_lo, 2, v30
	s_clause 0x3
	global_load_b128 v[4:7], v[2:3], off
	global_load_b128 v[8:11], v[2:3], off offset:16
	global_load_b128 v[36:39], v[2:3], off offset:32
	;; [unrolled: 1-line block ×3, first 2 shown]
	s_waitcnt vmcnt(3)
	v_lshrrev_b32_e32 v35, 16, v4
	v_cvt_f32_f16_e32 v27, v5
	v_lshrrev_b32_e32 v2, 16, v5
	v_cvt_f32_f16_e32 v21, v6
	v_lshrrev_b32_e32 v3, 16, v6
	v_cvt_f32_f16_e32 v23, v7
	v_lshrrev_b32_e32 v6, 16, v7
	s_waitcnt vmcnt(2)
	v_cvt_f32_f16_e32 v17, v8
	v_lshrrev_b32_e32 v8, 16, v8
	v_cvt_f32_f16_e32 v19, v9
	v_lshrrev_b32_e32 v12, 16, v9
	v_cvt_f32_f16_e32 v13, v10
	v_lshrrev_b32_e32 v10, 16, v10
	v_cvt_f32_f16_e32 v15, v11
	v_lshrrev_b32_e32 v16, 16, v11
	s_waitcnt vmcnt(1)
	v_cvt_f32_f16_e32 v5, v36
	;; [unrolled: 9-line block ×3, first 2 shown]
	v_lshrrev_b32_e32 v39, 16, v40
	v_cvt_f32_f16_e32 v38, v41
	v_lshrrev_b32_e32 v47, 16, v41
	v_cvt_f32_f16_e32 v40, v42
	v_lshrrev_b32_e32 v41, 16, v42
	v_cvt_f32_f16_e32 v42, v43
	v_lshrrev_b32_e32 v43, 16, v43
	v_cvt_f32_f16_e32 v25, v4
	v_cvt_f32_f16_e32 v26, v35
	v_cvt_f32_f16_e32 v28, v2
	;; [unrolled: 1-line block ×16, first 2 shown]
	s_clause 0x7
	scratch_store_b128 off, v[40:43], off offset:112
	scratch_store_b128 off, v[36:39], off offset:96
	;; [unrolled: 1-line block ×7, first 2 shown]
	scratch_store_b128 off, v[25:28], off
	s_and_saveexec_b32 s2, vcc_lo
	s_cbranch_execz .LBB201_6
; %bb.5:
	v_lshlrev_b32_e32 v2, 1, v30
	s_mov_b32 s3, 0x3fb8aa3b
	s_delay_alu instid0(VALU_DEP_1) | instskip(SKIP_4) | instid1(VALU_DEP_1)
	v_add_co_u32 v0, vcc_lo, v0, v2
	v_add_co_ci_u32_e32 v1, vcc_lo, 0, v1, vcc_lo
	global_load_u16 v0, v[0:1], off offset:1024
	s_waitcnt vmcnt(0)
	v_cvt_f32_f16_e64 v1, -v0
	v_mul_f32_e32 v2, 0x3fb8aa3b, v1
	v_cmp_ngt_f32_e32 vcc_lo, 0xc2ce8ed0, v1
	s_delay_alu instid0(VALU_DEP_2)
	v_fma_mix_f32 v3, -v0, s3, -v2 op_sel_hi:[1,0,0]
	v_rndne_f32_e32 v10, v2
	s_mov_b32 s3, 0x32a5705f
	s_delay_alu instid0(VALU_DEP_2) | instid1(SALU_CYCLE_1)
	v_fma_mix_f32 v0, -v0, s3, v3 op_sel_hi:[1,0,0]
	s_delay_alu instid0(VALU_DEP_2) | instskip(NEXT) | instid1(VALU_DEP_1)
	v_sub_f32_e32 v2, v2, v10
	v_add_f32_e32 v0, v2, v0
	v_cvt_i32_f32_e32 v2, v10
	s_delay_alu instid0(VALU_DEP_2) | instskip(SKIP_2) | instid1(VALU_DEP_1)
	v_exp_f32_e32 v0, v0
	s_waitcnt_depctr 0xfff
	v_ldexp_f32 v0, v0, v2
	v_cndmask_b32_e32 v0, 0, v0, vcc_lo
	v_cmp_nlt_f32_e32 vcc_lo, 0x42b17218, v1
	s_delay_alu instid0(VALU_DEP_2) | instskip(NEXT) | instid1(VALU_DEP_1)
	v_cndmask_b32_e32 v0, 0x7f800000, v0, vcc_lo
	v_add_f32_e32 v2, 1.0, v0
	s_delay_alu instid0(VALU_DEP_1) | instskip(SKIP_1) | instid1(VALU_DEP_2)
	v_div_scale_f32 v1, null, v2, v2, 1.0
	v_div_scale_f32 v10, vcc_lo, 1.0, v2, 1.0
	v_rcp_f32_e32 v3, v1
	s_waitcnt_depctr 0xfff
	v_fma_f32 v0, -v1, v3, 1.0
	s_delay_alu instid0(VALU_DEP_1) | instskip(SKIP_2) | instid1(VALU_DEP_2)
	v_fmac_f32_e32 v3, v0, v3
	s_waitcnt lgkmcnt(0)
	v_mul_lo_u32 v0, v29, s7
	v_mul_f32_e32 v11, v10, v3
	s_delay_alu instid0(VALU_DEP_2) | instskip(NEXT) | instid1(VALU_DEP_2)
	v_add3_u32 v0, v0, s4, v30
	v_fma_f32 v12, -v1, v11, v10
	s_delay_alu instid0(VALU_DEP_1) | instskip(NEXT) | instid1(VALU_DEP_1)
	v_fmac_f32_e32 v11, v12, v3
	v_fma_f32 v10, -v1, v11, v10
	s_delay_alu instid0(VALU_DEP_4) | instskip(NEXT) | instid1(VALU_DEP_2)
	v_ashrrev_i32_e32 v1, 31, v0
	v_div_fmas_f32 v3, v10, v3, v11
	s_delay_alu instid0(VALU_DEP_2) | instskip(NEXT) | instid1(VALU_DEP_2)
	v_lshlrev_b64 v[0:1], 2, v[0:1]
	v_div_fixup_f32 v2, v3, v2, 1.0
	s_delay_alu instid0(VALU_DEP_2) | instskip(NEXT) | instid1(VALU_DEP_3)
	v_add_co_u32 v0, vcc_lo, s12, v0
	v_add_co_ci_u32_e32 v1, vcc_lo, s13, v1, vcc_lo
	global_store_b32 v[0:1], v2, off
.LBB201_6:
	s_or_b32 exec_lo, exec_lo, s2
	s_clause 0x2
	scratch_load_b128 v[0:3], off, off offset:84
	scratch_load_b128 v[39:42], off, off offset:100
	scratch_load_b96 v[43:45], off, off offset:116
	v_cmp_lt_f16_e32 vcc_lo, v4, v35
	v_or_b32_e32 v10, 1, v32
	v_or_b32_e32 v36, 23, v32
	;; [unrolled: 1-line block ×4, first 2 shown]
	v_cndmask_b32_e32 v12, v25, v26, vcc_lo
	v_cndmask_b32_e32 v4, v32, v10, vcc_lo
	v_or_b32_e32 v37, 24, v32
	v_or_b32_e32 v35, 22, v32
	s_delay_alu instid0(VALU_DEP_4) | instskip(SKIP_4) | instid1(VALU_DEP_4)
	v_cmp_lt_f32_e32 vcc_lo, v12, v27
	v_cndmask_b32_e32 v25, v12, v27, vcc_lo
	v_cndmask_b32_e32 v4, v4, v11, vcc_lo
	v_or_b32_e32 v12, 3, v32
	v_or_b32_e32 v27, 18, v32
	v_cmp_lt_f32_e32 vcc_lo, v25, v28
	v_cndmask_b32_e32 v26, v25, v28, vcc_lo
	s_delay_alu instid0(VALU_DEP_4) | instskip(SKIP_2) | instid1(VALU_DEP_4)
	v_cndmask_b32_e32 v4, v4, v12, vcc_lo
	v_or_b32_e32 v25, 4, v32
	v_or_b32_e32 v28, 19, v32
	v_cmp_lt_f32_e32 vcc_lo, v26, v21
	v_cndmask_b32_e32 v26, v26, v21, vcc_lo
	s_delay_alu instid0(VALU_DEP_4) | instskip(SKIP_1) | instid1(VALU_DEP_3)
	v_cndmask_b32_e32 v4, v4, v25, vcc_lo
	v_or_b32_e32 v21, 5, v32
	v_cmp_lt_f32_e32 vcc_lo, v26, v22
	v_cndmask_b32_e32 v26, v26, v22, vcc_lo
	s_delay_alu instid0(VALU_DEP_3) | instskip(SKIP_1) | instid1(VALU_DEP_3)
	v_cndmask_b32_e32 v4, v4, v21, vcc_lo
	v_or_b32_e32 v22, 6, v32
	v_cmp_lt_f32_e32 vcc_lo, v26, v23
	v_cndmask_b32_e32 v26, v26, v23, vcc_lo
	s_delay_alu instid0(VALU_DEP_3) | instskip(SKIP_1) | instid1(VALU_DEP_3)
	;; [unrolled: 5-line block ×11, first 2 shown]
	v_cndmask_b32_e32 v4, v4, v15, vcc_lo
	v_or_b32_e32 v16, 16, v32
	v_cmp_lt_f32_e32 vcc_lo, v26, v5
	s_delay_alu instid0(VALU_DEP_2) | instskip(SKIP_1) | instid1(VALU_DEP_2)
	v_dual_cndmask_b32 v5, v26, v5 :: v_dual_cndmask_b32 v4, v4, v16
	v_or_b32_e32 v26, 17, v32
	v_cmp_lt_f32_e32 vcc_lo, v5, v6
	v_cndmask_b32_e32 v5, v5, v6, vcc_lo
	s_delay_alu instid0(VALU_DEP_3) | instskip(NEXT) | instid1(VALU_DEP_2)
	v_cndmask_b32_e32 v4, v4, v26, vcc_lo
	v_cmp_lt_f32_e32 vcc_lo, v5, v7
	v_cndmask_b32_e32 v5, v5, v7, vcc_lo
	s_delay_alu instid0(VALU_DEP_3) | instskip(NEXT) | instid1(VALU_DEP_2)
	v_cndmask_b32_e32 v4, v4, v27, vcc_lo
	v_cmp_lt_f32_e32 vcc_lo, v5, v8
	v_cndmask_b32_e32 v5, v5, v8, vcc_lo
	s_delay_alu instid0(VALU_DEP_3) | instskip(SKIP_1) | instid1(VALU_DEP_3)
	v_cndmask_b32_e32 v4, v4, v28, vcc_lo
	v_or_b32_e32 v8, 20, v32
	v_cmp_lt_f32_e32 vcc_lo, v5, v9
	s_delay_alu instid0(VALU_DEP_2) | instskip(SKIP_2) | instid1(VALU_DEP_2)
	v_dual_cndmask_b32 v5, v5, v9 :: v_dual_cndmask_b32 v4, v4, v8
	v_or_b32_e32 v9, 21, v32
	s_waitcnt vmcnt(2)
	v_cmp_lt_f32_e32 vcc_lo, v5, v0
	v_cndmask_b32_e32 v0, v5, v0, vcc_lo
	s_delay_alu instid0(VALU_DEP_3) | instskip(NEXT) | instid1(VALU_DEP_2)
	v_cndmask_b32_e32 v4, v4, v9, vcc_lo
	v_cmp_lt_f32_e32 vcc_lo, v0, v1
	v_cndmask_b32_e32 v0, v0, v1, vcc_lo
	s_delay_alu instid0(VALU_DEP_3) | instskip(NEXT) | instid1(VALU_DEP_2)
	v_cndmask_b32_e32 v4, v4, v35, vcc_lo
	;; [unrolled: 4-line block ×3, first 2 shown]
	v_cmp_lt_f32_e32 vcc_lo, v0, v3
	s_delay_alu instid0(VALU_DEP_2) | instskip(SKIP_1) | instid1(VALU_DEP_1)
	v_dual_cndmask_b32 v0, v0, v3 :: v_dual_cndmask_b32 v1, v1, v37
	s_waitcnt vmcnt(1)
	v_cmp_lt_f32_e32 vcc_lo, v0, v39
	s_delay_alu instid0(VALU_DEP_2) | instskip(SKIP_1) | instid1(VALU_DEP_2)
	v_dual_cndmask_b32 v0, v0, v39 :: v_dual_cndmask_b32 v1, v1, v38
	v_or_b32_e32 v39, 26, v32
	v_cmp_lt_f32_e32 vcc_lo, v0, v40
	s_delay_alu instid0(VALU_DEP_2) | instskip(SKIP_1) | instid1(VALU_DEP_2)
	v_dual_cndmask_b32 v0, v0, v40 :: v_dual_cndmask_b32 v1, v1, v39
	v_or_b32_e32 v40, 27, v32
	;; [unrolled: 4-line block ×3, first 2 shown]
	v_cmp_lt_f32_e32 vcc_lo, v0, v42
	s_delay_alu instid0(VALU_DEP_2) | instskip(SKIP_2) | instid1(VALU_DEP_2)
	v_dual_cndmask_b32 v0, v0, v42 :: v_dual_cndmask_b32 v1, v1, v41
	v_or_b32_e32 v42, 29, v32
	s_waitcnt vmcnt(0)
	v_cmp_lt_f32_e32 vcc_lo, v0, v43
	s_delay_alu instid0(VALU_DEP_2) | instskip(SKIP_1) | instid1(VALU_DEP_2)
	v_dual_cndmask_b32 v0, v0, v43 :: v_dual_cndmask_b32 v1, v1, v42
	v_or_b32_e32 v43, 30, v32
	v_cmp_lt_f32_e32 vcc_lo, v0, v44
	s_delay_alu instid0(VALU_DEP_2) | instskip(SKIP_1) | instid1(VALU_DEP_2)
	v_dual_cndmask_b32 v0, v0, v44 :: v_dual_cndmask_b32 v1, v1, v43
	v_or_b32_e32 v44, 31, v32
	v_cmp_lt_f32_e32 vcc_lo, v0, v45
	s_delay_alu instid0(VALU_DEP_2) | instskip(NEXT) | instid1(VALU_DEP_1)
	v_dual_cndmask_b32 v1, v1, v44 :: v_dual_cndmask_b32 v0, v0, v45
	v_mov_b32_dpp v4, v1 quad_perm:[1,0,3,2] row_mask:0xf bank_mask:0xf
	s_delay_alu instid0(VALU_DEP_2) | instskip(NEXT) | instid1(VALU_DEP_2)
	v_mov_b32_dpp v5, v0 quad_perm:[1,0,3,2] row_mask:0xf bank_mask:0xf
	v_cmp_lt_i32_e32 vcc_lo, v4, v1
	s_delay_alu instid0(VALU_DEP_2) | instskip(SKIP_1) | instid1(VALU_DEP_2)
	v_cmp_eq_f32_e64 s2, v0, v5
	v_cmp_lt_f32_e64 s3, v0, v5
	s_and_b32 s2, s2, vcc_lo
	s_delay_alu instid0(VALU_DEP_1) | instid1(SALU_CYCLE_1)
	s_or_b32 vcc_lo, s3, s2
	v_dual_cndmask_b32 v0, v0, v5 :: v_dual_cndmask_b32 v1, v1, v4
	s_delay_alu instid0(VALU_DEP_1) | instskip(NEXT) | instid1(VALU_DEP_2)
	v_mov_b32_dpp v4, v0 quad_perm:[2,3,0,1] row_mask:0xf bank_mask:0xf
	v_mov_b32_dpp v5, v1 quad_perm:[2,3,0,1] row_mask:0xf bank_mask:0xf
	s_delay_alu instid0(VALU_DEP_2) | instskip(NEXT) | instid1(VALU_DEP_2)
	v_cmp_eq_f32_e32 vcc_lo, v0, v4
	v_cmp_lt_i32_e64 s2, v5, v1
	v_cmp_lt_f32_e64 s3, v0, v4
	s_delay_alu instid0(VALU_DEP_2)
	s_and_b32 s2, vcc_lo, s2
	s_delay_alu instid0(VALU_DEP_1) | instid1(SALU_CYCLE_1)
	s_or_b32 vcc_lo, s3, s2
	v_dual_cndmask_b32 v1, v1, v5 :: v_dual_cndmask_b32 v0, v0, v4
	s_delay_alu instid0(VALU_DEP_1) | instskip(NEXT) | instid1(VALU_DEP_2)
	v_mov_b32_dpp v5, v1 row_half_mirror row_mask:0xf bank_mask:0xf
	v_mov_b32_dpp v4, v0 row_half_mirror row_mask:0xf bank_mask:0xf
	s_delay_alu instid0(VALU_DEP_2) | instskip(NEXT) | instid1(VALU_DEP_2)
	v_cmp_lt_i32_e64 s2, v5, v1
	v_cmp_eq_f32_e32 vcc_lo, v0, v4
	v_cmp_lt_f32_e64 s3, v0, v4
	s_delay_alu instid0(VALU_DEP_3)
	s_and_b32 s2, vcc_lo, s2
	s_delay_alu instid0(VALU_DEP_1) | instid1(SALU_CYCLE_1)
	s_or_b32 vcc_lo, s3, s2
	v_cndmask_b32_e32 v6, v0, v4, vcc_lo
	v_cndmask_b32_e32 v0, v1, v5, vcc_lo
	s_delay_alu instid0(VALU_DEP_2) | instskip(NEXT) | instid1(VALU_DEP_2)
	v_mov_b32_dpp v1, v6 row_mirror row_mask:0xf bank_mask:0xf
	v_mov_b32_dpp v4, v0 row_mirror row_mask:0xf bank_mask:0xf
	s_delay_alu instid0(VALU_DEP_2) | instskip(NEXT) | instid1(VALU_DEP_2)
	v_cmp_eq_f32_e32 vcc_lo, v6, v1
	v_cmp_lt_i32_e64 s2, v4, v0
	v_cmp_lt_f32_e64 s3, v6, v1
	s_delay_alu instid0(VALU_DEP_2) | instskip(SKIP_1) | instid1(VALU_DEP_2)
	s_and_b32 s2, vcc_lo, s2
	v_cmp_eq_u32_e32 vcc_lo, 0, v30
	s_or_b32 s2, s3, s2
	s_waitcnt lgkmcnt(0)
	s_cmp_gt_i32 s4, 0
	v_cndmask_b32_e64 v7, v6, v1, s2
	s_cselect_b32 s3, -1, 0
	s_cmp_lt_i32 s4, 1
	s_cbranch_scc1 .LBB201_19
; %bb.7:
	s_load_b128 s[8:11], s[0:1], 0x20
	v_mul_lo_u32 v1, v29, s7
	v_mul_lo_u32 v3, v29, s14
	v_mul_lo_u32 v5, v29, s4
	v_cndmask_b32_e64 v0, v0, v4, s2
	v_mov_b32_e32 v31, 0
	s_and_saveexec_b32 s2, vcc_lo
	s_cbranch_execz .LBB201_9
; %bb.8:
	v_sub_f32_e32 v31, v7, v7
	v_cmp_le_i32_e64 s0, s5, v0
	v_cmp_gt_i32_e64 s1, s6, v0
	v_subrev_nc_u32_e32 v51, s5, v0
	v_ashrrev_i32_e32 v6, 31, v5
	v_mul_f32_e32 v2, 0x3fb8aa3b, v31
	s_delay_alu instid0(VALU_DEP_4) | instskip(NEXT) | instid1(SALU_CYCLE_1)
	s_and_b32 s0, s0, s1
	s_and_b32 s0, s17, s0
	s_delay_alu instid0(VALU_DEP_1) | instskip(SKIP_2) | instid1(VALU_DEP_3)
	v_rndne_f32_e32 v47, v2
	v_fma_f32 v4, 0x3fb8aa3b, v31, -v2
	v_lshlrev_b64 v[49:50], 2, v[5:6]
	v_sub_f32_e32 v2, v2, v47
	s_delay_alu instid0(VALU_DEP_3) | instskip(NEXT) | instid1(VALU_DEP_1)
	v_fmamk_f32 v4, v31, 0x32a5705f, v4
	v_add_f32_e32 v4, v2, v4
	v_ashrrev_i32_e32 v2, 31, v1
	s_delay_alu instid0(VALU_DEP_2) | instskip(NEXT) | instid1(VALU_DEP_1)
	v_exp_f32_e32 v52, v4
	v_lshlrev_b64 v[45:46], 2, v[1:2]
	v_ashrrev_i32_e32 v4, 31, v3
	v_cvt_i32_f32_e32 v2, v47
	s_delay_alu instid0(VALU_DEP_2) | instskip(SKIP_2) | instid1(VALU_DEP_1)
	v_lshlrev_b64 v[47:48], 2, v[3:4]
	v_cndmask_b32_e64 v4, 0x200, v51, s0
	v_add_co_u32 v45, s0, s12, v45
	v_add_co_ci_u32_e64 v46, s0, s13, v46, s0
	s_delay_alu instid0(TRANS32_DEP_1) | instskip(SKIP_1) | instid1(VALU_DEP_1)
	v_ldexp_f32 v2, v52, v2
	v_cmp_ngt_f32_e64 s0, 0xc2ce8ed0, v31
	v_cndmask_b32_e64 v2, 0, v2, s0
	s_waitcnt lgkmcnt(0)
	v_add_co_u32 v47, s0, s8, v47
	s_delay_alu instid0(VALU_DEP_1) | instskip(SKIP_1) | instid1(VALU_DEP_1)
	v_add_co_ci_u32_e64 v48, s0, s9, v48, s0
	v_cmp_nlt_f32_e64 s0, 0x42b17218, v31
	v_cndmask_b32_e64 v31, 0x7f800000, v2, s0
	v_add_co_u32 v49, s0, s10, v49
	s_delay_alu instid0(VALU_DEP_1)
	v_add_co_ci_u32_e64 v50, s0, s11, v50, s0
	global_store_b32 v[47:48], v4, off
	global_store_b32 v[45:46], v31, off
	;; [unrolled: 1-line block ×3, first 2 shown]
.LBB201_9:
	s_or_b32 exec_lo, exec_lo, s2
	v_ashrrev_i32_e32 v4, 31, v0
	s_mov_b32 s1, exec_lo
	s_delay_alu instid0(VALU_DEP_1) | instskip(NEXT) | instid1(VALU_DEP_1)
	v_lshrrev_b32_e32 v2, 27, v4
	v_add_nc_u32_e32 v2, v0, v2
	s_delay_alu instid0(VALU_DEP_1) | instskip(NEXT) | instid1(VALU_DEP_1)
	v_ashrrev_i32_e32 v2, 5, v2
	v_lshrrev_b32_e32 v6, 28, v2
	s_delay_alu instid0(VALU_DEP_1) | instskip(NEXT) | instid1(VALU_DEP_1)
	v_add_nc_u32_e32 v6, v2, v6
	v_and_b32_e32 v6, -16, v6
	s_delay_alu instid0(VALU_DEP_1) | instskip(NEXT) | instid1(VALU_DEP_1)
	v_sub_nc_u32_e32 v6, v2, v6
	v_cmpx_eq_u32_e64 v30, v6
	s_cbranch_execz .LBB201_11
; %bb.10:
	v_lshrrev_b32_e32 v4, 23, v4
	v_lshlrev_b32_e32 v2, 5, v2
	s_delay_alu instid0(VALU_DEP_2) | instskip(NEXT) | instid1(VALU_DEP_2)
	v_add_nc_u32_e32 v4, v0, v4
	v_sub_nc_u32_e32 v0, v0, v2
	s_delay_alu instid0(VALU_DEP_2) | instskip(NEXT) | instid1(VALU_DEP_1)
	v_ashrrev_i32_e32 v2, 9, v4
	v_lshl_add_u32 v0, v2, 5, v0
	v_mov_b32_e32 v2, 0xff800000
	s_delay_alu instid0(VALU_DEP_2)
	v_lshl_add_u32 v0, v0, 2, 0
	scratch_store_b32 v0, v2, off
.LBB201_11:
	s_or_b32 exec_lo, exec_lo, s1
	s_cmp_eq_u32 s4, 1
	s_cbranch_scc1 .LBB201_18
; %bb.12:
	s_add_i32 s18, s18, s16
	v_add_nc_u32_e32 v0, 1, v5
	v_add3_u32 v6, s18, v34, v33
	v_dual_mov_b32 v33, 0xff800000 :: v_dual_add_nc_u32 v2, 1, v3
	v_add_nc_u32_e32 v4, 1, v1
	s_add_i32 s14, s4, -1
	s_branch .LBB201_14
.LBB201_13:                             ;   in Loop: Header=BB201_14 Depth=1
	s_or_b32 exec_lo, exec_lo, s1
	v_add_nc_u32_e32 v6, s16, v6
	v_add_nc_u32_e32 v0, 1, v0
	;; [unrolled: 1-line block ×4, first 2 shown]
	s_add_i32 s14, s14, -1
	s_delay_alu instid0(SALU_CYCLE_1)
	s_cmp_eq_u32 s14, 0
	s_cbranch_scc1 .LBB201_18
.LBB201_14:                             ; =>This Inner Loop Header: Depth=1
	s_clause 0x7
	scratch_load_b128 v[45:48], off, off
	scratch_load_b128 v[49:52], off, off offset:16
	scratch_load_b128 v[53:56], off, off offset:32
	;; [unrolled: 1-line block ×7, first 2 shown]
	s_waitcnt vmcnt(7)
	v_cmp_gt_f32_e64 s0, v46, v45
	s_delay_alu instid0(VALU_DEP_1) | instskip(SKIP_1) | instid1(VALU_DEP_2)
	v_cndmask_b32_e64 v3, v45, v46, s0
	v_cndmask_b32_e64 v1, v32, v10, s0
	v_cmp_gt_f32_e64 s0, v47, v3
	s_delay_alu instid0(VALU_DEP_1) | instskip(NEXT) | instid1(VALU_DEP_3)
	v_cndmask_b32_e64 v3, v3, v47, s0
	v_cndmask_b32_e64 v1, v1, v11, s0
	s_delay_alu instid0(VALU_DEP_2) | instskip(NEXT) | instid1(VALU_DEP_1)
	v_cmp_gt_f32_e64 s0, v48, v3
	v_cndmask_b32_e64 v3, v3, v48, s0
	s_delay_alu instid0(VALU_DEP_3) | instskip(SKIP_1) | instid1(VALU_DEP_2)
	v_cndmask_b32_e64 v1, v1, v12, s0
	s_waitcnt vmcnt(6)
	v_cmp_gt_f32_e64 s0, v49, v3
	s_delay_alu instid0(VALU_DEP_1) | instskip(NEXT) | instid1(VALU_DEP_3)
	v_cndmask_b32_e64 v3, v3, v49, s0
	v_cndmask_b32_e64 v1, v1, v25, s0
	s_delay_alu instid0(VALU_DEP_2) | instskip(NEXT) | instid1(VALU_DEP_1)
	v_cmp_gt_f32_e64 s0, v50, v3
	v_cndmask_b32_e64 v3, v3, v50, s0
	s_delay_alu instid0(VALU_DEP_3) | instskip(NEXT) | instid1(VALU_DEP_2)
	v_cndmask_b32_e64 v1, v1, v21, s0
	v_cmp_gt_f32_e64 s0, v51, v3
	s_delay_alu instid0(VALU_DEP_1) | instskip(NEXT) | instid1(VALU_DEP_3)
	v_cndmask_b32_e64 v3, v3, v51, s0
	v_cndmask_b32_e64 v1, v1, v22, s0
	s_delay_alu instid0(VALU_DEP_2) | instskip(NEXT) | instid1(VALU_DEP_1)
	v_cmp_gt_f32_e64 s0, v52, v3
	v_cndmask_b32_e64 v3, v3, v52, s0
	s_delay_alu instid0(VALU_DEP_3) | instskip(SKIP_1) | instid1(VALU_DEP_2)
	v_cndmask_b32_e64 v1, v1, v23, s0
	s_waitcnt vmcnt(5)
	v_cmp_gt_f32_e64 s0, v53, v3
	s_delay_alu instid0(VALU_DEP_1) | instskip(NEXT) | instid1(VALU_DEP_3)
	v_cndmask_b32_e64 v3, v3, v53, s0
	v_cndmask_b32_e64 v1, v1, v24, s0
	s_delay_alu instid0(VALU_DEP_2) | instskip(NEXT) | instid1(VALU_DEP_1)
	v_cmp_gt_f32_e64 s0, v54, v3
	v_cndmask_b32_e64 v3, v3, v54, s0
	s_delay_alu instid0(VALU_DEP_3) | instskip(NEXT) | instid1(VALU_DEP_2)
	;; [unrolled: 19-line block ×7, first 2 shown]
	v_cndmask_b32_e64 v1, v1, v42, s0
	v_cmp_gt_f32_e64 s0, v75, v3
	s_delay_alu instid0(VALU_DEP_1) | instskip(NEXT) | instid1(VALU_DEP_3)
	v_cndmask_b32_e64 v3, v3, v75, s0
	v_cndmask_b32_e64 v1, v1, v43, s0
	s_delay_alu instid0(VALU_DEP_2) | instskip(NEXT) | instid1(VALU_DEP_1)
	v_cmp_gt_f32_e64 s0, v76, v3
	v_cndmask_b32_e64 v1, v1, v44, s0
	v_cndmask_b32_e64 v3, v3, v76, s0
	s_delay_alu instid0(VALU_DEP_2) | instskip(NEXT) | instid1(VALU_DEP_2)
	v_mov_b32_dpp v5, v1 quad_perm:[1,0,3,2] row_mask:0xf bank_mask:0xf
	v_mov_b32_dpp v34, v3 quad_perm:[1,0,3,2] row_mask:0xf bank_mask:0xf
	s_delay_alu instid0(VALU_DEP_2) | instskip(NEXT) | instid1(VALU_DEP_2)
	v_cmp_lt_i32_e64 s0, v5, v1
	v_cmp_eq_f32_e64 s1, v3, v34
	v_cmp_lt_f32_e64 s2, v3, v34
	s_delay_alu instid0(VALU_DEP_2)
	s_and_b32 s0, s1, s0
	s_delay_alu instid0(VALU_DEP_1) | instid1(SALU_CYCLE_1)
	s_or_b32 s0, s2, s0
	s_delay_alu instid0(SALU_CYCLE_1) | instskip(SKIP_1) | instid1(VALU_DEP_2)
	v_cndmask_b32_e64 v3, v3, v34, s0
	v_cndmask_b32_e64 v1, v1, v5, s0
	v_mov_b32_dpp v5, v3 quad_perm:[2,3,0,1] row_mask:0xf bank_mask:0xf
	s_delay_alu instid0(VALU_DEP_2) | instskip(NEXT) | instid1(VALU_DEP_2)
	v_mov_b32_dpp v34, v1 quad_perm:[2,3,0,1] row_mask:0xf bank_mask:0xf
	v_cmp_eq_f32_e64 s0, v3, v5
	s_delay_alu instid0(VALU_DEP_2) | instskip(SKIP_1) | instid1(VALU_DEP_2)
	v_cmp_lt_i32_e64 s1, v34, v1
	v_cmp_lt_f32_e64 s2, v3, v5
	s_and_b32 s0, s0, s1
	s_delay_alu instid0(VALU_DEP_1) | instid1(SALU_CYCLE_1)
	s_or_b32 s0, s2, s0
	s_delay_alu instid0(SALU_CYCLE_1) | instskip(SKIP_1) | instid1(VALU_DEP_2)
	v_cndmask_b32_e64 v3, v3, v5, s0
	v_cndmask_b32_e64 v5, v1, v34, s0
	v_mov_b32_dpp v1, v3 row_half_mirror row_mask:0xf bank_mask:0xf
	s_delay_alu instid0(VALU_DEP_2) | instskip(NEXT) | instid1(VALU_DEP_2)
	v_mov_b32_dpp v34, v5 row_half_mirror row_mask:0xf bank_mask:0xf
	v_cmp_eq_f32_e64 s0, v3, v1
	s_delay_alu instid0(VALU_DEP_2) | instskip(SKIP_1) | instid1(VALU_DEP_2)
	v_cmp_lt_i32_e64 s1, v34, v5
	v_cmp_lt_f32_e64 s2, v3, v1
	s_and_b32 s0, s0, s1
	s_delay_alu instid0(VALU_DEP_1) | instid1(SALU_CYCLE_1)
	s_or_b32 s0, s2, s0
	s_delay_alu instid0(SALU_CYCLE_1) | instskip(SKIP_1) | instid1(VALU_DEP_2)
	v_cndmask_b32_e64 v1, v3, v1, s0
	v_cndmask_b32_e64 v5, v5, v34, s0
	v_mov_b32_dpp v3, v1 row_mirror row_mask:0xf bank_mask:0xf
	s_delay_alu instid0(VALU_DEP_2) | instskip(NEXT) | instid1(VALU_DEP_2)
	v_mov_b32_dpp v34, v5 row_mirror row_mask:0xf bank_mask:0xf
	v_cmp_eq_f32_e64 s0, v1, v3
	s_delay_alu instid0(VALU_DEP_2) | instskip(SKIP_1) | instid1(VALU_DEP_2)
	v_cmp_lt_i32_e64 s1, v34, v5
	v_cmp_lt_f32_e64 s2, v1, v3
	s_and_b32 s0, s0, s1
	s_delay_alu instid0(VALU_DEP_1) | instid1(SALU_CYCLE_1)
	s_or_b32 s0, s2, s0
	s_delay_alu instid0(SALU_CYCLE_1)
	v_cndmask_b32_e64 v34, v5, v34, s0
	s_and_saveexec_b32 s2, vcc_lo
	s_cbranch_execz .LBB201_16
; %bb.15:                               ;   in Loop: Header=BB201_14 Depth=1
	v_cndmask_b32_e64 v1, v1, v3, s0
	s_delay_alu instid0(VALU_DEP_2) | instskip(SKIP_4) | instid1(VALU_DEP_4)
	v_cmp_le_i32_e64 s0, s5, v34
	v_cmp_gt_i32_e64 s1, s6, v34
	v_ashrrev_i32_e32 v5, 31, v4
	v_subrev_nc_u32_e32 v52, s5, v34
	v_sub_f32_e32 v51, v1, v7
	s_and_b32 s0, s0, s1
	s_delay_alu instid0(SALU_CYCLE_1) | instskip(NEXT) | instid1(VALU_DEP_1)
	s_and_b32 s0, s17, s0
	v_mul_f32_e32 v1, 0x3fb8aa3b, v51
	s_delay_alu instid0(VALU_DEP_1) | instskip(SKIP_1) | instid1(VALU_DEP_2)
	v_fma_f32 v3, 0x3fb8aa3b, v51, -v1
	v_rndne_f32_e32 v45, v1
	v_fmac_f32_e32 v3, 0x32a5705f, v51
	s_delay_alu instid0(VALU_DEP_2) | instskip(SKIP_2) | instid1(VALU_DEP_3)
	v_sub_f32_e32 v1, v1, v45
	v_cvt_i32_f32_e32 v50, v45
	v_lshlrev_b64 v[45:46], 2, v[4:5]
	v_add_f32_e32 v1, v1, v3
	v_ashrrev_i32_e32 v3, 31, v2
	s_delay_alu instid0(VALU_DEP_2) | instskip(SKIP_1) | instid1(VALU_DEP_2)
	v_exp_f32_e32 v49, v1
	v_ashrrev_i32_e32 v1, 31, v0
	v_lshlrev_b64 v[47:48], 2, v[2:3]
	s_waitcnt_depctr 0xfff
	v_ldexp_f32 v3, v49, v50
	v_lshlrev_b64 v[49:50], 2, v[0:1]
	v_cndmask_b32_e64 v1, 0x200, v52, s0
	v_cmp_ngt_f32_e64 s0, 0xc2ce8ed0, v51
	s_delay_alu instid0(VALU_DEP_1) | instskip(SKIP_1) | instid1(VALU_DEP_1)
	v_cndmask_b32_e64 v3, 0, v3, s0
	v_add_co_u32 v45, s0, s12, v45
	v_add_co_ci_u32_e64 v46, s0, s13, v46, s0
	v_cmp_nlt_f32_e64 s0, 0x42b17218, v51
	s_delay_alu instid0(VALU_DEP_1) | instskip(SKIP_2) | instid1(VALU_DEP_1)
	v_cndmask_b32_e64 v3, 0x7f800000, v3, s0
	s_waitcnt lgkmcnt(0)
	v_add_co_u32 v47, s0, s8, v47
	v_add_co_ci_u32_e64 v48, s0, s9, v48, s0
	v_add_co_u32 v49, s0, s10, v49
	v_add_f32_e32 v31, v31, v3
	v_add_co_ci_u32_e64 v50, s0, s11, v50, s0
	global_store_b32 v[45:46], v3, off
	global_store_b32 v[47:48], v1, off
	;; [unrolled: 1-line block ×3, first 2 shown]
.LBB201_16:                             ;   in Loop: Header=BB201_14 Depth=1
	s_or_b32 exec_lo, exec_lo, s2
	s_delay_alu instid0(VALU_DEP_1) | instskip(SKIP_1) | instid1(VALU_DEP_1)
	v_ashrrev_i32_e32 v3, 31, v34
	s_mov_b32 s1, exec_lo
	v_lshrrev_b32_e32 v1, 27, v3
	s_delay_alu instid0(VALU_DEP_1) | instskip(NEXT) | instid1(VALU_DEP_1)
	v_add_nc_u32_e32 v1, v34, v1
	v_ashrrev_i32_e32 v1, 5, v1
	s_delay_alu instid0(VALU_DEP_1) | instskip(NEXT) | instid1(VALU_DEP_1)
	v_lshrrev_b32_e32 v5, 28, v1
	v_add_nc_u32_e32 v5, v1, v5
	s_delay_alu instid0(VALU_DEP_1) | instskip(NEXT) | instid1(VALU_DEP_1)
	v_and_b32_e32 v5, -16, v5
	v_sub_nc_u32_e32 v5, v1, v5
	s_delay_alu instid0(VALU_DEP_1)
	v_cmpx_eq_u32_e64 v30, v5
	s_cbranch_execz .LBB201_13
; %bb.17:                               ;   in Loop: Header=BB201_14 Depth=1
	v_lshrrev_b32_e32 v3, 23, v3
	v_lshlrev_b32_e32 v1, 5, v1
	s_delay_alu instid0(VALU_DEP_2) | instskip(NEXT) | instid1(VALU_DEP_2)
	v_add_nc_u32_e32 v3, v34, v3
	v_sub_nc_u32_e32 v1, v34, v1
	s_delay_alu instid0(VALU_DEP_2) | instskip(NEXT) | instid1(VALU_DEP_1)
	v_ashrrev_i32_e32 v3, 9, v3
	v_lshl_add_u32 v1, v3, 5, v1
	s_delay_alu instid0(VALU_DEP_1)
	v_lshl_add_u32 v1, v1, 2, 0
	scratch_store_b32 v1, v33, off
	s_branch .LBB201_13
.LBB201_18:
	scratch_load_b64 v[2:3], off, off offset:92
.LBB201_19:
	scratch_load_b128 v[8:11], off, off
	s_waitcnt vmcnt(0)
	v_sub_f32_e32 v0, v8, v7
	s_delay_alu instid0(VALU_DEP_1) | instskip(NEXT) | instid1(VALU_DEP_1)
	v_mul_f32_e32 v1, 0x3fb8aa3b, v0
	v_fma_f32 v4, 0x3fb8aa3b, v0, -v1
	v_rndne_f32_e32 v5, v1
	s_delay_alu instid0(VALU_DEP_1) | instskip(SKIP_1) | instid1(VALU_DEP_4)
	v_sub_f32_e32 v1, v1, v5
	v_cmp_ngt_f32_e32 vcc_lo, 0xc2ce8ed0, v0
	v_fmac_f32_e32 v4, 0x32a5705f, v0
	s_delay_alu instid0(VALU_DEP_1) | instskip(SKIP_1) | instid1(VALU_DEP_2)
	v_add_f32_e32 v1, v1, v4
	v_cvt_i32_f32_e32 v4, v5
	v_exp_f32_e32 v1, v1
	s_waitcnt_depctr 0xfff
	v_ldexp_f32 v1, v1, v4
	s_delay_alu instid0(VALU_DEP_1) | instskip(SKIP_1) | instid1(VALU_DEP_2)
	v_cndmask_b32_e32 v1, 0, v1, vcc_lo
	v_cmp_nlt_f32_e32 vcc_lo, 0x42b17218, v0
	v_dual_cndmask_b32 v0, 0x7f800000, v1 :: v_dual_sub_f32 v1, v9, v7
	s_delay_alu instid0(VALU_DEP_1) | instskip(SKIP_1) | instid1(VALU_DEP_2)
	v_mul_f32_e32 v4, 0x3fb8aa3b, v1
	v_cmp_ngt_f32_e32 vcc_lo, 0xc2ce8ed0, v1
	v_fma_f32 v5, 0x3fb8aa3b, v1, -v4
	v_rndne_f32_e32 v6, v4
	s_delay_alu instid0(VALU_DEP_1) | instskip(NEXT) | instid1(VALU_DEP_1)
	v_dual_fmac_f32 v5, 0x32a5705f, v1 :: v_dual_sub_f32 v4, v4, v6
	v_add_f32_e32 v4, v4, v5
	v_cvt_i32_f32_e32 v5, v6
	s_delay_alu instid0(VALU_DEP_2) | instskip(SKIP_2) | instid1(VALU_DEP_1)
	v_exp_f32_e32 v4, v4
	s_waitcnt_depctr 0xfff
	v_ldexp_f32 v4, v4, v5
	v_cndmask_b32_e32 v4, 0, v4, vcc_lo
	v_cmp_nlt_f32_e32 vcc_lo, 0x42b17218, v1
	s_delay_alu instid0(VALU_DEP_2) | instskip(NEXT) | instid1(VALU_DEP_1)
	v_cndmask_b32_e32 v1, 0x7f800000, v4, vcc_lo
	v_dual_add_f32 v0, v0, v1 :: v_dual_sub_f32 v1, v10, v7
	s_delay_alu instid0(VALU_DEP_1) | instskip(SKIP_1) | instid1(VALU_DEP_2)
	v_mul_f32_e32 v4, 0x3fb8aa3b, v1
	v_cmp_ngt_f32_e32 vcc_lo, 0xc2ce8ed0, v1
	v_fma_f32 v5, 0x3fb8aa3b, v1, -v4
	v_rndne_f32_e32 v6, v4
	s_delay_alu instid0(VALU_DEP_1) | instskip(NEXT) | instid1(VALU_DEP_1)
	v_dual_fmac_f32 v5, 0x32a5705f, v1 :: v_dual_sub_f32 v4, v4, v6
	v_add_f32_e32 v4, v4, v5
	v_cvt_i32_f32_e32 v5, v6
	s_delay_alu instid0(VALU_DEP_2) | instskip(SKIP_2) | instid1(VALU_DEP_1)
	v_exp_f32_e32 v4, v4
	s_waitcnt_depctr 0xfff
	v_ldexp_f32 v4, v4, v5
	v_cndmask_b32_e32 v4, 0, v4, vcc_lo
	v_cmp_nlt_f32_e32 vcc_lo, 0x42b17218, v1
	s_delay_alu instid0(VALU_DEP_2) | instskip(NEXT) | instid1(VALU_DEP_1)
	v_cndmask_b32_e32 v1, 0x7f800000, v4, vcc_lo
	v_dual_add_f32 v0, v0, v1 :: v_dual_sub_f32 v1, v11, v7
	scratch_load_b128 v[8:11], off, off offset:16
	v_mul_f32_e32 v4, 0x3fb8aa3b, v1
	v_cmp_ngt_f32_e32 vcc_lo, 0xc2ce8ed0, v1
	s_delay_alu instid0(VALU_DEP_2) | instskip(SKIP_1) | instid1(VALU_DEP_1)
	v_fma_f32 v5, 0x3fb8aa3b, v1, -v4
	v_rndne_f32_e32 v6, v4
	v_dual_fmac_f32 v5, 0x32a5705f, v1 :: v_dual_sub_f32 v4, v4, v6
	s_delay_alu instid0(VALU_DEP_1) | instskip(SKIP_1) | instid1(VALU_DEP_2)
	v_add_f32_e32 v4, v4, v5
	v_cvt_i32_f32_e32 v5, v6
	v_exp_f32_e32 v4, v4
	s_waitcnt_depctr 0xfff
	v_ldexp_f32 v4, v4, v5
	s_delay_alu instid0(VALU_DEP_1) | instskip(SKIP_1) | instid1(VALU_DEP_2)
	v_cndmask_b32_e32 v4, 0, v4, vcc_lo
	v_cmp_nlt_f32_e32 vcc_lo, 0x42b17218, v1
	v_cndmask_b32_e32 v1, 0x7f800000, v4, vcc_lo
	s_delay_alu instid0(VALU_DEP_1) | instskip(SKIP_2) | instid1(VALU_DEP_1)
	v_add_f32_e32 v0, v0, v1
	s_waitcnt vmcnt(0)
	v_sub_f32_e32 v1, v8, v7
	v_mul_f32_e32 v4, 0x3fb8aa3b, v1
	v_cmp_ngt_f32_e32 vcc_lo, 0xc2ce8ed0, v1
	s_delay_alu instid0(VALU_DEP_2) | instskip(SKIP_1) | instid1(VALU_DEP_1)
	v_fma_f32 v5, 0x3fb8aa3b, v1, -v4
	v_rndne_f32_e32 v6, v4
	v_dual_fmac_f32 v5, 0x32a5705f, v1 :: v_dual_sub_f32 v4, v4, v6
	s_delay_alu instid0(VALU_DEP_1) | instskip(SKIP_1) | instid1(VALU_DEP_2)
	v_add_f32_e32 v4, v4, v5
	v_cvt_i32_f32_e32 v5, v6
	v_exp_f32_e32 v4, v4
	s_waitcnt_depctr 0xfff
	v_ldexp_f32 v4, v4, v5
	s_delay_alu instid0(VALU_DEP_1) | instskip(SKIP_1) | instid1(VALU_DEP_2)
	v_cndmask_b32_e32 v4, 0, v4, vcc_lo
	v_cmp_nlt_f32_e32 vcc_lo, 0x42b17218, v1
	v_cndmask_b32_e32 v1, 0x7f800000, v4, vcc_lo
	s_delay_alu instid0(VALU_DEP_1) | instskip(NEXT) | instid1(VALU_DEP_1)
	v_dual_add_f32 v0, v0, v1 :: v_dual_sub_f32 v1, v9, v7
	v_mul_f32_e32 v4, 0x3fb8aa3b, v1
	v_cmp_ngt_f32_e32 vcc_lo, 0xc2ce8ed0, v1
	s_delay_alu instid0(VALU_DEP_2) | instskip(SKIP_1) | instid1(VALU_DEP_1)
	v_fma_f32 v5, 0x3fb8aa3b, v1, -v4
	v_rndne_f32_e32 v6, v4
	v_dual_fmac_f32 v5, 0x32a5705f, v1 :: v_dual_sub_f32 v4, v4, v6
	s_delay_alu instid0(VALU_DEP_1) | instskip(SKIP_1) | instid1(VALU_DEP_2)
	v_add_f32_e32 v4, v4, v5
	v_cvt_i32_f32_e32 v5, v6
	v_exp_f32_e32 v4, v4
	s_waitcnt_depctr 0xfff
	v_ldexp_f32 v4, v4, v5
	s_delay_alu instid0(VALU_DEP_1) | instskip(SKIP_1) | instid1(VALU_DEP_2)
	v_cndmask_b32_e32 v4, 0, v4, vcc_lo
	v_cmp_nlt_f32_e32 vcc_lo, 0x42b17218, v1
	v_cndmask_b32_e32 v1, 0x7f800000, v4, vcc_lo
	s_delay_alu instid0(VALU_DEP_1) | instskip(NEXT) | instid1(VALU_DEP_1)
	v_dual_add_f32 v0, v0, v1 :: v_dual_sub_f32 v1, v10, v7
	v_mul_f32_e32 v4, 0x3fb8aa3b, v1
	v_cmp_ngt_f32_e32 vcc_lo, 0xc2ce8ed0, v1
	s_delay_alu instid0(VALU_DEP_2) | instskip(SKIP_1) | instid1(VALU_DEP_1)
	v_fma_f32 v5, 0x3fb8aa3b, v1, -v4
	v_rndne_f32_e32 v6, v4
	v_dual_fmac_f32 v5, 0x32a5705f, v1 :: v_dual_sub_f32 v4, v4, v6
	s_delay_alu instid0(VALU_DEP_1) | instskip(SKIP_1) | instid1(VALU_DEP_2)
	v_add_f32_e32 v4, v4, v5
	v_cvt_i32_f32_e32 v5, v6
	v_exp_f32_e32 v4, v4
	s_waitcnt_depctr 0xfff
	v_ldexp_f32 v4, v4, v5
	s_delay_alu instid0(VALU_DEP_1) | instskip(SKIP_1) | instid1(VALU_DEP_2)
	v_cndmask_b32_e32 v4, 0, v4, vcc_lo
	v_cmp_nlt_f32_e32 vcc_lo, 0x42b17218, v1
	v_cndmask_b32_e32 v1, 0x7f800000, v4, vcc_lo
	s_delay_alu instid0(VALU_DEP_1) | instskip(SKIP_3) | instid1(VALU_DEP_2)
	v_dual_add_f32 v0, v0, v1 :: v_dual_sub_f32 v1, v11, v7
	scratch_load_b128 v[8:11], off, off offset:32
	v_mul_f32_e32 v4, 0x3fb8aa3b, v1
	v_cmp_ngt_f32_e32 vcc_lo, 0xc2ce8ed0, v1
	v_fma_f32 v5, 0x3fb8aa3b, v1, -v4
	v_rndne_f32_e32 v6, v4
	s_delay_alu instid0(VALU_DEP_1) | instskip(NEXT) | instid1(VALU_DEP_1)
	v_dual_fmac_f32 v5, 0x32a5705f, v1 :: v_dual_sub_f32 v4, v4, v6
	v_add_f32_e32 v4, v4, v5
	v_cvt_i32_f32_e32 v5, v6
	s_delay_alu instid0(VALU_DEP_2) | instskip(SKIP_2) | instid1(VALU_DEP_1)
	v_exp_f32_e32 v4, v4
	s_waitcnt_depctr 0xfff
	v_ldexp_f32 v4, v4, v5
	v_cndmask_b32_e32 v4, 0, v4, vcc_lo
	v_cmp_nlt_f32_e32 vcc_lo, 0x42b17218, v1
	s_delay_alu instid0(VALU_DEP_2) | instskip(NEXT) | instid1(VALU_DEP_1)
	v_cndmask_b32_e32 v1, 0x7f800000, v4, vcc_lo
	v_add_f32_e32 v0, v0, v1
	s_waitcnt vmcnt(0)
	v_sub_f32_e32 v1, v8, v7
	s_delay_alu instid0(VALU_DEP_1) | instskip(SKIP_1) | instid1(VALU_DEP_2)
	v_mul_f32_e32 v4, 0x3fb8aa3b, v1
	v_cmp_ngt_f32_e32 vcc_lo, 0xc2ce8ed0, v1
	v_fma_f32 v5, 0x3fb8aa3b, v1, -v4
	v_rndne_f32_e32 v6, v4
	s_delay_alu instid0(VALU_DEP_1) | instskip(NEXT) | instid1(VALU_DEP_1)
	v_dual_fmac_f32 v5, 0x32a5705f, v1 :: v_dual_sub_f32 v4, v4, v6
	v_add_f32_e32 v4, v4, v5
	v_cvt_i32_f32_e32 v5, v6
	s_delay_alu instid0(VALU_DEP_2) | instskip(SKIP_2) | instid1(VALU_DEP_1)
	v_exp_f32_e32 v4, v4
	s_waitcnt_depctr 0xfff
	v_ldexp_f32 v4, v4, v5
	v_cndmask_b32_e32 v4, 0, v4, vcc_lo
	v_cmp_nlt_f32_e32 vcc_lo, 0x42b17218, v1
	s_delay_alu instid0(VALU_DEP_2) | instskip(NEXT) | instid1(VALU_DEP_1)
	v_cndmask_b32_e32 v1, 0x7f800000, v4, vcc_lo
	v_dual_add_f32 v0, v0, v1 :: v_dual_sub_f32 v1, v9, v7
	s_delay_alu instid0(VALU_DEP_1) | instskip(SKIP_1) | instid1(VALU_DEP_2)
	v_mul_f32_e32 v4, 0x3fb8aa3b, v1
	v_cmp_ngt_f32_e32 vcc_lo, 0xc2ce8ed0, v1
	v_fma_f32 v5, 0x3fb8aa3b, v1, -v4
	v_rndne_f32_e32 v6, v4
	s_delay_alu instid0(VALU_DEP_1) | instskip(NEXT) | instid1(VALU_DEP_1)
	v_dual_fmac_f32 v5, 0x32a5705f, v1 :: v_dual_sub_f32 v4, v4, v6
	v_add_f32_e32 v4, v4, v5
	v_cvt_i32_f32_e32 v5, v6
	s_delay_alu instid0(VALU_DEP_2) | instskip(SKIP_2) | instid1(VALU_DEP_1)
	v_exp_f32_e32 v4, v4
	s_waitcnt_depctr 0xfff
	v_ldexp_f32 v4, v4, v5
	v_cndmask_b32_e32 v4, 0, v4, vcc_lo
	v_cmp_nlt_f32_e32 vcc_lo, 0x42b17218, v1
	s_delay_alu instid0(VALU_DEP_2) | instskip(NEXT) | instid1(VALU_DEP_1)
	v_cndmask_b32_e32 v1, 0x7f800000, v4, vcc_lo
	v_dual_add_f32 v0, v0, v1 :: v_dual_sub_f32 v1, v10, v7
	;; [unrolled: 18-line block ×3, first 2 shown]
	scratch_load_b128 v[8:11], off, off offset:48
	v_mul_f32_e32 v4, 0x3fb8aa3b, v1
	v_cmp_ngt_f32_e32 vcc_lo, 0xc2ce8ed0, v1
	s_delay_alu instid0(VALU_DEP_2) | instskip(SKIP_1) | instid1(VALU_DEP_1)
	v_fma_f32 v5, 0x3fb8aa3b, v1, -v4
	v_rndne_f32_e32 v6, v4
	v_dual_fmac_f32 v5, 0x32a5705f, v1 :: v_dual_sub_f32 v4, v4, v6
	s_delay_alu instid0(VALU_DEP_1) | instskip(SKIP_1) | instid1(VALU_DEP_2)
	v_add_f32_e32 v4, v4, v5
	v_cvt_i32_f32_e32 v5, v6
	v_exp_f32_e32 v4, v4
	s_waitcnt_depctr 0xfff
	v_ldexp_f32 v4, v4, v5
	s_delay_alu instid0(VALU_DEP_1) | instskip(SKIP_1) | instid1(VALU_DEP_2)
	v_cndmask_b32_e32 v4, 0, v4, vcc_lo
	v_cmp_nlt_f32_e32 vcc_lo, 0x42b17218, v1
	v_cndmask_b32_e32 v1, 0x7f800000, v4, vcc_lo
	s_delay_alu instid0(VALU_DEP_1) | instskip(SKIP_2) | instid1(VALU_DEP_1)
	v_add_f32_e32 v0, v0, v1
	s_waitcnt vmcnt(0)
	v_sub_f32_e32 v1, v8, v7
	v_mul_f32_e32 v4, 0x3fb8aa3b, v1
	v_cmp_ngt_f32_e32 vcc_lo, 0xc2ce8ed0, v1
	s_delay_alu instid0(VALU_DEP_2) | instskip(SKIP_1) | instid1(VALU_DEP_1)
	v_fma_f32 v5, 0x3fb8aa3b, v1, -v4
	v_rndne_f32_e32 v6, v4
	v_dual_fmac_f32 v5, 0x32a5705f, v1 :: v_dual_sub_f32 v4, v4, v6
	s_delay_alu instid0(VALU_DEP_1) | instskip(SKIP_1) | instid1(VALU_DEP_2)
	v_add_f32_e32 v4, v4, v5
	v_cvt_i32_f32_e32 v5, v6
	v_exp_f32_e32 v4, v4
	s_waitcnt_depctr 0xfff
	v_ldexp_f32 v4, v4, v5
	s_delay_alu instid0(VALU_DEP_1) | instskip(SKIP_1) | instid1(VALU_DEP_2)
	v_cndmask_b32_e32 v4, 0, v4, vcc_lo
	v_cmp_nlt_f32_e32 vcc_lo, 0x42b17218, v1
	v_cndmask_b32_e32 v1, 0x7f800000, v4, vcc_lo
	s_delay_alu instid0(VALU_DEP_1) | instskip(NEXT) | instid1(VALU_DEP_1)
	v_dual_add_f32 v0, v0, v1 :: v_dual_sub_f32 v1, v9, v7
	v_mul_f32_e32 v4, 0x3fb8aa3b, v1
	v_cmp_ngt_f32_e32 vcc_lo, 0xc2ce8ed0, v1
	s_delay_alu instid0(VALU_DEP_2) | instskip(SKIP_1) | instid1(VALU_DEP_1)
	v_fma_f32 v5, 0x3fb8aa3b, v1, -v4
	v_rndne_f32_e32 v6, v4
	v_dual_fmac_f32 v5, 0x32a5705f, v1 :: v_dual_sub_f32 v4, v4, v6
	s_delay_alu instid0(VALU_DEP_1) | instskip(SKIP_1) | instid1(VALU_DEP_2)
	v_add_f32_e32 v4, v4, v5
	v_cvt_i32_f32_e32 v5, v6
	v_exp_f32_e32 v4, v4
	s_waitcnt_depctr 0xfff
	v_ldexp_f32 v4, v4, v5
	s_delay_alu instid0(VALU_DEP_1) | instskip(SKIP_1) | instid1(VALU_DEP_2)
	v_cndmask_b32_e32 v4, 0, v4, vcc_lo
	v_cmp_nlt_f32_e32 vcc_lo, 0x42b17218, v1
	v_cndmask_b32_e32 v1, 0x7f800000, v4, vcc_lo
	s_delay_alu instid0(VALU_DEP_1) | instskip(NEXT) | instid1(VALU_DEP_1)
	v_dual_add_f32 v0, v0, v1 :: v_dual_sub_f32 v1, v10, v7
	v_mul_f32_e32 v4, 0x3fb8aa3b, v1
	v_cmp_ngt_f32_e32 vcc_lo, 0xc2ce8ed0, v1
	s_delay_alu instid0(VALU_DEP_2) | instskip(SKIP_1) | instid1(VALU_DEP_1)
	v_fma_f32 v5, 0x3fb8aa3b, v1, -v4
	v_rndne_f32_e32 v6, v4
	v_dual_fmac_f32 v5, 0x32a5705f, v1 :: v_dual_sub_f32 v4, v4, v6
	s_delay_alu instid0(VALU_DEP_1) | instskip(SKIP_1) | instid1(VALU_DEP_2)
	v_add_f32_e32 v4, v4, v5
	v_cvt_i32_f32_e32 v5, v6
	v_exp_f32_e32 v4, v4
	s_waitcnt_depctr 0xfff
	v_ldexp_f32 v4, v4, v5
	s_delay_alu instid0(VALU_DEP_1) | instskip(SKIP_1) | instid1(VALU_DEP_2)
	v_cndmask_b32_e32 v4, 0, v4, vcc_lo
	v_cmp_nlt_f32_e32 vcc_lo, 0x42b17218, v1
	v_cndmask_b32_e32 v1, 0x7f800000, v4, vcc_lo
	s_delay_alu instid0(VALU_DEP_1) | instskip(SKIP_3) | instid1(VALU_DEP_2)
	v_dual_add_f32 v0, v0, v1 :: v_dual_sub_f32 v1, v11, v7
	scratch_load_b128 v[8:11], off, off offset:64
	v_mul_f32_e32 v4, 0x3fb8aa3b, v1
	v_cmp_ngt_f32_e32 vcc_lo, 0xc2ce8ed0, v1
	v_fma_f32 v5, 0x3fb8aa3b, v1, -v4
	v_rndne_f32_e32 v6, v4
	s_delay_alu instid0(VALU_DEP_1) | instskip(NEXT) | instid1(VALU_DEP_1)
	v_dual_fmac_f32 v5, 0x32a5705f, v1 :: v_dual_sub_f32 v4, v4, v6
	v_add_f32_e32 v4, v4, v5
	v_cvt_i32_f32_e32 v5, v6
	s_delay_alu instid0(VALU_DEP_2) | instskip(SKIP_2) | instid1(VALU_DEP_1)
	v_exp_f32_e32 v4, v4
	s_waitcnt_depctr 0xfff
	v_ldexp_f32 v4, v4, v5
	v_cndmask_b32_e32 v4, 0, v4, vcc_lo
	v_cmp_nlt_f32_e32 vcc_lo, 0x42b17218, v1
	s_delay_alu instid0(VALU_DEP_2) | instskip(NEXT) | instid1(VALU_DEP_1)
	v_cndmask_b32_e32 v1, 0x7f800000, v4, vcc_lo
	v_add_f32_e32 v0, v0, v1
	s_waitcnt vmcnt(0)
	v_sub_f32_e32 v1, v8, v7
	s_delay_alu instid0(VALU_DEP_1) | instskip(SKIP_1) | instid1(VALU_DEP_2)
	v_mul_f32_e32 v4, 0x3fb8aa3b, v1
	v_cmp_ngt_f32_e32 vcc_lo, 0xc2ce8ed0, v1
	v_fma_f32 v5, 0x3fb8aa3b, v1, -v4
	v_rndne_f32_e32 v6, v4
	s_delay_alu instid0(VALU_DEP_1) | instskip(NEXT) | instid1(VALU_DEP_1)
	v_dual_fmac_f32 v5, 0x32a5705f, v1 :: v_dual_sub_f32 v4, v4, v6
	v_add_f32_e32 v4, v4, v5
	v_cvt_i32_f32_e32 v5, v6
	s_delay_alu instid0(VALU_DEP_2) | instskip(SKIP_2) | instid1(VALU_DEP_1)
	v_exp_f32_e32 v4, v4
	s_waitcnt_depctr 0xfff
	v_ldexp_f32 v4, v4, v5
	v_cndmask_b32_e32 v4, 0, v4, vcc_lo
	v_cmp_nlt_f32_e32 vcc_lo, 0x42b17218, v1
	s_delay_alu instid0(VALU_DEP_2) | instskip(NEXT) | instid1(VALU_DEP_1)
	v_cndmask_b32_e32 v1, 0x7f800000, v4, vcc_lo
	v_dual_add_f32 v0, v0, v1 :: v_dual_sub_f32 v1, v9, v7
	s_delay_alu instid0(VALU_DEP_1) | instskip(SKIP_1) | instid1(VALU_DEP_2)
	v_mul_f32_e32 v4, 0x3fb8aa3b, v1
	v_cmp_ngt_f32_e32 vcc_lo, 0xc2ce8ed0, v1
	v_fma_f32 v5, 0x3fb8aa3b, v1, -v4
	v_rndne_f32_e32 v6, v4
	s_delay_alu instid0(VALU_DEP_1) | instskip(NEXT) | instid1(VALU_DEP_1)
	v_dual_fmac_f32 v5, 0x32a5705f, v1 :: v_dual_sub_f32 v4, v4, v6
	v_add_f32_e32 v4, v4, v5
	v_cvt_i32_f32_e32 v5, v6
	s_delay_alu instid0(VALU_DEP_2) | instskip(SKIP_2) | instid1(VALU_DEP_1)
	v_exp_f32_e32 v4, v4
	s_waitcnt_depctr 0xfff
	v_ldexp_f32 v4, v4, v5
	v_cndmask_b32_e32 v4, 0, v4, vcc_lo
	v_cmp_nlt_f32_e32 vcc_lo, 0x42b17218, v1
	s_delay_alu instid0(VALU_DEP_2) | instskip(NEXT) | instid1(VALU_DEP_1)
	v_cndmask_b32_e32 v1, 0x7f800000, v4, vcc_lo
	v_dual_add_f32 v0, v0, v1 :: v_dual_sub_f32 v1, v10, v7
	;; [unrolled: 18-line block ×3, first 2 shown]
	s_delay_alu instid0(VALU_DEP_1) | instskip(SKIP_1) | instid1(VALU_DEP_2)
	v_mul_f32_e32 v4, 0x3fb8aa3b, v1
	v_cmp_ngt_f32_e32 vcc_lo, 0xc2ce8ed0, v1
	v_fma_f32 v5, 0x3fb8aa3b, v1, -v4
	v_rndne_f32_e32 v6, v4
	s_delay_alu instid0(VALU_DEP_1) | instskip(NEXT) | instid1(VALU_DEP_1)
	v_dual_fmac_f32 v5, 0x32a5705f, v1 :: v_dual_sub_f32 v4, v4, v6
	v_add_f32_e32 v4, v4, v5
	v_cvt_i32_f32_e32 v5, v6
	s_delay_alu instid0(VALU_DEP_2) | instskip(SKIP_2) | instid1(VALU_DEP_1)
	v_exp_f32_e32 v4, v4
	s_waitcnt_depctr 0xfff
	v_ldexp_f32 v4, v4, v5
	v_cndmask_b32_e32 v4, 0, v4, vcc_lo
	v_cmp_nlt_f32_e32 vcc_lo, 0x42b17218, v1
	s_delay_alu instid0(VALU_DEP_2) | instskip(SKIP_4) | instid1(VALU_DEP_1)
	v_cndmask_b32_e32 v1, 0x7f800000, v4, vcc_lo
	scratch_load_b96 v[4:6], off, off offset:80
	v_add_f32_e32 v0, v0, v1
	s_waitcnt vmcnt(0)
	v_sub_f32_e32 v1, v4, v7
	v_mul_f32_e32 v4, 0x3fb8aa3b, v1
	v_cmp_ngt_f32_e32 vcc_lo, 0xc2ce8ed0, v1
	s_delay_alu instid0(VALU_DEP_2) | instskip(SKIP_1) | instid1(VALU_DEP_2)
	v_fma_f32 v8, 0x3fb8aa3b, v1, -v4
	v_rndne_f32_e32 v9, v4
	v_fmac_f32_e32 v8, 0x32a5705f, v1
	s_delay_alu instid0(VALU_DEP_2) | instskip(NEXT) | instid1(VALU_DEP_1)
	v_sub_f32_e32 v4, v4, v9
	v_add_f32_e32 v4, v4, v8
	v_cvt_i32_f32_e32 v8, v9
	s_delay_alu instid0(VALU_DEP_2) | instskip(SKIP_2) | instid1(VALU_DEP_1)
	v_exp_f32_e32 v4, v4
	s_waitcnt_depctr 0xfff
	v_ldexp_f32 v4, v4, v8
	v_cndmask_b32_e32 v4, 0, v4, vcc_lo
	v_cmp_nlt_f32_e32 vcc_lo, 0x42b17218, v1
	s_delay_alu instid0(VALU_DEP_2) | instskip(NEXT) | instid1(VALU_DEP_1)
	v_cndmask_b32_e32 v1, 0x7f800000, v4, vcc_lo
	v_dual_add_f32 v0, v0, v1 :: v_dual_sub_f32 v1, v5, v7
	s_delay_alu instid0(VALU_DEP_1) | instskip(SKIP_1) | instid1(VALU_DEP_2)
	v_mul_f32_e32 v4, 0x3fb8aa3b, v1
	v_cmp_ngt_f32_e32 vcc_lo, 0xc2ce8ed0, v1
	v_fma_f32 v5, 0x3fb8aa3b, v1, -v4
	v_rndne_f32_e32 v8, v4
	s_delay_alu instid0(VALU_DEP_1) | instskip(NEXT) | instid1(VALU_DEP_1)
	v_dual_fmac_f32 v5, 0x32a5705f, v1 :: v_dual_sub_f32 v4, v4, v8
	v_add_f32_e32 v4, v4, v5
	v_cvt_i32_f32_e32 v5, v8
	s_delay_alu instid0(VALU_DEP_2) | instskip(SKIP_2) | instid1(VALU_DEP_1)
	v_exp_f32_e32 v4, v4
	s_waitcnt_depctr 0xfff
	v_ldexp_f32 v4, v4, v5
	v_cndmask_b32_e32 v4, 0, v4, vcc_lo
	v_cmp_nlt_f32_e32 vcc_lo, 0x42b17218, v1
	s_delay_alu instid0(VALU_DEP_2) | instskip(NEXT) | instid1(VALU_DEP_1)
	v_cndmask_b32_e32 v1, 0x7f800000, v4, vcc_lo
	v_dual_add_f32 v0, v0, v1 :: v_dual_sub_f32 v1, v6, v7
	s_delay_alu instid0(VALU_DEP_1) | instskip(SKIP_1) | instid1(VALU_DEP_2)
	v_mul_f32_e32 v4, 0x3fb8aa3b, v1
	v_cmp_ngt_f32_e32 vcc_lo, 0xc2ce8ed0, v1
	v_fma_f32 v5, 0x3fb8aa3b, v1, -v4
	v_rndne_f32_e32 v6, v4
	s_delay_alu instid0(VALU_DEP_1) | instskip(NEXT) | instid1(VALU_DEP_1)
	v_dual_fmac_f32 v5, 0x32a5705f, v1 :: v_dual_sub_f32 v4, v4, v6
	v_add_f32_e32 v4, v4, v5
	v_cvt_i32_f32_e32 v5, v6
	s_delay_alu instid0(VALU_DEP_2) | instskip(SKIP_2) | instid1(VALU_DEP_1)
	v_exp_f32_e32 v4, v4
	s_waitcnt_depctr 0xfff
	v_ldexp_f32 v4, v4, v5
	v_cndmask_b32_e32 v4, 0, v4, vcc_lo
	v_cmp_nlt_f32_e32 vcc_lo, 0x42b17218, v1
	s_delay_alu instid0(VALU_DEP_2) | instskip(NEXT) | instid1(VALU_DEP_1)
	v_cndmask_b32_e32 v1, 0x7f800000, v4, vcc_lo
	v_dual_add_f32 v0, v0, v1 :: v_dual_sub_f32 v1, v2, v7
	s_delay_alu instid0(VALU_DEP_1) | instskip(SKIP_1) | instid1(VALU_DEP_2)
	v_mul_f32_e32 v2, 0x3fb8aa3b, v1
	v_cmp_ngt_f32_e32 vcc_lo, 0xc2ce8ed0, v1
	v_fma_f32 v4, 0x3fb8aa3b, v1, -v2
	v_rndne_f32_e32 v5, v2
	s_delay_alu instid0(VALU_DEP_2) | instskip(NEXT) | instid1(VALU_DEP_2)
	v_fmac_f32_e32 v4, 0x32a5705f, v1
	v_sub_f32_e32 v2, v2, v5
	s_delay_alu instid0(VALU_DEP_1) | instskip(SKIP_1) | instid1(VALU_DEP_2)
	v_add_f32_e32 v2, v2, v4
	v_cvt_i32_f32_e32 v4, v5
	v_exp_f32_e32 v2, v2
	s_waitcnt_depctr 0xfff
	v_ldexp_f32 v2, v2, v4
	s_delay_alu instid0(VALU_DEP_1) | instskip(SKIP_1) | instid1(VALU_DEP_2)
	v_cndmask_b32_e32 v2, 0, v2, vcc_lo
	v_cmp_nlt_f32_e32 vcc_lo, 0x42b17218, v1
	v_cndmask_b32_e32 v1, 0x7f800000, v2, vcc_lo
	s_delay_alu instid0(VALU_DEP_1) | instskip(NEXT) | instid1(VALU_DEP_1)
	v_dual_add_f32 v0, v0, v1 :: v_dual_sub_f32 v1, v3, v7
	v_mul_f32_e32 v2, 0x3fb8aa3b, v1
	v_cmp_ngt_f32_e32 vcc_lo, 0xc2ce8ed0, v1
	s_delay_alu instid0(VALU_DEP_2) | instskip(SKIP_1) | instid1(VALU_DEP_1)
	v_fma_f32 v3, 0x3fb8aa3b, v1, -v2
	v_rndne_f32_e32 v4, v2
	v_dual_fmac_f32 v3, 0x32a5705f, v1 :: v_dual_sub_f32 v2, v2, v4
	s_delay_alu instid0(VALU_DEP_1) | instskip(SKIP_1) | instid1(VALU_DEP_2)
	v_add_f32_e32 v2, v2, v3
	v_cvt_i32_f32_e32 v3, v4
	v_exp_f32_e32 v2, v2
	s_waitcnt_depctr 0xfff
	v_ldexp_f32 v2, v2, v3
	s_delay_alu instid0(VALU_DEP_1) | instskip(SKIP_1) | instid1(VALU_DEP_2)
	v_cndmask_b32_e32 v2, 0, v2, vcc_lo
	v_cmp_nlt_f32_e32 vcc_lo, 0x42b17218, v1
	v_cndmask_b32_e32 v1, 0x7f800000, v2, vcc_lo
	s_delay_alu instid0(VALU_DEP_1) | instskip(SKIP_4) | instid1(VALU_DEP_2)
	v_add_f32_e32 v4, v0, v1
	scratch_load_b128 v[0:3], off, off offset:100
	s_waitcnt vmcnt(0)
	v_sub_f32_e32 v0, v0, v7
	v_sub_f32_e32 v1, v1, v7
	v_mul_f32_e32 v5, 0x3fb8aa3b, v0
	v_cmp_ngt_f32_e32 vcc_lo, 0xc2ce8ed0, v0
	s_delay_alu instid0(VALU_DEP_2) | instskip(SKIP_1) | instid1(VALU_DEP_2)
	v_fma_f32 v6, 0x3fb8aa3b, v0, -v5
	v_rndne_f32_e32 v8, v5
	v_fmac_f32_e32 v6, 0x32a5705f, v0
	s_delay_alu instid0(VALU_DEP_2) | instskip(NEXT) | instid1(VALU_DEP_1)
	v_sub_f32_e32 v5, v5, v8
	v_add_f32_e32 v5, v5, v6
	v_cvt_i32_f32_e32 v6, v8
	s_delay_alu instid0(VALU_DEP_2) | instskip(SKIP_2) | instid1(VALU_DEP_1)
	v_exp_f32_e32 v5, v5
	s_waitcnt_depctr 0xfff
	v_ldexp_f32 v5, v5, v6
	v_cndmask_b32_e32 v5, 0, v5, vcc_lo
	v_cmp_nlt_f32_e32 vcc_lo, 0x42b17218, v0
	s_delay_alu instid0(VALU_DEP_2) | instskip(SKIP_1) | instid1(VALU_DEP_2)
	v_cndmask_b32_e32 v0, 0x7f800000, v5, vcc_lo
	v_cmp_ngt_f32_e32 vcc_lo, 0xc2ce8ed0, v1
	v_add_f32_e32 v0, v4, v0
	v_mul_f32_e32 v4, 0x3fb8aa3b, v1
	s_delay_alu instid0(VALU_DEP_1) | instskip(SKIP_1) | instid1(VALU_DEP_1)
	v_fma_f32 v5, 0x3fb8aa3b, v1, -v4
	v_rndne_f32_e32 v6, v4
	v_dual_fmac_f32 v5, 0x32a5705f, v1 :: v_dual_sub_f32 v4, v4, v6
	s_delay_alu instid0(VALU_DEP_1) | instskip(SKIP_1) | instid1(VALU_DEP_2)
	v_add_f32_e32 v4, v4, v5
	v_cvt_i32_f32_e32 v5, v6
	v_exp_f32_e32 v4, v4
	s_waitcnt_depctr 0xfff
	v_ldexp_f32 v4, v4, v5
	s_delay_alu instid0(VALU_DEP_1) | instskip(SKIP_1) | instid1(VALU_DEP_2)
	v_cndmask_b32_e32 v4, 0, v4, vcc_lo
	v_cmp_nlt_f32_e32 vcc_lo, 0x42b17218, v1
	v_cndmask_b32_e32 v1, 0x7f800000, v4, vcc_lo
	s_delay_alu instid0(VALU_DEP_1) | instskip(NEXT) | instid1(VALU_DEP_1)
	v_dual_add_f32 v0, v0, v1 :: v_dual_sub_f32 v1, v2, v7
	v_mul_f32_e32 v2, 0x3fb8aa3b, v1
	v_cmp_ngt_f32_e32 vcc_lo, 0xc2ce8ed0, v1
	s_delay_alu instid0(VALU_DEP_2) | instskip(SKIP_1) | instid1(VALU_DEP_2)
	v_fma_f32 v4, 0x3fb8aa3b, v1, -v2
	v_rndne_f32_e32 v5, v2
	v_fmac_f32_e32 v4, 0x32a5705f, v1
	s_delay_alu instid0(VALU_DEP_2) | instskip(NEXT) | instid1(VALU_DEP_1)
	v_sub_f32_e32 v2, v2, v5
	v_add_f32_e32 v2, v2, v4
	v_cvt_i32_f32_e32 v4, v5
	s_delay_alu instid0(VALU_DEP_2) | instskip(SKIP_2) | instid1(VALU_DEP_1)
	v_exp_f32_e32 v2, v2
	s_waitcnt_depctr 0xfff
	v_ldexp_f32 v2, v2, v4
	v_cndmask_b32_e32 v2, 0, v2, vcc_lo
	v_cmp_nlt_f32_e32 vcc_lo, 0x42b17218, v1
	s_delay_alu instid0(VALU_DEP_2) | instskip(NEXT) | instid1(VALU_DEP_1)
	v_cndmask_b32_e32 v1, 0x7f800000, v2, vcc_lo
	v_dual_add_f32 v0, v0, v1 :: v_dual_sub_f32 v1, v3, v7
	s_delay_alu instid0(VALU_DEP_1) | instskip(SKIP_1) | instid1(VALU_DEP_2)
	v_mul_f32_e32 v2, 0x3fb8aa3b, v1
	v_cmp_ngt_f32_e32 vcc_lo, 0xc2ce8ed0, v1
	v_fma_f32 v3, 0x3fb8aa3b, v1, -v2
	v_rndne_f32_e32 v4, v2
	s_delay_alu instid0(VALU_DEP_1) | instskip(NEXT) | instid1(VALU_DEP_1)
	v_dual_fmac_f32 v3, 0x32a5705f, v1 :: v_dual_sub_f32 v2, v2, v4
	v_add_f32_e32 v2, v2, v3
	v_cvt_i32_f32_e32 v3, v4
	s_delay_alu instid0(VALU_DEP_2) | instskip(SKIP_2) | instid1(VALU_DEP_1)
	v_exp_f32_e32 v2, v2
	s_waitcnt_depctr 0xfff
	v_ldexp_f32 v2, v2, v3
	v_cndmask_b32_e32 v2, 0, v2, vcc_lo
	v_cmp_nlt_f32_e32 vcc_lo, 0x42b17218, v1
	s_delay_alu instid0(VALU_DEP_2) | instskip(NEXT) | instid1(VALU_DEP_1)
	v_cndmask_b32_e32 v1, 0x7f800000, v2, vcc_lo
	v_add_f32_e32 v3, v0, v1
	scratch_load_b96 v[0:2], off, off offset:116
	s_waitcnt vmcnt(0)
	v_sub_f32_e32 v0, v0, v7
	s_delay_alu instid0(VALU_DEP_1) | instskip(SKIP_1) | instid1(VALU_DEP_2)
	v_dual_sub_f32 v1, v1, v7 :: v_dual_mul_f32 v4, 0x3fb8aa3b, v0
	v_cmp_ngt_f32_e32 vcc_lo, 0xc2ce8ed0, v0
	v_fma_f32 v5, 0x3fb8aa3b, v0, -v4
	v_rndne_f32_e32 v6, v4
	s_delay_alu instid0(VALU_DEP_1) | instskip(NEXT) | instid1(VALU_DEP_1)
	v_dual_fmac_f32 v5, 0x32a5705f, v0 :: v_dual_sub_f32 v4, v4, v6
	v_add_f32_e32 v4, v4, v5
	v_cvt_i32_f32_e32 v5, v6
	s_delay_alu instid0(VALU_DEP_2) | instskip(SKIP_2) | instid1(VALU_DEP_1)
	v_exp_f32_e32 v4, v4
	s_waitcnt_depctr 0xfff
	v_ldexp_f32 v4, v4, v5
	v_cndmask_b32_e32 v4, 0, v4, vcc_lo
	v_cmp_nlt_f32_e32 vcc_lo, 0x42b17218, v0
	s_delay_alu instid0(VALU_DEP_2) | instskip(SKIP_1) | instid1(VALU_DEP_2)
	v_cndmask_b32_e32 v0, 0x7f800000, v4, vcc_lo
	v_cmp_ngt_f32_e32 vcc_lo, 0xc2ce8ed0, v1
	v_dual_add_f32 v0, v3, v0 :: v_dual_mul_f32 v3, 0x3fb8aa3b, v1
	s_delay_alu instid0(VALU_DEP_1) | instskip(SKIP_1) | instid1(VALU_DEP_2)
	v_fma_f32 v4, 0x3fb8aa3b, v1, -v3
	v_rndne_f32_e32 v5, v3
	v_fmac_f32_e32 v4, 0x32a5705f, v1
	s_delay_alu instid0(VALU_DEP_2) | instskip(NEXT) | instid1(VALU_DEP_1)
	v_sub_f32_e32 v3, v3, v5
	v_add_f32_e32 v3, v3, v4
	v_cvt_i32_f32_e32 v4, v5
	s_delay_alu instid0(VALU_DEP_2) | instskip(SKIP_2) | instid1(VALU_DEP_1)
	v_exp_f32_e32 v3, v3
	s_waitcnt_depctr 0xfff
	v_ldexp_f32 v3, v3, v4
	v_cndmask_b32_e32 v3, 0, v3, vcc_lo
	v_cmp_nlt_f32_e32 vcc_lo, 0x42b17218, v1
	s_delay_alu instid0(VALU_DEP_2) | instskip(NEXT) | instid1(VALU_DEP_1)
	v_cndmask_b32_e32 v1, 0x7f800000, v3, vcc_lo
	v_dual_add_f32 v0, v0, v1 :: v_dual_sub_f32 v1, v2, v7
	s_delay_alu instid0(VALU_DEP_1) | instskip(SKIP_1) | instid1(VALU_DEP_2)
	v_mul_f32_e32 v2, 0x3fb8aa3b, v1
	v_cmp_ngt_f32_e32 vcc_lo, 0xc2ce8ed0, v1
	v_fma_f32 v3, 0x3fb8aa3b, v1, -v2
	v_rndne_f32_e32 v4, v2
	s_delay_alu instid0(VALU_DEP_1) | instskip(NEXT) | instid1(VALU_DEP_1)
	v_dual_fmac_f32 v3, 0x32a5705f, v1 :: v_dual_sub_f32 v2, v2, v4
	v_add_f32_e32 v2, v2, v3
	v_cvt_i32_f32_e32 v3, v4
	s_delay_alu instid0(VALU_DEP_2) | instskip(SKIP_2) | instid1(VALU_DEP_1)
	v_exp_f32_e32 v2, v2
	s_waitcnt_depctr 0xfff
	v_ldexp_f32 v2, v2, v3
	v_cndmask_b32_e32 v2, 0, v2, vcc_lo
	v_cmp_nlt_f32_e32 vcc_lo, 0x42b17218, v1
	s_delay_alu instid0(VALU_DEP_2) | instskip(SKIP_1) | instid1(VALU_DEP_2)
	v_cndmask_b32_e32 v1, 0x7f800000, v2, vcc_lo
	v_cmp_eq_u32_e32 vcc_lo, 0, v30
	v_add_f32_e32 v0, v0, v1
	s_delay_alu instid0(VALU_DEP_1) | instskip(NEXT) | instid1(VALU_DEP_1)
	v_mov_b32_dpp v1, v0 quad_perm:[1,0,3,2] row_mask:0xf bank_mask:0xf
	v_add_f32_e32 v0, v0, v1
	s_delay_alu instid0(VALU_DEP_1) | instskip(NEXT) | instid1(VALU_DEP_1)
	v_mov_b32_dpp v1, v0 quad_perm:[2,3,0,1] row_mask:0xf bank_mask:0xf
	v_add_f32_e32 v0, v0, v1
	s_delay_alu instid0(VALU_DEP_1) | instskip(NEXT) | instid1(VALU_DEP_1)
	v_mov_b32_dpp v1, v0 row_half_mirror row_mask:0xf bank_mask:0xf
	v_add_f32_e32 v0, v0, v1
	s_delay_alu instid0(VALU_DEP_1)
	v_mov_b32_dpp v1, v0 row_mirror row_mask:0xf bank_mask:0xf
	s_and_b32 exec_lo, exec_lo, vcc_lo
	s_cbranch_execz .LBB201_24
; %bb.20:
	s_delay_alu instid0(VALU_DEP_1) | instskip(NEXT) | instid1(VALU_DEP_1)
	v_add_f32_e32 v0, v0, v1
	v_add_f32_e32 v0, v31, v0
	s_delay_alu instid0(VALU_DEP_1)
	v_cmp_neq_f32_e32 vcc_lo, 0, v0
	s_and_b32 exec_lo, exec_lo, vcc_lo
	s_cbranch_execz .LBB201_24
; %bb.21:
	s_and_not1_b32 vcc_lo, exec_lo, s3
	s_cbranch_vccnz .LBB201_24
; %bb.22:
	v_div_scale_f32 v2, null, v0, v0, 1.0
	v_div_scale_f32 v4, vcc_lo, 1.0, v0, 1.0
	s_delay_alu instid0(VALU_DEP_2) | instskip(SKIP_2) | instid1(VALU_DEP_1)
	v_rcp_f32_e32 v3, v2
	s_waitcnt_depctr 0xfff
	v_fma_f32 v1, -v2, v3, 1.0
	v_fmac_f32_e32 v3, v1, v3
	v_mul_lo_u32 v1, v29, s7
	s_delay_alu instid0(VALU_DEP_2) | instskip(NEXT) | instid1(VALU_DEP_1)
	v_mul_f32_e32 v5, v4, v3
	v_fma_f32 v6, -v2, v5, v4
	s_delay_alu instid0(VALU_DEP_1) | instskip(NEXT) | instid1(VALU_DEP_1)
	v_fmac_f32_e32 v5, v6, v3
	v_fma_f32 v4, -v2, v5, v4
	v_ashrrev_i32_e32 v2, 31, v1
	s_delay_alu instid0(VALU_DEP_2) | instskip(NEXT) | instid1(VALU_DEP_2)
	v_div_fmas_f32 v5, v4, v3, v5
	v_lshlrev_b64 v[3:4], 2, v[1:2]
	s_delay_alu instid0(VALU_DEP_2) | instskip(NEXT) | instid1(VALU_DEP_2)
	v_div_fixup_f32 v2, v5, v0, 1.0
	v_add_co_u32 v0, vcc_lo, s12, v3
	s_delay_alu instid0(VALU_DEP_3)
	v_add_co_ci_u32_e32 v1, vcc_lo, s13, v4, vcc_lo
.LBB201_23:                             ; =>This Inner Loop Header: Depth=1
	global_load_b32 v3, v[0:1], off
	s_add_i32 s4, s4, -1
	s_delay_alu instid0(SALU_CYCLE_1)
	s_cmp_lg_u32 s4, 0
	s_waitcnt vmcnt(0)
	v_mul_f32_e32 v3, v2, v3
	global_store_b32 v[0:1], v3, off
	v_add_co_u32 v0, vcc_lo, v0, 4
	v_add_co_ci_u32_e32 v1, vcc_lo, 0, v1, vcc_lo
	s_cbranch_scc1 .LBB201_23
.LBB201_24:
	s_endpgm
	.section	.rodata,"a",@progbits
	.p2align	6, 0x0
	.amdhsa_kernel _ZN4vllm3moe17topkGatingSoftmaxIDF16_Li32ELi512ELi2ELi64ELb0ELi2ELNS0_23SharedExpertScoringFuncE1EEEvPKT_PKbPfiPiS9_iiiiii
		.amdhsa_group_segment_fixed_size 0
		.amdhsa_private_segment_fixed_size 144
		.amdhsa_kernarg_size 72
		.amdhsa_user_sgpr_count 15
		.amdhsa_user_sgpr_dispatch_ptr 0
		.amdhsa_user_sgpr_queue_ptr 0
		.amdhsa_user_sgpr_kernarg_segment_ptr 1
		.amdhsa_user_sgpr_dispatch_id 0
		.amdhsa_user_sgpr_private_segment_size 0
		.amdhsa_wavefront_size32 1
		.amdhsa_uses_dynamic_stack 0
		.amdhsa_enable_private_segment 1
		.amdhsa_system_sgpr_workgroup_id_x 1
		.amdhsa_system_sgpr_workgroup_id_y 0
		.amdhsa_system_sgpr_workgroup_id_z 0
		.amdhsa_system_sgpr_workgroup_info 0
		.amdhsa_system_vgpr_workitem_id 1
		.amdhsa_next_free_vgpr 77
		.amdhsa_next_free_sgpr 19
		.amdhsa_reserve_vcc 1
		.amdhsa_float_round_mode_32 0
		.amdhsa_float_round_mode_16_64 0
		.amdhsa_float_denorm_mode_32 3
		.amdhsa_float_denorm_mode_16_64 3
		.amdhsa_dx10_clamp 1
		.amdhsa_ieee_mode 1
		.amdhsa_fp16_overflow 0
		.amdhsa_workgroup_processor_mode 1
		.amdhsa_memory_ordered 1
		.amdhsa_forward_progress 0
		.amdhsa_shared_vgpr_count 0
		.amdhsa_exception_fp_ieee_invalid_op 0
		.amdhsa_exception_fp_denorm_src 0
		.amdhsa_exception_fp_ieee_div_zero 0
		.amdhsa_exception_fp_ieee_overflow 0
		.amdhsa_exception_fp_ieee_underflow 0
		.amdhsa_exception_fp_ieee_inexact 0
		.amdhsa_exception_int_div_zero 0
	.end_amdhsa_kernel
	.section	.text._ZN4vllm3moe17topkGatingSoftmaxIDF16_Li32ELi512ELi2ELi64ELb0ELi2ELNS0_23SharedExpertScoringFuncE1EEEvPKT_PKbPfiPiS9_iiiiii,"axG",@progbits,_ZN4vllm3moe17topkGatingSoftmaxIDF16_Li32ELi512ELi2ELi64ELb0ELi2ELNS0_23SharedExpertScoringFuncE1EEEvPKT_PKbPfiPiS9_iiiiii,comdat
.Lfunc_end201:
	.size	_ZN4vllm3moe17topkGatingSoftmaxIDF16_Li32ELi512ELi2ELi64ELb0ELi2ELNS0_23SharedExpertScoringFuncE1EEEvPKT_PKbPfiPiS9_iiiiii, .Lfunc_end201-_ZN4vllm3moe17topkGatingSoftmaxIDF16_Li32ELi512ELi2ELi64ELb0ELi2ELNS0_23SharedExpertScoringFuncE1EEEvPKT_PKbPfiPiS9_iiiiii
                                        ; -- End function
	.section	.AMDGPU.csdata,"",@progbits
; Kernel info:
; codeLenInByte = 8168
; NumSgprs: 21
; NumVgprs: 77
; ScratchSize: 144
; MemoryBound: 0
; FloatMode: 240
; IeeeMode: 1
; LDSByteSize: 0 bytes/workgroup (compile time only)
; SGPRBlocks: 2
; VGPRBlocks: 9
; NumSGPRsForWavesPerEU: 21
; NumVGPRsForWavesPerEU: 77
; Occupancy: 16
; WaveLimiterHint : 0
; COMPUTE_PGM_RSRC2:SCRATCH_EN: 1
; COMPUTE_PGM_RSRC2:USER_SGPR: 15
; COMPUTE_PGM_RSRC2:TRAP_HANDLER: 0
; COMPUTE_PGM_RSRC2:TGID_X_EN: 1
; COMPUTE_PGM_RSRC2:TGID_Y_EN: 0
; COMPUTE_PGM_RSRC2:TGID_Z_EN: 0
; COMPUTE_PGM_RSRC2:TIDIG_COMP_CNT: 1
	.section	.text._ZN4vllm3moe17topkGatingSoftmaxIDF16_Li32ELi512ELi2ELi64ELb1ELi4ELNS0_23SharedExpertScoringFuncE1EEEvPKT_PKbPfiPiS9_iiiiii,"axG",@progbits,_ZN4vllm3moe17topkGatingSoftmaxIDF16_Li32ELi512ELi2ELi64ELb1ELi4ELNS0_23SharedExpertScoringFuncE1EEEvPKT_PKbPfiPiS9_iiiiii,comdat
	.protected	_ZN4vllm3moe17topkGatingSoftmaxIDF16_Li32ELi512ELi2ELi64ELb1ELi4ELNS0_23SharedExpertScoringFuncE1EEEvPKT_PKbPfiPiS9_iiiiii ; -- Begin function _ZN4vllm3moe17topkGatingSoftmaxIDF16_Li32ELi512ELi2ELi64ELb1ELi4ELNS0_23SharedExpertScoringFuncE1EEEvPKT_PKbPfiPiS9_iiiiii
	.globl	_ZN4vllm3moe17topkGatingSoftmaxIDF16_Li32ELi512ELi2ELi64ELb1ELi4ELNS0_23SharedExpertScoringFuncE1EEEvPKT_PKbPfiPiS9_iiiiii
	.p2align	8
	.type	_ZN4vllm3moe17topkGatingSoftmaxIDF16_Li32ELi512ELi2ELi64ELb1ELi4ELNS0_23SharedExpertScoringFuncE1EEEvPKT_PKbPfiPiS9_iiiiii,@function
_ZN4vllm3moe17topkGatingSoftmaxIDF16_Li32ELi512ELi2ELi64ELb1ELi4ELNS0_23SharedExpertScoringFuncE1EEEvPKT_PKbPfiPiS9_iiiiii: ; @_ZN4vllm3moe17topkGatingSoftmaxIDF16_Li32ELi512ELi2ELi64ELb1ELi4ELNS0_23SharedExpertScoringFuncE1EEEvPKT_PKbPfiPiS9_iiiiii
; %bb.0:
	s_load_b32 s16, s[0:1], 0x18
	v_bfe_u32 v1, v0, 10, 10
	v_and_b32_e32 v0, 0x3ff, v0
	s_lshl_b32 s18, s15, 2
	s_mov_b32 s2, exec_lo
	s_delay_alu instid0(VALU_DEP_2) | instskip(NEXT) | instid1(VALU_DEP_2)
	v_lshlrev_b32_e32 v29, 1, v1
	v_lshrrev_b32_e32 v30, 4, v0
	s_delay_alu instid0(VALU_DEP_1) | instskip(SKIP_1) | instid1(VALU_DEP_1)
	v_add3_u32 v25, s18, v29, v30
	s_waitcnt lgkmcnt(0)
	v_cmpx_gt_i32_e64 s16, v25
	s_cbranch_execz .LBB202_22
; %bb.1:
	s_clause 0x1
	s_load_b128 s[4:7], s[0:1], 0x0
	s_load_b64 s[12:13], s[0:1], 0x10
	s_waitcnt lgkmcnt(0)
	s_cmp_eq_u64 s[6:7], 0
	s_cbranch_scc1 .LBB202_3
; %bb.2:
	v_ashrrev_i32_e32 v2, 31, v25
	v_add_co_u32 v1, vcc_lo, s6, v25
	s_delay_alu instid0(VALU_DEP_2) | instskip(SKIP_3) | instid1(VALU_DEP_1)
	v_add_co_ci_u32_e32 v2, vcc_lo, s7, v2, vcc_lo
	global_load_u8 v1, v[1:2], off
	s_waitcnt vmcnt(0)
	v_and_b32_e32 v1, 1, v1
	v_cmp_eq_u32_e32 vcc_lo, 1, v1
	s_xor_b32 s2, vcc_lo, -1
	s_delay_alu instid0(SALU_CYCLE_1)
	s_or_not1_b32 s17, s2, exec_lo
	s_branch .LBB202_4
.LBB202_3:
	s_mov_b32 s17, -1
.LBB202_4:
	s_load_b64 s[14:15], s[0:1], 0x40
	v_and_b32_e32 v26, 15, v0
	s_delay_alu instid0(VALU_DEP_1) | instskip(SKIP_2) | instid1(VALU_DEP_1)
	v_dual_mov_b32 v28, 0 :: v_dual_lshlrev_b32 v27, 5, v26
	s_waitcnt lgkmcnt(0)
	v_mul_lo_u32 v1, v25, s15
	v_ashrrev_i32_e32 v2, 31, v1
	s_delay_alu instid0(VALU_DEP_1) | instskip(SKIP_1) | instid1(VALU_DEP_2)
	v_lshlrev_b64 v[0:1], 1, v[1:2]
	v_lshlrev_b32_e32 v2, 6, v26
	v_add_co_u32 v32, vcc_lo, s4, v0
	s_delay_alu instid0(VALU_DEP_3) | instskip(SKIP_1) | instid1(VALU_DEP_2)
	v_add_co_ci_u32_e32 v33, vcc_lo, s5, v1, vcc_lo
	s_load_b128 s[4:7], s[0:1], 0x30
	v_add_co_u32 v8, vcc_lo, v32, v2
	s_delay_alu instid0(VALU_DEP_2)
	v_add_co_ci_u32_e32 v9, vcc_lo, 0, v33, vcc_lo
	v_cmp_gt_u32_e32 vcc_lo, 4, v26
	s_clause 0x3
	global_load_b128 v[0:3], v[8:9], off
	global_load_b128 v[4:7], v[8:9], off offset:16
	global_load_b128 v[34:37], v[8:9], off offset:32
	;; [unrolled: 1-line block ×3, first 2 shown]
	s_waitcnt vmcnt(3)
	v_lshrrev_b32_e32 v31, 16, v0
	v_cvt_f32_f16_e32 v23, v1
	v_lshrrev_b32_e32 v8, 16, v1
	v_cvt_f32_f16_e32 v17, v2
	v_lshrrev_b32_e32 v2, 16, v2
	v_cvt_f32_f16_e32 v19, v3
	v_lshrrev_b32_e32 v10, 16, v3
	s_waitcnt vmcnt(2)
	v_cvt_f32_f16_e32 v13, v4
	v_lshrrev_b32_e32 v4, 16, v4
	v_cvt_f32_f16_e32 v15, v5
	v_lshrrev_b32_e32 v12, 16, v5
	v_cvt_f32_f16_e32 v9, v6
	v_lshrrev_b32_e32 v6, 16, v6
	v_cvt_f32_f16_e32 v11, v7
	v_lshrrev_b32_e32 v42, 16, v7
	s_waitcnt vmcnt(1)
	v_cvt_f32_f16_e32 v1, v34
	;; [unrolled: 9-line block ×3, first 2 shown]
	v_lshrrev_b32_e32 v37, 16, v38
	v_cvt_f32_f16_e32 v36, v39
	v_lshrrev_b32_e32 v46, 16, v39
	v_cvt_f32_f16_e32 v38, v40
	;; [unrolled: 2-line block ×4, first 2 shown]
	v_cvt_f32_f16_e32 v22, v31
	v_cvt_f32_f16_e32 v24, v8
	;; [unrolled: 1-line block ×16, first 2 shown]
	s_clause 0x7
	scratch_store_b128 off, v[38:41], off offset:112
	scratch_store_b128 off, v[34:37], off offset:96
	;; [unrolled: 1-line block ×7, first 2 shown]
	scratch_store_b128 off, v[21:24], off
	s_and_saveexec_b32 s2, vcc_lo
	s_cbranch_execz .LBB202_6
; %bb.5:
	v_lshlrev_b32_e32 v6, 1, v26
	s_mov_b32 s3, 0x3fb8aa3b
	s_delay_alu instid0(VALU_DEP_1) | instskip(SKIP_4) | instid1(VALU_DEP_1)
	v_add_co_u32 v6, vcc_lo, v32, v6
	v_add_co_ci_u32_e32 v7, vcc_lo, 0, v33, vcc_lo
	global_load_u16 v6, v[6:7], off offset:1024
	s_waitcnt vmcnt(0)
	v_cvt_f32_f16_e64 v7, -v6
	v_mul_f32_e32 v8, 0x3fb8aa3b, v7
	v_cmp_ngt_f32_e32 vcc_lo, 0xc2ce8ed0, v7
	s_delay_alu instid0(VALU_DEP_2)
	v_fma_mix_f32 v32, -v6, s3, -v8 op_sel_hi:[1,0,0]
	v_rndne_f32_e32 v33, v8
	s_mov_b32 s3, 0x32a5705f
	s_delay_alu instid0(VALU_DEP_2) | instid1(SALU_CYCLE_1)
	v_fma_mix_f32 v6, -v6, s3, v32 op_sel_hi:[1,0,0]
	s_delay_alu instid0(VALU_DEP_2) | instskip(NEXT) | instid1(VALU_DEP_1)
	v_sub_f32_e32 v8, v8, v33
	v_add_f32_e32 v6, v8, v6
	v_cvt_i32_f32_e32 v8, v33
	s_delay_alu instid0(VALU_DEP_2) | instskip(SKIP_2) | instid1(VALU_DEP_1)
	v_exp_f32_e32 v6, v6
	s_waitcnt_depctr 0xfff
	v_ldexp_f32 v6, v6, v8
	v_cndmask_b32_e32 v6, 0, v6, vcc_lo
	v_cmp_nlt_f32_e32 vcc_lo, 0x42b17218, v7
	s_delay_alu instid0(VALU_DEP_2) | instskip(NEXT) | instid1(VALU_DEP_1)
	v_cndmask_b32_e32 v6, 0x7f800000, v6, vcc_lo
	v_add_f32_e32 v8, 1.0, v6
	s_delay_alu instid0(VALU_DEP_1) | instskip(SKIP_1) | instid1(VALU_DEP_2)
	v_div_scale_f32 v7, null, v8, v8, 1.0
	v_div_scale_f32 v33, vcc_lo, 1.0, v8, 1.0
	v_rcp_f32_e32 v32, v7
	s_waitcnt_depctr 0xfff
	v_fma_f32 v6, -v7, v32, 1.0
	s_delay_alu instid0(VALU_DEP_1) | instskip(SKIP_2) | instid1(VALU_DEP_2)
	v_fmac_f32_e32 v32, v6, v32
	s_waitcnt lgkmcnt(0)
	v_mul_lo_u32 v6, v25, s7
	v_mul_f32_e32 v34, v33, v32
	s_delay_alu instid0(VALU_DEP_2) | instskip(NEXT) | instid1(VALU_DEP_2)
	v_add3_u32 v6, v6, s4, v26
	v_fma_f32 v35, -v7, v34, v33
	s_delay_alu instid0(VALU_DEP_1) | instskip(NEXT) | instid1(VALU_DEP_1)
	v_fmac_f32_e32 v34, v35, v32
	v_fma_f32 v33, -v7, v34, v33
	s_delay_alu instid0(VALU_DEP_4) | instskip(NEXT) | instid1(VALU_DEP_2)
	v_ashrrev_i32_e32 v7, 31, v6
	v_div_fmas_f32 v32, v33, v32, v34
	s_delay_alu instid0(VALU_DEP_2) | instskip(NEXT) | instid1(VALU_DEP_2)
	v_lshlrev_b64 v[6:7], 2, v[6:7]
	v_div_fixup_f32 v8, v32, v8, 1.0
	s_delay_alu instid0(VALU_DEP_2) | instskip(NEXT) | instid1(VALU_DEP_3)
	v_add_co_u32 v6, vcc_lo, s12, v6
	v_add_co_ci_u32_e32 v7, vcc_lo, s13, v7, vcc_lo
	global_store_b32 v[6:7], v8, off
.LBB202_6:
	s_or_b32 exec_lo, exec_lo, s2
	s_clause 0x2
	scratch_load_b128 v[34:37], off, off offset:84
	scratch_load_b128 v[38:41], off, off offset:100
	scratch_load_b96 v[42:44], off, off offset:116
	v_cmp_lt_f16_e32 vcc_lo, v0, v31
	v_or_b32_e32 v7, 1, v27
	v_or_b32_e32 v8, 2, v27
	;; [unrolled: 1-line block ×4, first 2 shown]
	v_cndmask_b32_e32 v6, v21, v22, vcc_lo
	v_cndmask_b32_e32 v0, v27, v7, vcc_lo
	v_or_b32_e32 v21, 3, v27
	v_or_b32_e32 v22, 4, v27
	;; [unrolled: 1-line block ×3, first 2 shown]
	v_cmp_lt_f32_e32 vcc_lo, v6, v23
	v_cndmask_b32_e32 v6, v6, v23, vcc_lo
	v_cndmask_b32_e32 v0, v0, v8, vcc_lo
	v_or_b32_e32 v23, 17, v27
	s_delay_alu instid0(VALU_DEP_3) | instskip(SKIP_1) | instid1(VALU_DEP_4)
	v_cmp_lt_f32_e32 vcc_lo, v6, v24
	v_cndmask_b32_e32 v6, v6, v24, vcc_lo
	v_cndmask_b32_e32 v0, v0, v21, vcc_lo
	v_or_b32_e32 v24, 18, v27
	s_delay_alu instid0(VALU_DEP_3) | instskip(SKIP_1) | instid1(VALU_DEP_4)
	v_cmp_lt_f32_e32 vcc_lo, v6, v17
	v_cndmask_b32_e32 v6, v6, v17, vcc_lo
	v_cndmask_b32_e32 v0, v0, v22, vcc_lo
	v_or_b32_e32 v17, 5, v27
	s_delay_alu instid0(VALU_DEP_3) | instskip(SKIP_1) | instid1(VALU_DEP_3)
	v_cmp_lt_f32_e32 vcc_lo, v6, v18
	v_cndmask_b32_e32 v6, v6, v18, vcc_lo
	v_cndmask_b32_e32 v0, v0, v17, vcc_lo
	v_or_b32_e32 v18, 6, v27
	s_delay_alu instid0(VALU_DEP_3) | instskip(SKIP_1) | instid1(VALU_DEP_3)
	;; [unrolled: 5-line block ×11, first 2 shown]
	v_cmp_lt_f32_e32 vcc_lo, v6, v12
	v_cndmask_b32_e32 v6, v6, v12, vcc_lo
	v_cndmask_b32_e32 v0, v0, v11, vcc_lo
	v_or_b32_e32 v12, 16, v27
	s_delay_alu instid0(VALU_DEP_3) | instskip(NEXT) | instid1(VALU_DEP_2)
	v_cmp_lt_f32_e32 vcc_lo, v6, v1
	v_dual_cndmask_b32 v1, v6, v1 :: v_dual_cndmask_b32 v0, v0, v12
	s_delay_alu instid0(VALU_DEP_1) | instskip(NEXT) | instid1(VALU_DEP_2)
	v_cmp_lt_f32_e32 vcc_lo, v1, v2
	v_dual_cndmask_b32 v1, v1, v2 :: v_dual_cndmask_b32 v0, v0, v23
	s_delay_alu instid0(VALU_DEP_1) | instskip(NEXT) | instid1(VALU_DEP_2)
	;; [unrolled: 3-line block ×4, first 2 shown]
	v_cmp_lt_f32_e32 vcc_lo, v1, v5
	v_dual_cndmask_b32 v1, v1, v5 :: v_dual_cndmask_b32 v0, v0, v32
	s_waitcnt vmcnt(2)
	s_delay_alu instid0(VALU_DEP_1) | instskip(NEXT) | instid1(VALU_DEP_2)
	v_cmp_lt_f32_e32 vcc_lo, v1, v34
	v_dual_cndmask_b32 v1, v1, v34 :: v_dual_cndmask_b32 v0, v0, v33
	v_or_b32_e32 v34, 22, v27
	s_delay_alu instid0(VALU_DEP_2) | instskip(NEXT) | instid1(VALU_DEP_2)
	v_cmp_lt_f32_e32 vcc_lo, v1, v35
	v_dual_cndmask_b32 v1, v1, v35 :: v_dual_cndmask_b32 v0, v0, v34
	v_or_b32_e32 v35, 23, v27
	s_delay_alu instid0(VALU_DEP_2) | instskip(NEXT) | instid1(VALU_DEP_2)
	;; [unrolled: 4-line block ×3, first 2 shown]
	v_cmp_lt_f32_e32 vcc_lo, v1, v37
	v_dual_cndmask_b32 v1, v1, v37 :: v_dual_cndmask_b32 v0, v0, v36
	v_or_b32_e32 v37, 25, v27
	s_waitcnt vmcnt(1)
	s_delay_alu instid0(VALU_DEP_2) | instskip(NEXT) | instid1(VALU_DEP_2)
	v_cmp_lt_f32_e32 vcc_lo, v1, v38
	v_dual_cndmask_b32 v1, v1, v38 :: v_dual_cndmask_b32 v0, v0, v37
	v_or_b32_e32 v38, 26, v27
	s_delay_alu instid0(VALU_DEP_2) | instskip(NEXT) | instid1(VALU_DEP_2)
	v_cmp_lt_f32_e32 vcc_lo, v1, v39
	v_dual_cndmask_b32 v1, v1, v39 :: v_dual_cndmask_b32 v0, v0, v38
	v_or_b32_e32 v39, 27, v27
	;; [unrolled: 4-line block ×4, first 2 shown]
	s_waitcnt vmcnt(0)
	s_delay_alu instid0(VALU_DEP_2) | instskip(NEXT) | instid1(VALU_DEP_2)
	v_cmp_lt_f32_e32 vcc_lo, v1, v42
	v_dual_cndmask_b32 v1, v1, v42 :: v_dual_cndmask_b32 v0, v0, v41
	v_or_b32_e32 v42, 30, v27
	s_delay_alu instid0(VALU_DEP_2) | instskip(NEXT) | instid1(VALU_DEP_2)
	v_cmp_lt_f32_e32 vcc_lo, v1, v43
	v_dual_cndmask_b32 v1, v1, v43 :: v_dual_cndmask_b32 v0, v0, v42
	v_or_b32_e32 v43, 31, v27
	s_delay_alu instid0(VALU_DEP_2) | instskip(NEXT) | instid1(VALU_DEP_2)
	v_cmp_lt_f32_e32 vcc_lo, v1, v44
	v_dual_cndmask_b32 v0, v0, v43 :: v_dual_cndmask_b32 v1, v1, v44
	s_delay_alu instid0(VALU_DEP_1) | instskip(NEXT) | instid1(VALU_DEP_2)
	v_mov_b32_dpp v2, v0 quad_perm:[1,0,3,2] row_mask:0xf bank_mask:0xf
	v_mov_b32_dpp v3, v1 quad_perm:[1,0,3,2] row_mask:0xf bank_mask:0xf
	s_delay_alu instid0(VALU_DEP_2) | instskip(NEXT) | instid1(VALU_DEP_2)
	v_cmp_lt_i32_e32 vcc_lo, v2, v0
	v_cmp_eq_f32_e64 s2, v1, v3
	v_cmp_lt_f32_e64 s3, v1, v3
	s_delay_alu instid0(VALU_DEP_2)
	s_and_b32 s2, s2, vcc_lo
	s_delay_alu instid0(VALU_DEP_1) | instid1(SALU_CYCLE_1)
	s_or_b32 vcc_lo, s3, s2
	v_dual_cndmask_b32 v1, v1, v3 :: v_dual_cndmask_b32 v0, v0, v2
	s_delay_alu instid0(VALU_DEP_1) | instskip(NEXT) | instid1(VALU_DEP_2)
	v_mov_b32_dpp v2, v1 quad_perm:[2,3,0,1] row_mask:0xf bank_mask:0xf
	v_mov_b32_dpp v3, v0 quad_perm:[2,3,0,1] row_mask:0xf bank_mask:0xf
	s_delay_alu instid0(VALU_DEP_2) | instskip(NEXT) | instid1(VALU_DEP_2)
	v_cmp_eq_f32_e32 vcc_lo, v1, v2
	v_cmp_lt_i32_e64 s2, v3, v0
	v_cmp_lt_f32_e64 s3, v1, v2
	s_delay_alu instid0(VALU_DEP_2)
	s_and_b32 s2, vcc_lo, s2
	s_delay_alu instid0(VALU_DEP_1) | instid1(SALU_CYCLE_1)
	s_or_b32 vcc_lo, s3, s2
	v_dual_cndmask_b32 v1, v1, v2 :: v_dual_cndmask_b32 v0, v0, v3
	s_delay_alu instid0(VALU_DEP_1) | instskip(NEXT) | instid1(VALU_DEP_2)
	v_mov_b32_dpp v2, v1 row_half_mirror row_mask:0xf bank_mask:0xf
	v_mov_b32_dpp v3, v0 row_half_mirror row_mask:0xf bank_mask:0xf
	s_delay_alu instid0(VALU_DEP_2) | instskip(NEXT) | instid1(VALU_DEP_2)
	v_cmp_eq_f32_e32 vcc_lo, v1, v2
	v_cmp_lt_i32_e64 s2, v3, v0
	v_cmp_lt_f32_e64 s3, v1, v2
	s_delay_alu instid0(VALU_DEP_2)
	s_and_b32 s2, vcc_lo, s2
	s_delay_alu instid0(VALU_DEP_1) | instid1(SALU_CYCLE_1)
	s_or_b32 vcc_lo, s3, s2
	s_waitcnt lgkmcnt(0)
	s_cmp_gt_i32 s4, 0
	v_cndmask_b32_e32 v2, v1, v2, vcc_lo
	v_cndmask_b32_e32 v0, v0, v3, vcc_lo
	v_cmp_eq_u32_e32 vcc_lo, 0, v26
	s_cselect_b32 s3, -1, 0
	s_cmp_lt_i32 s4, 1
	v_mov_b32_dpp v4, v2 row_mirror row_mask:0xf bank_mask:0xf
	v_mov_b32_dpp v6, v0 row_mirror row_mask:0xf bank_mask:0xf
	s_cbranch_scc1 .LBB202_18
; %bb.7:
	s_load_b128 s[8:11], s[0:1], 0x20
	s_delay_alu instid0(VALU_DEP_2) | instskip(NEXT) | instid1(VALU_DEP_2)
	v_cmp_eq_f32_e64 s0, v2, v4
	v_cmp_lt_i32_e64 s1, v6, v0
	v_cmp_lt_f32_e64 s2, v2, v4
	v_mul_lo_u32 v1, v25, s7
	v_mul_lo_u32 v3, v25, s14
	;; [unrolled: 1-line block ×3, first 2 shown]
	s_and_b32 s0, s0, s1
	v_mov_b32_e32 v28, 0
	s_or_b32 s0, s2, s0
	s_delay_alu instid0(SALU_CYCLE_1)
	v_cndmask_b32_e64 v0, v0, v6, s0
	v_cndmask_b32_e64 v44, v2, v4, s0
	s_and_saveexec_b32 s2, vcc_lo
	s_cbranch_execz .LBB202_9
; %bb.8:
	s_delay_alu instid0(VALU_DEP_1)
	v_sub_f32_e32 v28, v44, v44
	v_cmp_le_i32_e64 s0, s5, v0
	v_cmp_gt_i32_e64 s1, s6, v0
	v_subrev_nc_u32_e32 v51, s5, v0
	v_ashrrev_i32_e32 v6, 31, v5
	v_mul_f32_e32 v2, 0x3fb8aa3b, v28
	s_delay_alu instid0(VALU_DEP_4) | instskip(NEXT) | instid1(SALU_CYCLE_1)
	s_and_b32 s0, s0, s1
	s_and_b32 s0, s17, s0
	s_delay_alu instid0(VALU_DEP_1) | instskip(SKIP_2) | instid1(VALU_DEP_3)
	v_rndne_f32_e32 v47, v2
	v_fma_f32 v4, 0x3fb8aa3b, v28, -v2
	v_lshlrev_b64 v[49:50], 2, v[5:6]
	v_sub_f32_e32 v2, v2, v47
	s_delay_alu instid0(VALU_DEP_3) | instskip(NEXT) | instid1(VALU_DEP_1)
	v_fmamk_f32 v4, v28, 0x32a5705f, v4
	v_add_f32_e32 v4, v2, v4
	v_ashrrev_i32_e32 v2, 31, v1
	s_delay_alu instid0(VALU_DEP_2) | instskip(NEXT) | instid1(VALU_DEP_1)
	v_exp_f32_e32 v52, v4
	v_lshlrev_b64 v[45:46], 2, v[1:2]
	v_ashrrev_i32_e32 v4, 31, v3
	v_cvt_i32_f32_e32 v2, v47
	s_delay_alu instid0(VALU_DEP_2) | instskip(SKIP_2) | instid1(VALU_DEP_1)
	v_lshlrev_b64 v[47:48], 2, v[3:4]
	v_cndmask_b32_e64 v4, 0x200, v51, s0
	v_add_co_u32 v45, s0, s12, v45
	v_add_co_ci_u32_e64 v46, s0, s13, v46, s0
	s_delay_alu instid0(TRANS32_DEP_1) | instskip(SKIP_1) | instid1(VALU_DEP_1)
	v_ldexp_f32 v2, v52, v2
	v_cmp_ngt_f32_e64 s0, 0xc2ce8ed0, v28
	v_cndmask_b32_e64 v2, 0, v2, s0
	s_waitcnt lgkmcnt(0)
	v_add_co_u32 v47, s0, s8, v47
	s_delay_alu instid0(VALU_DEP_1) | instskip(SKIP_1) | instid1(VALU_DEP_1)
	v_add_co_ci_u32_e64 v48, s0, s9, v48, s0
	v_cmp_nlt_f32_e64 s0, 0x42b17218, v28
	v_cndmask_b32_e64 v28, 0x7f800000, v2, s0
	v_add_co_u32 v49, s0, s10, v49
	s_delay_alu instid0(VALU_DEP_1)
	v_add_co_ci_u32_e64 v50, s0, s11, v50, s0
	global_store_b32 v[47:48], v4, off
	global_store_b32 v[45:46], v28, off
	;; [unrolled: 1-line block ×3, first 2 shown]
.LBB202_9:
	s_or_b32 exec_lo, exec_lo, s2
	v_ashrrev_i32_e32 v4, 31, v0
	s_mov_b32 s1, exec_lo
	s_delay_alu instid0(VALU_DEP_1) | instskip(NEXT) | instid1(VALU_DEP_1)
	v_lshrrev_b32_e32 v2, 27, v4
	v_add_nc_u32_e32 v2, v0, v2
	s_delay_alu instid0(VALU_DEP_1) | instskip(NEXT) | instid1(VALU_DEP_1)
	v_ashrrev_i32_e32 v2, 5, v2
	v_lshrrev_b32_e32 v6, 28, v2
	s_delay_alu instid0(VALU_DEP_1) | instskip(NEXT) | instid1(VALU_DEP_1)
	v_add_nc_u32_e32 v6, v2, v6
	v_and_b32_e32 v6, -16, v6
	s_delay_alu instid0(VALU_DEP_1) | instskip(NEXT) | instid1(VALU_DEP_1)
	v_sub_nc_u32_e32 v6, v2, v6
	v_cmpx_eq_u32_e64 v26, v6
	s_cbranch_execz .LBB202_11
; %bb.10:
	v_lshrrev_b32_e32 v4, 23, v4
	v_lshlrev_b32_e32 v2, 5, v2
	s_delay_alu instid0(VALU_DEP_2) | instskip(NEXT) | instid1(VALU_DEP_2)
	v_add_nc_u32_e32 v4, v0, v4
	v_sub_nc_u32_e32 v0, v0, v2
	s_delay_alu instid0(VALU_DEP_2) | instskip(NEXT) | instid1(VALU_DEP_1)
	v_ashrrev_i32_e32 v2, 9, v4
	v_lshl_add_u32 v0, v2, 5, v0
	v_mov_b32_e32 v2, 0xff800000
	s_delay_alu instid0(VALU_DEP_2)
	v_lshl_add_u32 v0, v0, 2, 0
	scratch_store_b32 v0, v2, off
.LBB202_11:
	s_or_b32 exec_lo, exec_lo, s1
	s_cmp_eq_u32 s4, 1
	s_cbranch_scc1 .LBB202_18
; %bb.12:
	s_add_i32 s18, s18, s16
	v_add_nc_u32_e32 v0, 1, v5
	v_add3_u32 v6, s18, v30, v29
	v_dual_mov_b32 v29, 0xff800000 :: v_dual_add_nc_u32 v2, 1, v3
	v_add_nc_u32_e32 v4, 1, v1
	s_add_i32 s14, s4, -1
	s_branch .LBB202_14
.LBB202_13:                             ;   in Loop: Header=BB202_14 Depth=1
	s_or_b32 exec_lo, exec_lo, s1
	v_add_nc_u32_e32 v6, s16, v6
	v_add_nc_u32_e32 v0, 1, v0
	;; [unrolled: 1-line block ×4, first 2 shown]
	s_add_i32 s14, s14, -1
	s_delay_alu instid0(SALU_CYCLE_1)
	s_cmp_eq_u32 s14, 0
	s_cbranch_scc1 .LBB202_18
.LBB202_14:                             ; =>This Inner Loop Header: Depth=1
	s_clause 0x7
	scratch_load_b128 v[45:48], off, off
	scratch_load_b128 v[49:52], off, off offset:16
	scratch_load_b128 v[53:56], off, off offset:32
	;; [unrolled: 1-line block ×7, first 2 shown]
	s_waitcnt vmcnt(7)
	v_cmp_gt_f32_e64 s0, v46, v45
	s_delay_alu instid0(VALU_DEP_1) | instskip(SKIP_1) | instid1(VALU_DEP_2)
	v_cndmask_b32_e64 v3, v45, v46, s0
	v_cndmask_b32_e64 v1, v27, v7, s0
	v_cmp_gt_f32_e64 s0, v47, v3
	s_delay_alu instid0(VALU_DEP_1) | instskip(NEXT) | instid1(VALU_DEP_3)
	v_cndmask_b32_e64 v3, v3, v47, s0
	v_cndmask_b32_e64 v1, v1, v8, s0
	s_delay_alu instid0(VALU_DEP_2) | instskip(NEXT) | instid1(VALU_DEP_1)
	v_cmp_gt_f32_e64 s0, v48, v3
	v_cndmask_b32_e64 v3, v3, v48, s0
	s_delay_alu instid0(VALU_DEP_3) | instskip(SKIP_1) | instid1(VALU_DEP_2)
	v_cndmask_b32_e64 v1, v1, v21, s0
	s_waitcnt vmcnt(6)
	v_cmp_gt_f32_e64 s0, v49, v3
	s_delay_alu instid0(VALU_DEP_1) | instskip(NEXT) | instid1(VALU_DEP_3)
	v_cndmask_b32_e64 v3, v3, v49, s0
	v_cndmask_b32_e64 v1, v1, v22, s0
	s_delay_alu instid0(VALU_DEP_2) | instskip(NEXT) | instid1(VALU_DEP_1)
	v_cmp_gt_f32_e64 s0, v50, v3
	v_cndmask_b32_e64 v3, v3, v50, s0
	s_delay_alu instid0(VALU_DEP_3) | instskip(NEXT) | instid1(VALU_DEP_2)
	v_cndmask_b32_e64 v1, v1, v17, s0
	v_cmp_gt_f32_e64 s0, v51, v3
	s_delay_alu instid0(VALU_DEP_1) | instskip(NEXT) | instid1(VALU_DEP_3)
	v_cndmask_b32_e64 v3, v3, v51, s0
	v_cndmask_b32_e64 v1, v1, v18, s0
	s_delay_alu instid0(VALU_DEP_2) | instskip(NEXT) | instid1(VALU_DEP_1)
	v_cmp_gt_f32_e64 s0, v52, v3
	v_cndmask_b32_e64 v3, v3, v52, s0
	s_delay_alu instid0(VALU_DEP_3) | instskip(SKIP_1) | instid1(VALU_DEP_2)
	v_cndmask_b32_e64 v1, v1, v19, s0
	s_waitcnt vmcnt(5)
	v_cmp_gt_f32_e64 s0, v53, v3
	s_delay_alu instid0(VALU_DEP_1) | instskip(NEXT) | instid1(VALU_DEP_3)
	v_cndmask_b32_e64 v3, v3, v53, s0
	v_cndmask_b32_e64 v1, v1, v20, s0
	s_delay_alu instid0(VALU_DEP_2) | instskip(NEXT) | instid1(VALU_DEP_1)
	v_cmp_gt_f32_e64 s0, v54, v3
	v_cndmask_b32_e64 v3, v3, v54, s0
	s_delay_alu instid0(VALU_DEP_3) | instskip(NEXT) | instid1(VALU_DEP_2)
	;; [unrolled: 19-line block ×7, first 2 shown]
	v_cndmask_b32_e64 v1, v1, v41, s0
	v_cmp_gt_f32_e64 s0, v75, v3
	s_delay_alu instid0(VALU_DEP_1) | instskip(NEXT) | instid1(VALU_DEP_3)
	v_cndmask_b32_e64 v3, v3, v75, s0
	v_cndmask_b32_e64 v1, v1, v42, s0
	s_delay_alu instid0(VALU_DEP_2) | instskip(NEXT) | instid1(VALU_DEP_1)
	v_cmp_gt_f32_e64 s0, v76, v3
	v_cndmask_b32_e64 v1, v1, v43, s0
	v_cndmask_b32_e64 v3, v3, v76, s0
	s_delay_alu instid0(VALU_DEP_2) | instskip(NEXT) | instid1(VALU_DEP_2)
	v_mov_b32_dpp v5, v1 quad_perm:[1,0,3,2] row_mask:0xf bank_mask:0xf
	v_mov_b32_dpp v30, v3 quad_perm:[1,0,3,2] row_mask:0xf bank_mask:0xf
	s_delay_alu instid0(VALU_DEP_2) | instskip(NEXT) | instid1(VALU_DEP_2)
	v_cmp_lt_i32_e64 s0, v5, v1
	v_cmp_eq_f32_e64 s1, v3, v30
	v_cmp_lt_f32_e64 s2, v3, v30
	s_delay_alu instid0(VALU_DEP_2)
	s_and_b32 s0, s1, s0
	s_delay_alu instid0(VALU_DEP_1) | instid1(SALU_CYCLE_1)
	s_or_b32 s0, s2, s0
	s_delay_alu instid0(SALU_CYCLE_1) | instskip(SKIP_1) | instid1(VALU_DEP_2)
	v_cndmask_b32_e64 v3, v3, v30, s0
	v_cndmask_b32_e64 v1, v1, v5, s0
	v_mov_b32_dpp v5, v3 quad_perm:[2,3,0,1] row_mask:0xf bank_mask:0xf
	s_delay_alu instid0(VALU_DEP_2) | instskip(NEXT) | instid1(VALU_DEP_2)
	v_mov_b32_dpp v30, v1 quad_perm:[2,3,0,1] row_mask:0xf bank_mask:0xf
	v_cmp_eq_f32_e64 s0, v3, v5
	s_delay_alu instid0(VALU_DEP_2) | instskip(SKIP_1) | instid1(VALU_DEP_2)
	v_cmp_lt_i32_e64 s1, v30, v1
	v_cmp_lt_f32_e64 s2, v3, v5
	s_and_b32 s0, s0, s1
	s_delay_alu instid0(VALU_DEP_1) | instid1(SALU_CYCLE_1)
	s_or_b32 s0, s2, s0
	s_delay_alu instid0(SALU_CYCLE_1) | instskip(SKIP_1) | instid1(VALU_DEP_2)
	v_cndmask_b32_e64 v3, v3, v5, s0
	v_cndmask_b32_e64 v5, v1, v30, s0
	v_mov_b32_dpp v1, v3 row_half_mirror row_mask:0xf bank_mask:0xf
	s_delay_alu instid0(VALU_DEP_2) | instskip(NEXT) | instid1(VALU_DEP_2)
	v_mov_b32_dpp v30, v5 row_half_mirror row_mask:0xf bank_mask:0xf
	v_cmp_eq_f32_e64 s0, v3, v1
	s_delay_alu instid0(VALU_DEP_2) | instskip(SKIP_1) | instid1(VALU_DEP_2)
	v_cmp_lt_i32_e64 s1, v30, v5
	v_cmp_lt_f32_e64 s2, v3, v1
	s_and_b32 s0, s0, s1
	s_delay_alu instid0(VALU_DEP_1) | instid1(SALU_CYCLE_1)
	s_or_b32 s0, s2, s0
	s_delay_alu instid0(SALU_CYCLE_1) | instskip(SKIP_1) | instid1(VALU_DEP_2)
	v_cndmask_b32_e64 v1, v3, v1, s0
	v_cndmask_b32_e64 v5, v5, v30, s0
	v_mov_b32_dpp v3, v1 row_mirror row_mask:0xf bank_mask:0xf
	s_delay_alu instid0(VALU_DEP_2) | instskip(NEXT) | instid1(VALU_DEP_2)
	v_mov_b32_dpp v30, v5 row_mirror row_mask:0xf bank_mask:0xf
	v_cmp_eq_f32_e64 s0, v1, v3
	s_delay_alu instid0(VALU_DEP_2) | instskip(SKIP_1) | instid1(VALU_DEP_2)
	v_cmp_lt_i32_e64 s1, v30, v5
	v_cmp_lt_f32_e64 s2, v1, v3
	s_and_b32 s0, s0, s1
	s_delay_alu instid0(VALU_DEP_1) | instid1(SALU_CYCLE_1)
	s_or_b32 s0, s2, s0
	s_delay_alu instid0(SALU_CYCLE_1)
	v_cndmask_b32_e64 v30, v5, v30, s0
	s_and_saveexec_b32 s2, vcc_lo
	s_cbranch_execz .LBB202_16
; %bb.15:                               ;   in Loop: Header=BB202_14 Depth=1
	v_cndmask_b32_e64 v1, v1, v3, s0
	s_delay_alu instid0(VALU_DEP_2) | instskip(SKIP_4) | instid1(VALU_DEP_4)
	v_cmp_le_i32_e64 s0, s5, v30
	v_cmp_gt_i32_e64 s1, s6, v30
	v_ashrrev_i32_e32 v5, 31, v4
	v_subrev_nc_u32_e32 v52, s5, v30
	v_sub_f32_e32 v51, v1, v44
	s_and_b32 s0, s0, s1
	s_delay_alu instid0(SALU_CYCLE_1) | instskip(NEXT) | instid1(VALU_DEP_1)
	s_and_b32 s0, s17, s0
	v_mul_f32_e32 v1, 0x3fb8aa3b, v51
	s_delay_alu instid0(VALU_DEP_1) | instskip(SKIP_1) | instid1(VALU_DEP_2)
	v_fma_f32 v3, 0x3fb8aa3b, v51, -v1
	v_rndne_f32_e32 v45, v1
	v_fmac_f32_e32 v3, 0x32a5705f, v51
	s_delay_alu instid0(VALU_DEP_2) | instskip(SKIP_2) | instid1(VALU_DEP_3)
	v_sub_f32_e32 v1, v1, v45
	v_cvt_i32_f32_e32 v50, v45
	v_lshlrev_b64 v[45:46], 2, v[4:5]
	v_add_f32_e32 v1, v1, v3
	v_ashrrev_i32_e32 v3, 31, v2
	s_delay_alu instid0(VALU_DEP_2) | instskip(SKIP_1) | instid1(VALU_DEP_2)
	v_exp_f32_e32 v49, v1
	v_ashrrev_i32_e32 v1, 31, v0
	v_lshlrev_b64 v[47:48], 2, v[2:3]
	s_waitcnt_depctr 0xfff
	v_ldexp_f32 v3, v49, v50
	v_lshlrev_b64 v[49:50], 2, v[0:1]
	v_cndmask_b32_e64 v1, 0x200, v52, s0
	v_cmp_ngt_f32_e64 s0, 0xc2ce8ed0, v51
	s_delay_alu instid0(VALU_DEP_1) | instskip(SKIP_1) | instid1(VALU_DEP_1)
	v_cndmask_b32_e64 v3, 0, v3, s0
	v_add_co_u32 v45, s0, s12, v45
	v_add_co_ci_u32_e64 v46, s0, s13, v46, s0
	v_cmp_nlt_f32_e64 s0, 0x42b17218, v51
	s_delay_alu instid0(VALU_DEP_1) | instskip(SKIP_2) | instid1(VALU_DEP_1)
	v_cndmask_b32_e64 v3, 0x7f800000, v3, s0
	s_waitcnt lgkmcnt(0)
	v_add_co_u32 v47, s0, s8, v47
	v_add_co_ci_u32_e64 v48, s0, s9, v48, s0
	s_delay_alu instid0(VALU_DEP_3) | instskip(SKIP_1) | instid1(VALU_DEP_1)
	v_add_f32_e32 v28, v28, v3
	v_add_co_u32 v49, s0, s10, v49
	v_add_co_ci_u32_e64 v50, s0, s11, v50, s0
	global_store_b32 v[45:46], v3, off
	global_store_b32 v[47:48], v1, off
	;; [unrolled: 1-line block ×3, first 2 shown]
.LBB202_16:                             ;   in Loop: Header=BB202_14 Depth=1
	s_or_b32 exec_lo, exec_lo, s2
	s_delay_alu instid0(VALU_DEP_1) | instskip(SKIP_1) | instid1(VALU_DEP_1)
	v_ashrrev_i32_e32 v3, 31, v30
	s_mov_b32 s1, exec_lo
	v_lshrrev_b32_e32 v1, 27, v3
	s_delay_alu instid0(VALU_DEP_1) | instskip(NEXT) | instid1(VALU_DEP_1)
	v_add_nc_u32_e32 v1, v30, v1
	v_ashrrev_i32_e32 v1, 5, v1
	s_delay_alu instid0(VALU_DEP_1) | instskip(NEXT) | instid1(VALU_DEP_1)
	v_lshrrev_b32_e32 v5, 28, v1
	v_add_nc_u32_e32 v5, v1, v5
	s_delay_alu instid0(VALU_DEP_1) | instskip(NEXT) | instid1(VALU_DEP_1)
	v_and_b32_e32 v5, -16, v5
	v_sub_nc_u32_e32 v5, v1, v5
	s_delay_alu instid0(VALU_DEP_1)
	v_cmpx_eq_u32_e64 v26, v5
	s_cbranch_execz .LBB202_13
; %bb.17:                               ;   in Loop: Header=BB202_14 Depth=1
	v_lshrrev_b32_e32 v3, 23, v3
	v_lshlrev_b32_e32 v1, 5, v1
	s_delay_alu instid0(VALU_DEP_2) | instskip(NEXT) | instid1(VALU_DEP_2)
	v_add_nc_u32_e32 v3, v30, v3
	v_sub_nc_u32_e32 v1, v30, v1
	s_delay_alu instid0(VALU_DEP_2) | instskip(NEXT) | instid1(VALU_DEP_1)
	v_ashrrev_i32_e32 v3, 9, v3
	v_lshl_add_u32 v1, v3, 5, v1
	s_delay_alu instid0(VALU_DEP_1)
	v_lshl_add_u32 v1, v1, 2, 0
	scratch_store_b32 v1, v29, off
	s_branch .LBB202_13
.LBB202_18:
	v_cmp_eq_u32_e32 vcc_lo, 0, v26
	v_cmp_neq_f32_e64 s0, 0, v28
	s_delay_alu instid0(VALU_DEP_1) | instskip(NEXT) | instid1(SALU_CYCLE_1)
	s_and_b32 s0, vcc_lo, s0
	s_and_b32 exec_lo, exec_lo, s0
	s_cbranch_execz .LBB202_22
; %bb.19:
	s_and_not1_b32 vcc_lo, exec_lo, s3
	s_cbranch_vccnz .LBB202_22
; %bb.20:
	v_div_scale_f32 v1, null, v28, v28, 1.0
	v_div_scale_f32 v3, vcc_lo, 1.0, v28, 1.0
	s_delay_alu instid0(VALU_DEP_2) | instskip(SKIP_2) | instid1(VALU_DEP_1)
	v_rcp_f32_e32 v2, v1
	s_waitcnt_depctr 0xfff
	v_fma_f32 v0, -v1, v2, 1.0
	v_fmac_f32_e32 v2, v0, v2
	v_mul_lo_u32 v0, v25, s7
	s_delay_alu instid0(VALU_DEP_2) | instskip(NEXT) | instid1(VALU_DEP_1)
	v_mul_f32_e32 v4, v3, v2
	v_fma_f32 v5, -v1, v4, v3
	s_delay_alu instid0(VALU_DEP_1) | instskip(NEXT) | instid1(VALU_DEP_1)
	v_fmac_f32_e32 v4, v5, v2
	v_fma_f32 v3, -v1, v4, v3
	v_ashrrev_i32_e32 v1, 31, v0
	s_delay_alu instid0(VALU_DEP_2) | instskip(NEXT) | instid1(VALU_DEP_2)
	v_div_fmas_f32 v2, v3, v2, v4
	v_lshlrev_b64 v[0:1], 2, v[0:1]
	s_delay_alu instid0(VALU_DEP_2) | instskip(NEXT) | instid1(VALU_DEP_2)
	v_div_fixup_f32 v2, v2, v28, 1.0
	v_add_co_u32 v0, vcc_lo, s12, v0
	s_delay_alu instid0(VALU_DEP_3)
	v_add_co_ci_u32_e32 v1, vcc_lo, s13, v1, vcc_lo
.LBB202_21:                             ; =>This Inner Loop Header: Depth=1
	global_load_b32 v3, v[0:1], off
	s_add_i32 s4, s4, -1
	s_delay_alu instid0(SALU_CYCLE_1)
	s_cmp_lg_u32 s4, 0
	s_waitcnt vmcnt(0)
	v_mul_f32_e32 v3, v2, v3
	global_store_b32 v[0:1], v3, off
	v_add_co_u32 v0, vcc_lo, v0, 4
	v_add_co_ci_u32_e32 v1, vcc_lo, 0, v1, vcc_lo
	s_cbranch_scc1 .LBB202_21
.LBB202_22:
	s_endpgm
	.section	.rodata,"a",@progbits
	.p2align	6, 0x0
	.amdhsa_kernel _ZN4vllm3moe17topkGatingSoftmaxIDF16_Li32ELi512ELi2ELi64ELb1ELi4ELNS0_23SharedExpertScoringFuncE1EEEvPKT_PKbPfiPiS9_iiiiii
		.amdhsa_group_segment_fixed_size 0
		.amdhsa_private_segment_fixed_size 144
		.amdhsa_kernarg_size 72
		.amdhsa_user_sgpr_count 15
		.amdhsa_user_sgpr_dispatch_ptr 0
		.amdhsa_user_sgpr_queue_ptr 0
		.amdhsa_user_sgpr_kernarg_segment_ptr 1
		.amdhsa_user_sgpr_dispatch_id 0
		.amdhsa_user_sgpr_private_segment_size 0
		.amdhsa_wavefront_size32 1
		.amdhsa_uses_dynamic_stack 0
		.amdhsa_enable_private_segment 1
		.amdhsa_system_sgpr_workgroup_id_x 1
		.amdhsa_system_sgpr_workgroup_id_y 0
		.amdhsa_system_sgpr_workgroup_id_z 0
		.amdhsa_system_sgpr_workgroup_info 0
		.amdhsa_system_vgpr_workitem_id 1
		.amdhsa_next_free_vgpr 77
		.amdhsa_next_free_sgpr 19
		.amdhsa_reserve_vcc 1
		.amdhsa_float_round_mode_32 0
		.amdhsa_float_round_mode_16_64 0
		.amdhsa_float_denorm_mode_32 3
		.amdhsa_float_denorm_mode_16_64 3
		.amdhsa_dx10_clamp 1
		.amdhsa_ieee_mode 1
		.amdhsa_fp16_overflow 0
		.amdhsa_workgroup_processor_mode 1
		.amdhsa_memory_ordered 1
		.amdhsa_forward_progress 0
		.amdhsa_shared_vgpr_count 0
		.amdhsa_exception_fp_ieee_invalid_op 0
		.amdhsa_exception_fp_denorm_src 0
		.amdhsa_exception_fp_ieee_div_zero 0
		.amdhsa_exception_fp_ieee_overflow 0
		.amdhsa_exception_fp_ieee_underflow 0
		.amdhsa_exception_fp_ieee_inexact 0
		.amdhsa_exception_int_div_zero 0
	.end_amdhsa_kernel
	.section	.text._ZN4vllm3moe17topkGatingSoftmaxIDF16_Li32ELi512ELi2ELi64ELb1ELi4ELNS0_23SharedExpertScoringFuncE1EEEvPKT_PKbPfiPiS9_iiiiii,"axG",@progbits,_ZN4vllm3moe17topkGatingSoftmaxIDF16_Li32ELi512ELi2ELi64ELb1ELi4ELNS0_23SharedExpertScoringFuncE1EEEvPKT_PKbPfiPiS9_iiiiii,comdat
.Lfunc_end202:
	.size	_ZN4vllm3moe17topkGatingSoftmaxIDF16_Li32ELi512ELi2ELi64ELb1ELi4ELNS0_23SharedExpertScoringFuncE1EEEvPKT_PKbPfiPiS9_iiiiii, .Lfunc_end202-_ZN4vllm3moe17topkGatingSoftmaxIDF16_Li32ELi512ELi2ELi64ELb1ELi4ELNS0_23SharedExpertScoringFuncE1EEEvPKT_PKbPfiPiS9_iiiiii
                                        ; -- End function
	.section	.AMDGPU.csdata,"",@progbits
; Kernel info:
; codeLenInByte = 4424
; NumSgprs: 21
; NumVgprs: 77
; ScratchSize: 144
; MemoryBound: 0
; FloatMode: 240
; IeeeMode: 1
; LDSByteSize: 0 bytes/workgroup (compile time only)
; SGPRBlocks: 2
; VGPRBlocks: 9
; NumSGPRsForWavesPerEU: 21
; NumVGPRsForWavesPerEU: 77
; Occupancy: 16
; WaveLimiterHint : 0
; COMPUTE_PGM_RSRC2:SCRATCH_EN: 1
; COMPUTE_PGM_RSRC2:USER_SGPR: 15
; COMPUTE_PGM_RSRC2:TRAP_HANDLER: 0
; COMPUTE_PGM_RSRC2:TGID_X_EN: 1
; COMPUTE_PGM_RSRC2:TGID_Y_EN: 0
; COMPUTE_PGM_RSRC2:TGID_Z_EN: 0
; COMPUTE_PGM_RSRC2:TIDIG_COMP_CNT: 1
	.section	.text._ZN4vllm3moe17topkGatingSoftmaxIDF16_Li32ELi512ELi2ELi64ELb0ELi4ELNS0_23SharedExpertScoringFuncE1EEEvPKT_PKbPfiPiS9_iiiiii,"axG",@progbits,_ZN4vllm3moe17topkGatingSoftmaxIDF16_Li32ELi512ELi2ELi64ELb0ELi4ELNS0_23SharedExpertScoringFuncE1EEEvPKT_PKbPfiPiS9_iiiiii,comdat
	.protected	_ZN4vllm3moe17topkGatingSoftmaxIDF16_Li32ELi512ELi2ELi64ELb0ELi4ELNS0_23SharedExpertScoringFuncE1EEEvPKT_PKbPfiPiS9_iiiiii ; -- Begin function _ZN4vllm3moe17topkGatingSoftmaxIDF16_Li32ELi512ELi2ELi64ELb0ELi4ELNS0_23SharedExpertScoringFuncE1EEEvPKT_PKbPfiPiS9_iiiiii
	.globl	_ZN4vllm3moe17topkGatingSoftmaxIDF16_Li32ELi512ELi2ELi64ELb0ELi4ELNS0_23SharedExpertScoringFuncE1EEEvPKT_PKbPfiPiS9_iiiiii
	.p2align	8
	.type	_ZN4vllm3moe17topkGatingSoftmaxIDF16_Li32ELi512ELi2ELi64ELb0ELi4ELNS0_23SharedExpertScoringFuncE1EEEvPKT_PKbPfiPiS9_iiiiii,@function
_ZN4vllm3moe17topkGatingSoftmaxIDF16_Li32ELi512ELi2ELi64ELb0ELi4ELNS0_23SharedExpertScoringFuncE1EEEvPKT_PKbPfiPiS9_iiiiii: ; @_ZN4vllm3moe17topkGatingSoftmaxIDF16_Li32ELi512ELi2ELi64ELb0ELi4ELNS0_23SharedExpertScoringFuncE1EEEvPKT_PKbPfiPiS9_iiiiii
; %bb.0:
	s_load_b32 s16, s[0:1], 0x18
	v_bfe_u32 v1, v0, 10, 10
	v_and_b32_e32 v0, 0x3ff, v0
	s_lshl_b32 s18, s15, 2
	s_mov_b32 s2, exec_lo
	s_delay_alu instid0(VALU_DEP_2) | instskip(NEXT) | instid1(VALU_DEP_2)
	v_lshlrev_b32_e32 v33, 1, v1
	v_lshrrev_b32_e32 v34, 4, v0
	s_delay_alu instid0(VALU_DEP_1) | instskip(SKIP_1) | instid1(VALU_DEP_1)
	v_add3_u32 v29, s18, v33, v34
	s_waitcnt lgkmcnt(0)
	v_cmpx_gt_i32_e64 s16, v29
	s_cbranch_execz .LBB203_24
; %bb.1:
	s_clause 0x1
	s_load_b128 s[4:7], s[0:1], 0x0
	s_load_b64 s[12:13], s[0:1], 0x10
	s_waitcnt lgkmcnt(0)
	s_cmp_eq_u64 s[6:7], 0
	s_cbranch_scc1 .LBB203_3
; %bb.2:
	v_ashrrev_i32_e32 v2, 31, v29
	v_add_co_u32 v1, vcc_lo, s6, v29
	s_delay_alu instid0(VALU_DEP_2) | instskip(SKIP_3) | instid1(VALU_DEP_1)
	v_add_co_ci_u32_e32 v2, vcc_lo, s7, v2, vcc_lo
	global_load_u8 v1, v[1:2], off
	s_waitcnt vmcnt(0)
	v_and_b32_e32 v1, 1, v1
	v_cmp_eq_u32_e32 vcc_lo, 1, v1
	s_xor_b32 s2, vcc_lo, -1
	s_delay_alu instid0(SALU_CYCLE_1)
	s_or_not1_b32 s17, s2, exec_lo
	s_branch .LBB203_4
.LBB203_3:
	s_mov_b32 s17, -1
.LBB203_4:
	s_load_b64 s[14:15], s[0:1], 0x40
	v_dual_mov_b32 v31, 0 :: v_dual_and_b32 v30, 15, v0
	s_delay_alu instid0(VALU_DEP_1) | instskip(SKIP_2) | instid1(VALU_DEP_1)
	v_lshlrev_b32_e32 v32, 5, v30
	s_waitcnt lgkmcnt(0)
	v_mul_lo_u32 v1, v29, s15
	v_ashrrev_i32_e32 v2, 31, v1
	s_delay_alu instid0(VALU_DEP_1) | instskip(SKIP_1) | instid1(VALU_DEP_2)
	v_lshlrev_b64 v[0:1], 1, v[1:2]
	v_lshlrev_b32_e32 v2, 6, v30
	v_add_co_u32 v0, vcc_lo, s4, v0
	s_delay_alu instid0(VALU_DEP_3) | instskip(SKIP_1) | instid1(VALU_DEP_2)
	v_add_co_ci_u32_e32 v1, vcc_lo, s5, v1, vcc_lo
	s_load_b128 s[4:7], s[0:1], 0x30
	v_add_co_u32 v2, vcc_lo, v0, v2
	s_delay_alu instid0(VALU_DEP_2)
	v_add_co_ci_u32_e32 v3, vcc_lo, 0, v1, vcc_lo
	v_cmp_gt_u32_e32 vcc_lo, 4, v30
	s_clause 0x3
	global_load_b128 v[4:7], v[2:3], off
	global_load_b128 v[8:11], v[2:3], off offset:16
	global_load_b128 v[36:39], v[2:3], off offset:32
	global_load_b128 v[40:43], v[2:3], off offset:48
	s_waitcnt vmcnt(3)
	v_lshrrev_b32_e32 v35, 16, v4
	v_cvt_f32_f16_e32 v27, v5
	v_lshrrev_b32_e32 v2, 16, v5
	v_cvt_f32_f16_e32 v21, v6
	v_lshrrev_b32_e32 v3, 16, v6
	v_cvt_f32_f16_e32 v23, v7
	v_lshrrev_b32_e32 v6, 16, v7
	s_waitcnt vmcnt(2)
	v_cvt_f32_f16_e32 v17, v8
	v_lshrrev_b32_e32 v8, 16, v8
	v_cvt_f32_f16_e32 v19, v9
	v_lshrrev_b32_e32 v12, 16, v9
	v_cvt_f32_f16_e32 v13, v10
	v_lshrrev_b32_e32 v10, 16, v10
	v_cvt_f32_f16_e32 v15, v11
	v_lshrrev_b32_e32 v16, 16, v11
	s_waitcnt vmcnt(1)
	v_cvt_f32_f16_e32 v5, v36
	;; [unrolled: 9-line block ×3, first 2 shown]
	v_lshrrev_b32_e32 v39, 16, v40
	v_cvt_f32_f16_e32 v38, v41
	v_lshrrev_b32_e32 v47, 16, v41
	v_cvt_f32_f16_e32 v40, v42
	;; [unrolled: 2-line block ×4, first 2 shown]
	v_cvt_f32_f16_e32 v26, v35
	v_cvt_f32_f16_e32 v28, v2
	;; [unrolled: 1-line block ×16, first 2 shown]
	s_clause 0x7
	scratch_store_b128 off, v[40:43], off offset:112
	scratch_store_b128 off, v[36:39], off offset:96
	;; [unrolled: 1-line block ×7, first 2 shown]
	scratch_store_b128 off, v[25:28], off
	s_and_saveexec_b32 s2, vcc_lo
	s_cbranch_execz .LBB203_6
; %bb.5:
	v_lshlrev_b32_e32 v2, 1, v30
	s_mov_b32 s3, 0x3fb8aa3b
	s_delay_alu instid0(VALU_DEP_1) | instskip(SKIP_4) | instid1(VALU_DEP_1)
	v_add_co_u32 v0, vcc_lo, v0, v2
	v_add_co_ci_u32_e32 v1, vcc_lo, 0, v1, vcc_lo
	global_load_u16 v0, v[0:1], off offset:1024
	s_waitcnt vmcnt(0)
	v_cvt_f32_f16_e64 v1, -v0
	v_mul_f32_e32 v2, 0x3fb8aa3b, v1
	v_cmp_ngt_f32_e32 vcc_lo, 0xc2ce8ed0, v1
	s_delay_alu instid0(VALU_DEP_2)
	v_fma_mix_f32 v3, -v0, s3, -v2 op_sel_hi:[1,0,0]
	v_rndne_f32_e32 v10, v2
	s_mov_b32 s3, 0x32a5705f
	s_delay_alu instid0(VALU_DEP_2) | instid1(SALU_CYCLE_1)
	v_fma_mix_f32 v0, -v0, s3, v3 op_sel_hi:[1,0,0]
	s_delay_alu instid0(VALU_DEP_2) | instskip(NEXT) | instid1(VALU_DEP_1)
	v_sub_f32_e32 v2, v2, v10
	v_add_f32_e32 v0, v2, v0
	v_cvt_i32_f32_e32 v2, v10
	s_delay_alu instid0(VALU_DEP_2) | instskip(SKIP_2) | instid1(VALU_DEP_1)
	v_exp_f32_e32 v0, v0
	s_waitcnt_depctr 0xfff
	v_ldexp_f32 v0, v0, v2
	v_cndmask_b32_e32 v0, 0, v0, vcc_lo
	v_cmp_nlt_f32_e32 vcc_lo, 0x42b17218, v1
	s_delay_alu instid0(VALU_DEP_2) | instskip(NEXT) | instid1(VALU_DEP_1)
	v_cndmask_b32_e32 v0, 0x7f800000, v0, vcc_lo
	v_add_f32_e32 v2, 1.0, v0
	s_delay_alu instid0(VALU_DEP_1) | instskip(SKIP_1) | instid1(VALU_DEP_2)
	v_div_scale_f32 v1, null, v2, v2, 1.0
	v_div_scale_f32 v10, vcc_lo, 1.0, v2, 1.0
	v_rcp_f32_e32 v3, v1
	s_waitcnt_depctr 0xfff
	v_fma_f32 v0, -v1, v3, 1.0
	s_delay_alu instid0(VALU_DEP_1) | instskip(SKIP_2) | instid1(VALU_DEP_2)
	v_fmac_f32_e32 v3, v0, v3
	s_waitcnt lgkmcnt(0)
	v_mul_lo_u32 v0, v29, s7
	v_mul_f32_e32 v11, v10, v3
	s_delay_alu instid0(VALU_DEP_2) | instskip(NEXT) | instid1(VALU_DEP_2)
	v_add3_u32 v0, v0, s4, v30
	v_fma_f32 v12, -v1, v11, v10
	s_delay_alu instid0(VALU_DEP_1) | instskip(NEXT) | instid1(VALU_DEP_1)
	v_fmac_f32_e32 v11, v12, v3
	v_fma_f32 v10, -v1, v11, v10
	s_delay_alu instid0(VALU_DEP_4) | instskip(NEXT) | instid1(VALU_DEP_2)
	v_ashrrev_i32_e32 v1, 31, v0
	v_div_fmas_f32 v3, v10, v3, v11
	s_delay_alu instid0(VALU_DEP_2) | instskip(NEXT) | instid1(VALU_DEP_2)
	v_lshlrev_b64 v[0:1], 2, v[0:1]
	v_div_fixup_f32 v2, v3, v2, 1.0
	s_delay_alu instid0(VALU_DEP_2) | instskip(NEXT) | instid1(VALU_DEP_3)
	v_add_co_u32 v0, vcc_lo, s12, v0
	v_add_co_ci_u32_e32 v1, vcc_lo, s13, v1, vcc_lo
	global_store_b32 v[0:1], v2, off
.LBB203_6:
	s_or_b32 exec_lo, exec_lo, s2
	s_clause 0x2
	scratch_load_b128 v[0:3], off, off offset:84
	scratch_load_b128 v[39:42], off, off offset:100
	scratch_load_b96 v[43:45], off, off offset:116
	v_cmp_lt_f16_e32 vcc_lo, v4, v35
	v_or_b32_e32 v10, 1, v32
	v_or_b32_e32 v36, 23, v32
	v_or_b32_e32 v11, 2, v32
	v_or_b32_e32 v38, 25, v32
	v_cndmask_b32_e32 v12, v25, v26, vcc_lo
	v_cndmask_b32_e32 v4, v32, v10, vcc_lo
	v_or_b32_e32 v37, 24, v32
	v_or_b32_e32 v35, 22, v32
	s_delay_alu instid0(VALU_DEP_4) | instskip(SKIP_4) | instid1(VALU_DEP_4)
	v_cmp_lt_f32_e32 vcc_lo, v12, v27
	v_cndmask_b32_e32 v25, v12, v27, vcc_lo
	v_cndmask_b32_e32 v4, v4, v11, vcc_lo
	v_or_b32_e32 v12, 3, v32
	v_or_b32_e32 v27, 18, v32
	v_cmp_lt_f32_e32 vcc_lo, v25, v28
	v_cndmask_b32_e32 v26, v25, v28, vcc_lo
	s_delay_alu instid0(VALU_DEP_4) | instskip(SKIP_2) | instid1(VALU_DEP_4)
	v_cndmask_b32_e32 v4, v4, v12, vcc_lo
	v_or_b32_e32 v25, 4, v32
	v_or_b32_e32 v28, 19, v32
	v_cmp_lt_f32_e32 vcc_lo, v26, v21
	v_cndmask_b32_e32 v26, v26, v21, vcc_lo
	s_delay_alu instid0(VALU_DEP_4) | instskip(SKIP_1) | instid1(VALU_DEP_3)
	v_cndmask_b32_e32 v4, v4, v25, vcc_lo
	v_or_b32_e32 v21, 5, v32
	v_cmp_lt_f32_e32 vcc_lo, v26, v22
	v_cndmask_b32_e32 v26, v26, v22, vcc_lo
	s_delay_alu instid0(VALU_DEP_3) | instskip(SKIP_1) | instid1(VALU_DEP_3)
	v_cndmask_b32_e32 v4, v4, v21, vcc_lo
	v_or_b32_e32 v22, 6, v32
	v_cmp_lt_f32_e32 vcc_lo, v26, v23
	v_cndmask_b32_e32 v26, v26, v23, vcc_lo
	s_delay_alu instid0(VALU_DEP_3) | instskip(SKIP_1) | instid1(VALU_DEP_3)
	;; [unrolled: 5-line block ×11, first 2 shown]
	v_cndmask_b32_e32 v4, v4, v15, vcc_lo
	v_or_b32_e32 v16, 16, v32
	v_cmp_lt_f32_e32 vcc_lo, v26, v5
	s_delay_alu instid0(VALU_DEP_2) | instskip(SKIP_1) | instid1(VALU_DEP_2)
	v_dual_cndmask_b32 v5, v26, v5 :: v_dual_cndmask_b32 v4, v4, v16
	v_or_b32_e32 v26, 17, v32
	v_cmp_lt_f32_e32 vcc_lo, v5, v6
	v_cndmask_b32_e32 v5, v5, v6, vcc_lo
	s_delay_alu instid0(VALU_DEP_3) | instskip(NEXT) | instid1(VALU_DEP_2)
	v_cndmask_b32_e32 v4, v4, v26, vcc_lo
	v_cmp_lt_f32_e32 vcc_lo, v5, v7
	v_cndmask_b32_e32 v5, v5, v7, vcc_lo
	s_delay_alu instid0(VALU_DEP_3) | instskip(NEXT) | instid1(VALU_DEP_2)
	v_cndmask_b32_e32 v4, v4, v27, vcc_lo
	v_cmp_lt_f32_e32 vcc_lo, v5, v8
	v_cndmask_b32_e32 v5, v5, v8, vcc_lo
	s_delay_alu instid0(VALU_DEP_3) | instskip(SKIP_1) | instid1(VALU_DEP_3)
	v_cndmask_b32_e32 v4, v4, v28, vcc_lo
	v_or_b32_e32 v8, 20, v32
	v_cmp_lt_f32_e32 vcc_lo, v5, v9
	s_delay_alu instid0(VALU_DEP_2) | instskip(SKIP_2) | instid1(VALU_DEP_2)
	v_dual_cndmask_b32 v5, v5, v9 :: v_dual_cndmask_b32 v4, v4, v8
	v_or_b32_e32 v9, 21, v32
	s_waitcnt vmcnt(2)
	v_cmp_lt_f32_e32 vcc_lo, v5, v0
	v_cndmask_b32_e32 v0, v5, v0, vcc_lo
	s_delay_alu instid0(VALU_DEP_3) | instskip(NEXT) | instid1(VALU_DEP_2)
	v_cndmask_b32_e32 v4, v4, v9, vcc_lo
	v_cmp_lt_f32_e32 vcc_lo, v0, v1
	v_cndmask_b32_e32 v0, v0, v1, vcc_lo
	s_delay_alu instid0(VALU_DEP_3) | instskip(NEXT) | instid1(VALU_DEP_2)
	v_cndmask_b32_e32 v4, v4, v35, vcc_lo
	;; [unrolled: 4-line block ×3, first 2 shown]
	v_cmp_lt_f32_e32 vcc_lo, v0, v3
	s_delay_alu instid0(VALU_DEP_2) | instskip(SKIP_1) | instid1(VALU_DEP_1)
	v_dual_cndmask_b32 v0, v0, v3 :: v_dual_cndmask_b32 v1, v1, v37
	s_waitcnt vmcnt(1)
	v_cmp_lt_f32_e32 vcc_lo, v0, v39
	s_delay_alu instid0(VALU_DEP_2) | instskip(SKIP_1) | instid1(VALU_DEP_2)
	v_dual_cndmask_b32 v0, v0, v39 :: v_dual_cndmask_b32 v1, v1, v38
	v_or_b32_e32 v39, 26, v32
	v_cmp_lt_f32_e32 vcc_lo, v0, v40
	s_delay_alu instid0(VALU_DEP_2) | instskip(SKIP_1) | instid1(VALU_DEP_2)
	v_dual_cndmask_b32 v0, v0, v40 :: v_dual_cndmask_b32 v1, v1, v39
	v_or_b32_e32 v40, 27, v32
	;; [unrolled: 4-line block ×3, first 2 shown]
	v_cmp_lt_f32_e32 vcc_lo, v0, v42
	s_delay_alu instid0(VALU_DEP_2) | instskip(SKIP_2) | instid1(VALU_DEP_2)
	v_dual_cndmask_b32 v0, v0, v42 :: v_dual_cndmask_b32 v1, v1, v41
	v_or_b32_e32 v42, 29, v32
	s_waitcnt vmcnt(0)
	v_cmp_lt_f32_e32 vcc_lo, v0, v43
	s_delay_alu instid0(VALU_DEP_2) | instskip(SKIP_1) | instid1(VALU_DEP_2)
	v_dual_cndmask_b32 v0, v0, v43 :: v_dual_cndmask_b32 v1, v1, v42
	v_or_b32_e32 v43, 30, v32
	v_cmp_lt_f32_e32 vcc_lo, v0, v44
	s_delay_alu instid0(VALU_DEP_2) | instskip(SKIP_1) | instid1(VALU_DEP_2)
	v_dual_cndmask_b32 v0, v0, v44 :: v_dual_cndmask_b32 v1, v1, v43
	v_or_b32_e32 v44, 31, v32
	v_cmp_lt_f32_e32 vcc_lo, v0, v45
	s_delay_alu instid0(VALU_DEP_2) | instskip(NEXT) | instid1(VALU_DEP_1)
	v_dual_cndmask_b32 v1, v1, v44 :: v_dual_cndmask_b32 v0, v0, v45
	v_mov_b32_dpp v4, v1 quad_perm:[1,0,3,2] row_mask:0xf bank_mask:0xf
	s_delay_alu instid0(VALU_DEP_2) | instskip(NEXT) | instid1(VALU_DEP_2)
	v_mov_b32_dpp v5, v0 quad_perm:[1,0,3,2] row_mask:0xf bank_mask:0xf
	v_cmp_lt_i32_e32 vcc_lo, v4, v1
	s_delay_alu instid0(VALU_DEP_2) | instskip(SKIP_1) | instid1(VALU_DEP_2)
	v_cmp_eq_f32_e64 s2, v0, v5
	v_cmp_lt_f32_e64 s3, v0, v5
	s_and_b32 s2, s2, vcc_lo
	s_delay_alu instid0(VALU_DEP_1) | instid1(SALU_CYCLE_1)
	s_or_b32 vcc_lo, s3, s2
	v_dual_cndmask_b32 v0, v0, v5 :: v_dual_cndmask_b32 v1, v1, v4
	s_delay_alu instid0(VALU_DEP_1) | instskip(NEXT) | instid1(VALU_DEP_2)
	v_mov_b32_dpp v4, v0 quad_perm:[2,3,0,1] row_mask:0xf bank_mask:0xf
	v_mov_b32_dpp v5, v1 quad_perm:[2,3,0,1] row_mask:0xf bank_mask:0xf
	s_delay_alu instid0(VALU_DEP_2) | instskip(NEXT) | instid1(VALU_DEP_2)
	v_cmp_eq_f32_e32 vcc_lo, v0, v4
	v_cmp_lt_i32_e64 s2, v5, v1
	v_cmp_lt_f32_e64 s3, v0, v4
	s_delay_alu instid0(VALU_DEP_2)
	s_and_b32 s2, vcc_lo, s2
	s_delay_alu instid0(VALU_DEP_1) | instid1(SALU_CYCLE_1)
	s_or_b32 vcc_lo, s3, s2
	v_dual_cndmask_b32 v1, v1, v5 :: v_dual_cndmask_b32 v0, v0, v4
	s_delay_alu instid0(VALU_DEP_1) | instskip(NEXT) | instid1(VALU_DEP_2)
	v_mov_b32_dpp v5, v1 row_half_mirror row_mask:0xf bank_mask:0xf
	v_mov_b32_dpp v4, v0 row_half_mirror row_mask:0xf bank_mask:0xf
	s_delay_alu instid0(VALU_DEP_2) | instskip(NEXT) | instid1(VALU_DEP_2)
	v_cmp_lt_i32_e64 s2, v5, v1
	v_cmp_eq_f32_e32 vcc_lo, v0, v4
	v_cmp_lt_f32_e64 s3, v0, v4
	s_delay_alu instid0(VALU_DEP_3)
	s_and_b32 s2, vcc_lo, s2
	s_delay_alu instid0(VALU_DEP_1) | instid1(SALU_CYCLE_1)
	s_or_b32 vcc_lo, s3, s2
	v_cndmask_b32_e32 v6, v0, v4, vcc_lo
	v_cndmask_b32_e32 v0, v1, v5, vcc_lo
	s_delay_alu instid0(VALU_DEP_2) | instskip(NEXT) | instid1(VALU_DEP_2)
	v_mov_b32_dpp v1, v6 row_mirror row_mask:0xf bank_mask:0xf
	v_mov_b32_dpp v4, v0 row_mirror row_mask:0xf bank_mask:0xf
	s_delay_alu instid0(VALU_DEP_2) | instskip(NEXT) | instid1(VALU_DEP_2)
	v_cmp_eq_f32_e32 vcc_lo, v6, v1
	v_cmp_lt_i32_e64 s2, v4, v0
	v_cmp_lt_f32_e64 s3, v6, v1
	s_delay_alu instid0(VALU_DEP_2) | instskip(SKIP_1) | instid1(VALU_DEP_2)
	s_and_b32 s2, vcc_lo, s2
	v_cmp_eq_u32_e32 vcc_lo, 0, v30
	s_or_b32 s2, s3, s2
	s_waitcnt lgkmcnt(0)
	s_cmp_gt_i32 s4, 0
	v_cndmask_b32_e64 v7, v6, v1, s2
	s_cselect_b32 s3, -1, 0
	s_cmp_lt_i32 s4, 1
	s_cbranch_scc1 .LBB203_19
; %bb.7:
	s_load_b128 s[8:11], s[0:1], 0x20
	v_mul_lo_u32 v1, v29, s7
	v_mul_lo_u32 v3, v29, s14
	;; [unrolled: 1-line block ×3, first 2 shown]
	v_cndmask_b32_e64 v0, v0, v4, s2
	v_mov_b32_e32 v31, 0
	s_and_saveexec_b32 s2, vcc_lo
	s_cbranch_execz .LBB203_9
; %bb.8:
	v_sub_f32_e32 v31, v7, v7
	v_cmp_le_i32_e64 s0, s5, v0
	v_cmp_gt_i32_e64 s1, s6, v0
	v_subrev_nc_u32_e32 v51, s5, v0
	v_ashrrev_i32_e32 v6, 31, v5
	v_mul_f32_e32 v2, 0x3fb8aa3b, v31
	s_delay_alu instid0(VALU_DEP_4) | instskip(NEXT) | instid1(SALU_CYCLE_1)
	s_and_b32 s0, s0, s1
	s_and_b32 s0, s17, s0
	s_delay_alu instid0(VALU_DEP_1) | instskip(SKIP_2) | instid1(VALU_DEP_3)
	v_rndne_f32_e32 v47, v2
	v_fma_f32 v4, 0x3fb8aa3b, v31, -v2
	v_lshlrev_b64 v[49:50], 2, v[5:6]
	v_sub_f32_e32 v2, v2, v47
	s_delay_alu instid0(VALU_DEP_3) | instskip(NEXT) | instid1(VALU_DEP_1)
	v_fmamk_f32 v4, v31, 0x32a5705f, v4
	v_add_f32_e32 v4, v2, v4
	v_ashrrev_i32_e32 v2, 31, v1
	s_delay_alu instid0(VALU_DEP_2) | instskip(NEXT) | instid1(VALU_DEP_1)
	v_exp_f32_e32 v52, v4
	v_lshlrev_b64 v[45:46], 2, v[1:2]
	v_ashrrev_i32_e32 v4, 31, v3
	v_cvt_i32_f32_e32 v2, v47
	s_delay_alu instid0(VALU_DEP_2) | instskip(SKIP_2) | instid1(VALU_DEP_1)
	v_lshlrev_b64 v[47:48], 2, v[3:4]
	v_cndmask_b32_e64 v4, 0x200, v51, s0
	v_add_co_u32 v45, s0, s12, v45
	v_add_co_ci_u32_e64 v46, s0, s13, v46, s0
	s_delay_alu instid0(TRANS32_DEP_1) | instskip(SKIP_1) | instid1(VALU_DEP_1)
	v_ldexp_f32 v2, v52, v2
	v_cmp_ngt_f32_e64 s0, 0xc2ce8ed0, v31
	v_cndmask_b32_e64 v2, 0, v2, s0
	s_waitcnt lgkmcnt(0)
	v_add_co_u32 v47, s0, s8, v47
	s_delay_alu instid0(VALU_DEP_1) | instskip(SKIP_1) | instid1(VALU_DEP_1)
	v_add_co_ci_u32_e64 v48, s0, s9, v48, s0
	v_cmp_nlt_f32_e64 s0, 0x42b17218, v31
	v_cndmask_b32_e64 v31, 0x7f800000, v2, s0
	v_add_co_u32 v49, s0, s10, v49
	s_delay_alu instid0(VALU_DEP_1)
	v_add_co_ci_u32_e64 v50, s0, s11, v50, s0
	global_store_b32 v[47:48], v4, off
	global_store_b32 v[45:46], v31, off
	;; [unrolled: 1-line block ×3, first 2 shown]
.LBB203_9:
	s_or_b32 exec_lo, exec_lo, s2
	v_ashrrev_i32_e32 v4, 31, v0
	s_mov_b32 s1, exec_lo
	s_delay_alu instid0(VALU_DEP_1) | instskip(NEXT) | instid1(VALU_DEP_1)
	v_lshrrev_b32_e32 v2, 27, v4
	v_add_nc_u32_e32 v2, v0, v2
	s_delay_alu instid0(VALU_DEP_1) | instskip(NEXT) | instid1(VALU_DEP_1)
	v_ashrrev_i32_e32 v2, 5, v2
	v_lshrrev_b32_e32 v6, 28, v2
	s_delay_alu instid0(VALU_DEP_1) | instskip(NEXT) | instid1(VALU_DEP_1)
	v_add_nc_u32_e32 v6, v2, v6
	v_and_b32_e32 v6, -16, v6
	s_delay_alu instid0(VALU_DEP_1) | instskip(NEXT) | instid1(VALU_DEP_1)
	v_sub_nc_u32_e32 v6, v2, v6
	v_cmpx_eq_u32_e64 v30, v6
	s_cbranch_execz .LBB203_11
; %bb.10:
	v_lshrrev_b32_e32 v4, 23, v4
	v_lshlrev_b32_e32 v2, 5, v2
	s_delay_alu instid0(VALU_DEP_2) | instskip(NEXT) | instid1(VALU_DEP_2)
	v_add_nc_u32_e32 v4, v0, v4
	v_sub_nc_u32_e32 v0, v0, v2
	s_delay_alu instid0(VALU_DEP_2) | instskip(NEXT) | instid1(VALU_DEP_1)
	v_ashrrev_i32_e32 v2, 9, v4
	v_lshl_add_u32 v0, v2, 5, v0
	v_mov_b32_e32 v2, 0xff800000
	s_delay_alu instid0(VALU_DEP_2)
	v_lshl_add_u32 v0, v0, 2, 0
	scratch_store_b32 v0, v2, off
.LBB203_11:
	s_or_b32 exec_lo, exec_lo, s1
	s_cmp_eq_u32 s4, 1
	s_cbranch_scc1 .LBB203_18
; %bb.12:
	s_add_i32 s18, s18, s16
	v_add_nc_u32_e32 v0, 1, v5
	v_add3_u32 v6, s18, v34, v33
	v_dual_mov_b32 v33, 0xff800000 :: v_dual_add_nc_u32 v2, 1, v3
	v_add_nc_u32_e32 v4, 1, v1
	s_add_i32 s14, s4, -1
	s_branch .LBB203_14
.LBB203_13:                             ;   in Loop: Header=BB203_14 Depth=1
	s_or_b32 exec_lo, exec_lo, s1
	v_add_nc_u32_e32 v6, s16, v6
	v_add_nc_u32_e32 v0, 1, v0
	;; [unrolled: 1-line block ×4, first 2 shown]
	s_add_i32 s14, s14, -1
	s_delay_alu instid0(SALU_CYCLE_1)
	s_cmp_eq_u32 s14, 0
	s_cbranch_scc1 .LBB203_18
.LBB203_14:                             ; =>This Inner Loop Header: Depth=1
	s_clause 0x7
	scratch_load_b128 v[45:48], off, off
	scratch_load_b128 v[49:52], off, off offset:16
	scratch_load_b128 v[53:56], off, off offset:32
	;; [unrolled: 1-line block ×7, first 2 shown]
	s_waitcnt vmcnt(7)
	v_cmp_gt_f32_e64 s0, v46, v45
	s_delay_alu instid0(VALU_DEP_1) | instskip(SKIP_1) | instid1(VALU_DEP_2)
	v_cndmask_b32_e64 v3, v45, v46, s0
	v_cndmask_b32_e64 v1, v32, v10, s0
	v_cmp_gt_f32_e64 s0, v47, v3
	s_delay_alu instid0(VALU_DEP_1) | instskip(NEXT) | instid1(VALU_DEP_3)
	v_cndmask_b32_e64 v3, v3, v47, s0
	v_cndmask_b32_e64 v1, v1, v11, s0
	s_delay_alu instid0(VALU_DEP_2) | instskip(NEXT) | instid1(VALU_DEP_1)
	v_cmp_gt_f32_e64 s0, v48, v3
	v_cndmask_b32_e64 v3, v3, v48, s0
	s_delay_alu instid0(VALU_DEP_3) | instskip(SKIP_1) | instid1(VALU_DEP_2)
	v_cndmask_b32_e64 v1, v1, v12, s0
	s_waitcnt vmcnt(6)
	v_cmp_gt_f32_e64 s0, v49, v3
	s_delay_alu instid0(VALU_DEP_1) | instskip(NEXT) | instid1(VALU_DEP_3)
	v_cndmask_b32_e64 v3, v3, v49, s0
	v_cndmask_b32_e64 v1, v1, v25, s0
	s_delay_alu instid0(VALU_DEP_2) | instskip(NEXT) | instid1(VALU_DEP_1)
	v_cmp_gt_f32_e64 s0, v50, v3
	v_cndmask_b32_e64 v3, v3, v50, s0
	s_delay_alu instid0(VALU_DEP_3) | instskip(NEXT) | instid1(VALU_DEP_2)
	v_cndmask_b32_e64 v1, v1, v21, s0
	v_cmp_gt_f32_e64 s0, v51, v3
	s_delay_alu instid0(VALU_DEP_1) | instskip(NEXT) | instid1(VALU_DEP_3)
	v_cndmask_b32_e64 v3, v3, v51, s0
	v_cndmask_b32_e64 v1, v1, v22, s0
	s_delay_alu instid0(VALU_DEP_2) | instskip(NEXT) | instid1(VALU_DEP_1)
	v_cmp_gt_f32_e64 s0, v52, v3
	v_cndmask_b32_e64 v3, v3, v52, s0
	s_delay_alu instid0(VALU_DEP_3) | instskip(SKIP_1) | instid1(VALU_DEP_2)
	v_cndmask_b32_e64 v1, v1, v23, s0
	s_waitcnt vmcnt(5)
	v_cmp_gt_f32_e64 s0, v53, v3
	s_delay_alu instid0(VALU_DEP_1) | instskip(NEXT) | instid1(VALU_DEP_3)
	v_cndmask_b32_e64 v3, v3, v53, s0
	v_cndmask_b32_e64 v1, v1, v24, s0
	s_delay_alu instid0(VALU_DEP_2) | instskip(NEXT) | instid1(VALU_DEP_1)
	v_cmp_gt_f32_e64 s0, v54, v3
	v_cndmask_b32_e64 v3, v3, v54, s0
	s_delay_alu instid0(VALU_DEP_3) | instskip(NEXT) | instid1(VALU_DEP_2)
	;; [unrolled: 19-line block ×7, first 2 shown]
	v_cndmask_b32_e64 v1, v1, v42, s0
	v_cmp_gt_f32_e64 s0, v75, v3
	s_delay_alu instid0(VALU_DEP_1) | instskip(NEXT) | instid1(VALU_DEP_3)
	v_cndmask_b32_e64 v3, v3, v75, s0
	v_cndmask_b32_e64 v1, v1, v43, s0
	s_delay_alu instid0(VALU_DEP_2) | instskip(NEXT) | instid1(VALU_DEP_1)
	v_cmp_gt_f32_e64 s0, v76, v3
	v_cndmask_b32_e64 v1, v1, v44, s0
	v_cndmask_b32_e64 v3, v3, v76, s0
	s_delay_alu instid0(VALU_DEP_2) | instskip(NEXT) | instid1(VALU_DEP_2)
	v_mov_b32_dpp v5, v1 quad_perm:[1,0,3,2] row_mask:0xf bank_mask:0xf
	v_mov_b32_dpp v34, v3 quad_perm:[1,0,3,2] row_mask:0xf bank_mask:0xf
	s_delay_alu instid0(VALU_DEP_2) | instskip(NEXT) | instid1(VALU_DEP_2)
	v_cmp_lt_i32_e64 s0, v5, v1
	v_cmp_eq_f32_e64 s1, v3, v34
	v_cmp_lt_f32_e64 s2, v3, v34
	s_delay_alu instid0(VALU_DEP_2)
	s_and_b32 s0, s1, s0
	s_delay_alu instid0(VALU_DEP_1) | instid1(SALU_CYCLE_1)
	s_or_b32 s0, s2, s0
	s_delay_alu instid0(SALU_CYCLE_1) | instskip(SKIP_1) | instid1(VALU_DEP_2)
	v_cndmask_b32_e64 v3, v3, v34, s0
	v_cndmask_b32_e64 v1, v1, v5, s0
	v_mov_b32_dpp v5, v3 quad_perm:[2,3,0,1] row_mask:0xf bank_mask:0xf
	s_delay_alu instid0(VALU_DEP_2) | instskip(NEXT) | instid1(VALU_DEP_2)
	v_mov_b32_dpp v34, v1 quad_perm:[2,3,0,1] row_mask:0xf bank_mask:0xf
	v_cmp_eq_f32_e64 s0, v3, v5
	s_delay_alu instid0(VALU_DEP_2) | instskip(SKIP_1) | instid1(VALU_DEP_2)
	v_cmp_lt_i32_e64 s1, v34, v1
	v_cmp_lt_f32_e64 s2, v3, v5
	s_and_b32 s0, s0, s1
	s_delay_alu instid0(VALU_DEP_1) | instid1(SALU_CYCLE_1)
	s_or_b32 s0, s2, s0
	s_delay_alu instid0(SALU_CYCLE_1) | instskip(SKIP_1) | instid1(VALU_DEP_2)
	v_cndmask_b32_e64 v3, v3, v5, s0
	v_cndmask_b32_e64 v5, v1, v34, s0
	v_mov_b32_dpp v1, v3 row_half_mirror row_mask:0xf bank_mask:0xf
	s_delay_alu instid0(VALU_DEP_2) | instskip(NEXT) | instid1(VALU_DEP_2)
	v_mov_b32_dpp v34, v5 row_half_mirror row_mask:0xf bank_mask:0xf
	v_cmp_eq_f32_e64 s0, v3, v1
	s_delay_alu instid0(VALU_DEP_2) | instskip(SKIP_1) | instid1(VALU_DEP_2)
	v_cmp_lt_i32_e64 s1, v34, v5
	v_cmp_lt_f32_e64 s2, v3, v1
	s_and_b32 s0, s0, s1
	s_delay_alu instid0(VALU_DEP_1) | instid1(SALU_CYCLE_1)
	s_or_b32 s0, s2, s0
	s_delay_alu instid0(SALU_CYCLE_1) | instskip(SKIP_1) | instid1(VALU_DEP_2)
	v_cndmask_b32_e64 v1, v3, v1, s0
	v_cndmask_b32_e64 v5, v5, v34, s0
	v_mov_b32_dpp v3, v1 row_mirror row_mask:0xf bank_mask:0xf
	s_delay_alu instid0(VALU_DEP_2) | instskip(NEXT) | instid1(VALU_DEP_2)
	v_mov_b32_dpp v34, v5 row_mirror row_mask:0xf bank_mask:0xf
	v_cmp_eq_f32_e64 s0, v1, v3
	s_delay_alu instid0(VALU_DEP_2) | instskip(SKIP_1) | instid1(VALU_DEP_2)
	v_cmp_lt_i32_e64 s1, v34, v5
	v_cmp_lt_f32_e64 s2, v1, v3
	s_and_b32 s0, s0, s1
	s_delay_alu instid0(VALU_DEP_1) | instid1(SALU_CYCLE_1)
	s_or_b32 s0, s2, s0
	s_delay_alu instid0(SALU_CYCLE_1)
	v_cndmask_b32_e64 v34, v5, v34, s0
	s_and_saveexec_b32 s2, vcc_lo
	s_cbranch_execz .LBB203_16
; %bb.15:                               ;   in Loop: Header=BB203_14 Depth=1
	v_cndmask_b32_e64 v1, v1, v3, s0
	s_delay_alu instid0(VALU_DEP_2) | instskip(SKIP_4) | instid1(VALU_DEP_4)
	v_cmp_le_i32_e64 s0, s5, v34
	v_cmp_gt_i32_e64 s1, s6, v34
	v_ashrrev_i32_e32 v5, 31, v4
	v_subrev_nc_u32_e32 v52, s5, v34
	v_sub_f32_e32 v51, v1, v7
	s_and_b32 s0, s0, s1
	s_delay_alu instid0(SALU_CYCLE_1) | instskip(NEXT) | instid1(VALU_DEP_1)
	s_and_b32 s0, s17, s0
	v_mul_f32_e32 v1, 0x3fb8aa3b, v51
	s_delay_alu instid0(VALU_DEP_1) | instskip(SKIP_1) | instid1(VALU_DEP_2)
	v_fma_f32 v3, 0x3fb8aa3b, v51, -v1
	v_rndne_f32_e32 v45, v1
	v_fmac_f32_e32 v3, 0x32a5705f, v51
	s_delay_alu instid0(VALU_DEP_2) | instskip(SKIP_2) | instid1(VALU_DEP_3)
	v_sub_f32_e32 v1, v1, v45
	v_cvt_i32_f32_e32 v50, v45
	v_lshlrev_b64 v[45:46], 2, v[4:5]
	v_add_f32_e32 v1, v1, v3
	v_ashrrev_i32_e32 v3, 31, v2
	s_delay_alu instid0(VALU_DEP_2) | instskip(SKIP_1) | instid1(VALU_DEP_2)
	v_exp_f32_e32 v49, v1
	v_ashrrev_i32_e32 v1, 31, v0
	v_lshlrev_b64 v[47:48], 2, v[2:3]
	s_waitcnt_depctr 0xfff
	v_ldexp_f32 v3, v49, v50
	v_lshlrev_b64 v[49:50], 2, v[0:1]
	v_cndmask_b32_e64 v1, 0x200, v52, s0
	v_cmp_ngt_f32_e64 s0, 0xc2ce8ed0, v51
	s_delay_alu instid0(VALU_DEP_1) | instskip(SKIP_1) | instid1(VALU_DEP_1)
	v_cndmask_b32_e64 v3, 0, v3, s0
	v_add_co_u32 v45, s0, s12, v45
	v_add_co_ci_u32_e64 v46, s0, s13, v46, s0
	v_cmp_nlt_f32_e64 s0, 0x42b17218, v51
	s_delay_alu instid0(VALU_DEP_1) | instskip(SKIP_2) | instid1(VALU_DEP_1)
	v_cndmask_b32_e64 v3, 0x7f800000, v3, s0
	s_waitcnt lgkmcnt(0)
	v_add_co_u32 v47, s0, s8, v47
	v_add_co_ci_u32_e64 v48, s0, s9, v48, s0
	v_add_co_u32 v49, s0, s10, v49
	v_add_f32_e32 v31, v31, v3
	v_add_co_ci_u32_e64 v50, s0, s11, v50, s0
	global_store_b32 v[45:46], v3, off
	global_store_b32 v[47:48], v1, off
	;; [unrolled: 1-line block ×3, first 2 shown]
.LBB203_16:                             ;   in Loop: Header=BB203_14 Depth=1
	s_or_b32 exec_lo, exec_lo, s2
	s_delay_alu instid0(VALU_DEP_1) | instskip(SKIP_1) | instid1(VALU_DEP_1)
	v_ashrrev_i32_e32 v3, 31, v34
	s_mov_b32 s1, exec_lo
	v_lshrrev_b32_e32 v1, 27, v3
	s_delay_alu instid0(VALU_DEP_1) | instskip(NEXT) | instid1(VALU_DEP_1)
	v_add_nc_u32_e32 v1, v34, v1
	v_ashrrev_i32_e32 v1, 5, v1
	s_delay_alu instid0(VALU_DEP_1) | instskip(NEXT) | instid1(VALU_DEP_1)
	v_lshrrev_b32_e32 v5, 28, v1
	v_add_nc_u32_e32 v5, v1, v5
	s_delay_alu instid0(VALU_DEP_1) | instskip(NEXT) | instid1(VALU_DEP_1)
	v_and_b32_e32 v5, -16, v5
	v_sub_nc_u32_e32 v5, v1, v5
	s_delay_alu instid0(VALU_DEP_1)
	v_cmpx_eq_u32_e64 v30, v5
	s_cbranch_execz .LBB203_13
; %bb.17:                               ;   in Loop: Header=BB203_14 Depth=1
	v_lshrrev_b32_e32 v3, 23, v3
	v_lshlrev_b32_e32 v1, 5, v1
	s_delay_alu instid0(VALU_DEP_2) | instskip(NEXT) | instid1(VALU_DEP_2)
	v_add_nc_u32_e32 v3, v34, v3
	v_sub_nc_u32_e32 v1, v34, v1
	s_delay_alu instid0(VALU_DEP_2) | instskip(NEXT) | instid1(VALU_DEP_1)
	v_ashrrev_i32_e32 v3, 9, v3
	v_lshl_add_u32 v1, v3, 5, v1
	s_delay_alu instid0(VALU_DEP_1)
	v_lshl_add_u32 v1, v1, 2, 0
	scratch_store_b32 v1, v33, off
	s_branch .LBB203_13
.LBB203_18:
	scratch_load_b64 v[2:3], off, off offset:92
.LBB203_19:
	scratch_load_b128 v[8:11], off, off
	s_waitcnt vmcnt(0)
	v_sub_f32_e32 v0, v8, v7
	s_delay_alu instid0(VALU_DEP_1) | instskip(NEXT) | instid1(VALU_DEP_1)
	v_mul_f32_e32 v1, 0x3fb8aa3b, v0
	v_fma_f32 v4, 0x3fb8aa3b, v0, -v1
	v_rndne_f32_e32 v5, v1
	s_delay_alu instid0(VALU_DEP_1) | instskip(SKIP_1) | instid1(VALU_DEP_4)
	v_sub_f32_e32 v1, v1, v5
	v_cmp_ngt_f32_e32 vcc_lo, 0xc2ce8ed0, v0
	v_fmac_f32_e32 v4, 0x32a5705f, v0
	s_delay_alu instid0(VALU_DEP_1) | instskip(SKIP_1) | instid1(VALU_DEP_2)
	v_add_f32_e32 v1, v1, v4
	v_cvt_i32_f32_e32 v4, v5
	v_exp_f32_e32 v1, v1
	s_waitcnt_depctr 0xfff
	v_ldexp_f32 v1, v1, v4
	s_delay_alu instid0(VALU_DEP_1) | instskip(SKIP_1) | instid1(VALU_DEP_2)
	v_cndmask_b32_e32 v1, 0, v1, vcc_lo
	v_cmp_nlt_f32_e32 vcc_lo, 0x42b17218, v0
	v_dual_cndmask_b32 v0, 0x7f800000, v1 :: v_dual_sub_f32 v1, v9, v7
	s_delay_alu instid0(VALU_DEP_1) | instskip(SKIP_1) | instid1(VALU_DEP_2)
	v_mul_f32_e32 v4, 0x3fb8aa3b, v1
	v_cmp_ngt_f32_e32 vcc_lo, 0xc2ce8ed0, v1
	v_fma_f32 v5, 0x3fb8aa3b, v1, -v4
	v_rndne_f32_e32 v6, v4
	s_delay_alu instid0(VALU_DEP_1) | instskip(NEXT) | instid1(VALU_DEP_1)
	v_dual_fmac_f32 v5, 0x32a5705f, v1 :: v_dual_sub_f32 v4, v4, v6
	v_add_f32_e32 v4, v4, v5
	v_cvt_i32_f32_e32 v5, v6
	s_delay_alu instid0(VALU_DEP_2) | instskip(SKIP_2) | instid1(VALU_DEP_1)
	v_exp_f32_e32 v4, v4
	s_waitcnt_depctr 0xfff
	v_ldexp_f32 v4, v4, v5
	v_cndmask_b32_e32 v4, 0, v4, vcc_lo
	v_cmp_nlt_f32_e32 vcc_lo, 0x42b17218, v1
	s_delay_alu instid0(VALU_DEP_2) | instskip(NEXT) | instid1(VALU_DEP_1)
	v_cndmask_b32_e32 v1, 0x7f800000, v4, vcc_lo
	v_dual_add_f32 v0, v0, v1 :: v_dual_sub_f32 v1, v10, v7
	s_delay_alu instid0(VALU_DEP_1) | instskip(SKIP_1) | instid1(VALU_DEP_2)
	v_mul_f32_e32 v4, 0x3fb8aa3b, v1
	v_cmp_ngt_f32_e32 vcc_lo, 0xc2ce8ed0, v1
	v_fma_f32 v5, 0x3fb8aa3b, v1, -v4
	v_rndne_f32_e32 v6, v4
	s_delay_alu instid0(VALU_DEP_1) | instskip(NEXT) | instid1(VALU_DEP_1)
	v_dual_fmac_f32 v5, 0x32a5705f, v1 :: v_dual_sub_f32 v4, v4, v6
	v_add_f32_e32 v4, v4, v5
	v_cvt_i32_f32_e32 v5, v6
	s_delay_alu instid0(VALU_DEP_2) | instskip(SKIP_2) | instid1(VALU_DEP_1)
	v_exp_f32_e32 v4, v4
	s_waitcnt_depctr 0xfff
	v_ldexp_f32 v4, v4, v5
	v_cndmask_b32_e32 v4, 0, v4, vcc_lo
	v_cmp_nlt_f32_e32 vcc_lo, 0x42b17218, v1
	s_delay_alu instid0(VALU_DEP_2) | instskip(NEXT) | instid1(VALU_DEP_1)
	v_cndmask_b32_e32 v1, 0x7f800000, v4, vcc_lo
	v_dual_add_f32 v0, v0, v1 :: v_dual_sub_f32 v1, v11, v7
	scratch_load_b128 v[8:11], off, off offset:16
	v_mul_f32_e32 v4, 0x3fb8aa3b, v1
	v_cmp_ngt_f32_e32 vcc_lo, 0xc2ce8ed0, v1
	s_delay_alu instid0(VALU_DEP_2) | instskip(SKIP_1) | instid1(VALU_DEP_1)
	v_fma_f32 v5, 0x3fb8aa3b, v1, -v4
	v_rndne_f32_e32 v6, v4
	v_dual_fmac_f32 v5, 0x32a5705f, v1 :: v_dual_sub_f32 v4, v4, v6
	s_delay_alu instid0(VALU_DEP_1) | instskip(SKIP_1) | instid1(VALU_DEP_2)
	v_add_f32_e32 v4, v4, v5
	v_cvt_i32_f32_e32 v5, v6
	v_exp_f32_e32 v4, v4
	s_waitcnt_depctr 0xfff
	v_ldexp_f32 v4, v4, v5
	s_delay_alu instid0(VALU_DEP_1) | instskip(SKIP_1) | instid1(VALU_DEP_2)
	v_cndmask_b32_e32 v4, 0, v4, vcc_lo
	v_cmp_nlt_f32_e32 vcc_lo, 0x42b17218, v1
	v_cndmask_b32_e32 v1, 0x7f800000, v4, vcc_lo
	s_delay_alu instid0(VALU_DEP_1) | instskip(SKIP_2) | instid1(VALU_DEP_1)
	v_add_f32_e32 v0, v0, v1
	s_waitcnt vmcnt(0)
	v_sub_f32_e32 v1, v8, v7
	v_mul_f32_e32 v4, 0x3fb8aa3b, v1
	v_cmp_ngt_f32_e32 vcc_lo, 0xc2ce8ed0, v1
	s_delay_alu instid0(VALU_DEP_2) | instskip(SKIP_1) | instid1(VALU_DEP_1)
	v_fma_f32 v5, 0x3fb8aa3b, v1, -v4
	v_rndne_f32_e32 v6, v4
	v_dual_fmac_f32 v5, 0x32a5705f, v1 :: v_dual_sub_f32 v4, v4, v6
	s_delay_alu instid0(VALU_DEP_1) | instskip(SKIP_1) | instid1(VALU_DEP_2)
	v_add_f32_e32 v4, v4, v5
	v_cvt_i32_f32_e32 v5, v6
	v_exp_f32_e32 v4, v4
	s_waitcnt_depctr 0xfff
	v_ldexp_f32 v4, v4, v5
	s_delay_alu instid0(VALU_DEP_1) | instskip(SKIP_1) | instid1(VALU_DEP_2)
	v_cndmask_b32_e32 v4, 0, v4, vcc_lo
	v_cmp_nlt_f32_e32 vcc_lo, 0x42b17218, v1
	v_cndmask_b32_e32 v1, 0x7f800000, v4, vcc_lo
	s_delay_alu instid0(VALU_DEP_1) | instskip(NEXT) | instid1(VALU_DEP_1)
	v_dual_add_f32 v0, v0, v1 :: v_dual_sub_f32 v1, v9, v7
	v_mul_f32_e32 v4, 0x3fb8aa3b, v1
	v_cmp_ngt_f32_e32 vcc_lo, 0xc2ce8ed0, v1
	s_delay_alu instid0(VALU_DEP_2) | instskip(SKIP_1) | instid1(VALU_DEP_1)
	v_fma_f32 v5, 0x3fb8aa3b, v1, -v4
	v_rndne_f32_e32 v6, v4
	v_dual_fmac_f32 v5, 0x32a5705f, v1 :: v_dual_sub_f32 v4, v4, v6
	s_delay_alu instid0(VALU_DEP_1) | instskip(SKIP_1) | instid1(VALU_DEP_2)
	v_add_f32_e32 v4, v4, v5
	v_cvt_i32_f32_e32 v5, v6
	v_exp_f32_e32 v4, v4
	s_waitcnt_depctr 0xfff
	v_ldexp_f32 v4, v4, v5
	s_delay_alu instid0(VALU_DEP_1) | instskip(SKIP_1) | instid1(VALU_DEP_2)
	v_cndmask_b32_e32 v4, 0, v4, vcc_lo
	v_cmp_nlt_f32_e32 vcc_lo, 0x42b17218, v1
	v_cndmask_b32_e32 v1, 0x7f800000, v4, vcc_lo
	s_delay_alu instid0(VALU_DEP_1) | instskip(NEXT) | instid1(VALU_DEP_1)
	v_dual_add_f32 v0, v0, v1 :: v_dual_sub_f32 v1, v10, v7
	v_mul_f32_e32 v4, 0x3fb8aa3b, v1
	v_cmp_ngt_f32_e32 vcc_lo, 0xc2ce8ed0, v1
	s_delay_alu instid0(VALU_DEP_2) | instskip(SKIP_1) | instid1(VALU_DEP_1)
	v_fma_f32 v5, 0x3fb8aa3b, v1, -v4
	v_rndne_f32_e32 v6, v4
	v_dual_fmac_f32 v5, 0x32a5705f, v1 :: v_dual_sub_f32 v4, v4, v6
	s_delay_alu instid0(VALU_DEP_1) | instskip(SKIP_1) | instid1(VALU_DEP_2)
	v_add_f32_e32 v4, v4, v5
	v_cvt_i32_f32_e32 v5, v6
	v_exp_f32_e32 v4, v4
	s_waitcnt_depctr 0xfff
	v_ldexp_f32 v4, v4, v5
	s_delay_alu instid0(VALU_DEP_1) | instskip(SKIP_1) | instid1(VALU_DEP_2)
	v_cndmask_b32_e32 v4, 0, v4, vcc_lo
	v_cmp_nlt_f32_e32 vcc_lo, 0x42b17218, v1
	v_cndmask_b32_e32 v1, 0x7f800000, v4, vcc_lo
	s_delay_alu instid0(VALU_DEP_1) | instskip(SKIP_3) | instid1(VALU_DEP_2)
	v_dual_add_f32 v0, v0, v1 :: v_dual_sub_f32 v1, v11, v7
	scratch_load_b128 v[8:11], off, off offset:32
	v_mul_f32_e32 v4, 0x3fb8aa3b, v1
	v_cmp_ngt_f32_e32 vcc_lo, 0xc2ce8ed0, v1
	v_fma_f32 v5, 0x3fb8aa3b, v1, -v4
	v_rndne_f32_e32 v6, v4
	s_delay_alu instid0(VALU_DEP_1) | instskip(NEXT) | instid1(VALU_DEP_1)
	v_dual_fmac_f32 v5, 0x32a5705f, v1 :: v_dual_sub_f32 v4, v4, v6
	v_add_f32_e32 v4, v4, v5
	v_cvt_i32_f32_e32 v5, v6
	s_delay_alu instid0(VALU_DEP_2) | instskip(SKIP_2) | instid1(VALU_DEP_1)
	v_exp_f32_e32 v4, v4
	s_waitcnt_depctr 0xfff
	v_ldexp_f32 v4, v4, v5
	v_cndmask_b32_e32 v4, 0, v4, vcc_lo
	v_cmp_nlt_f32_e32 vcc_lo, 0x42b17218, v1
	s_delay_alu instid0(VALU_DEP_2) | instskip(NEXT) | instid1(VALU_DEP_1)
	v_cndmask_b32_e32 v1, 0x7f800000, v4, vcc_lo
	v_add_f32_e32 v0, v0, v1
	s_waitcnt vmcnt(0)
	v_sub_f32_e32 v1, v8, v7
	s_delay_alu instid0(VALU_DEP_1) | instskip(SKIP_1) | instid1(VALU_DEP_2)
	v_mul_f32_e32 v4, 0x3fb8aa3b, v1
	v_cmp_ngt_f32_e32 vcc_lo, 0xc2ce8ed0, v1
	v_fma_f32 v5, 0x3fb8aa3b, v1, -v4
	v_rndne_f32_e32 v6, v4
	s_delay_alu instid0(VALU_DEP_1) | instskip(NEXT) | instid1(VALU_DEP_1)
	v_dual_fmac_f32 v5, 0x32a5705f, v1 :: v_dual_sub_f32 v4, v4, v6
	v_add_f32_e32 v4, v4, v5
	v_cvt_i32_f32_e32 v5, v6
	s_delay_alu instid0(VALU_DEP_2) | instskip(SKIP_2) | instid1(VALU_DEP_1)
	v_exp_f32_e32 v4, v4
	s_waitcnt_depctr 0xfff
	v_ldexp_f32 v4, v4, v5
	v_cndmask_b32_e32 v4, 0, v4, vcc_lo
	v_cmp_nlt_f32_e32 vcc_lo, 0x42b17218, v1
	s_delay_alu instid0(VALU_DEP_2) | instskip(NEXT) | instid1(VALU_DEP_1)
	v_cndmask_b32_e32 v1, 0x7f800000, v4, vcc_lo
	v_dual_add_f32 v0, v0, v1 :: v_dual_sub_f32 v1, v9, v7
	s_delay_alu instid0(VALU_DEP_1) | instskip(SKIP_1) | instid1(VALU_DEP_2)
	v_mul_f32_e32 v4, 0x3fb8aa3b, v1
	v_cmp_ngt_f32_e32 vcc_lo, 0xc2ce8ed0, v1
	v_fma_f32 v5, 0x3fb8aa3b, v1, -v4
	v_rndne_f32_e32 v6, v4
	s_delay_alu instid0(VALU_DEP_1) | instskip(NEXT) | instid1(VALU_DEP_1)
	v_dual_fmac_f32 v5, 0x32a5705f, v1 :: v_dual_sub_f32 v4, v4, v6
	v_add_f32_e32 v4, v4, v5
	v_cvt_i32_f32_e32 v5, v6
	s_delay_alu instid0(VALU_DEP_2) | instskip(SKIP_2) | instid1(VALU_DEP_1)
	v_exp_f32_e32 v4, v4
	s_waitcnt_depctr 0xfff
	v_ldexp_f32 v4, v4, v5
	v_cndmask_b32_e32 v4, 0, v4, vcc_lo
	v_cmp_nlt_f32_e32 vcc_lo, 0x42b17218, v1
	s_delay_alu instid0(VALU_DEP_2) | instskip(NEXT) | instid1(VALU_DEP_1)
	v_cndmask_b32_e32 v1, 0x7f800000, v4, vcc_lo
	v_dual_add_f32 v0, v0, v1 :: v_dual_sub_f32 v1, v10, v7
	;; [unrolled: 18-line block ×3, first 2 shown]
	scratch_load_b128 v[8:11], off, off offset:48
	v_mul_f32_e32 v4, 0x3fb8aa3b, v1
	v_cmp_ngt_f32_e32 vcc_lo, 0xc2ce8ed0, v1
	s_delay_alu instid0(VALU_DEP_2) | instskip(SKIP_1) | instid1(VALU_DEP_1)
	v_fma_f32 v5, 0x3fb8aa3b, v1, -v4
	v_rndne_f32_e32 v6, v4
	v_dual_fmac_f32 v5, 0x32a5705f, v1 :: v_dual_sub_f32 v4, v4, v6
	s_delay_alu instid0(VALU_DEP_1) | instskip(SKIP_1) | instid1(VALU_DEP_2)
	v_add_f32_e32 v4, v4, v5
	v_cvt_i32_f32_e32 v5, v6
	v_exp_f32_e32 v4, v4
	s_waitcnt_depctr 0xfff
	v_ldexp_f32 v4, v4, v5
	s_delay_alu instid0(VALU_DEP_1) | instskip(SKIP_1) | instid1(VALU_DEP_2)
	v_cndmask_b32_e32 v4, 0, v4, vcc_lo
	v_cmp_nlt_f32_e32 vcc_lo, 0x42b17218, v1
	v_cndmask_b32_e32 v1, 0x7f800000, v4, vcc_lo
	s_delay_alu instid0(VALU_DEP_1) | instskip(SKIP_2) | instid1(VALU_DEP_1)
	v_add_f32_e32 v0, v0, v1
	s_waitcnt vmcnt(0)
	v_sub_f32_e32 v1, v8, v7
	v_mul_f32_e32 v4, 0x3fb8aa3b, v1
	v_cmp_ngt_f32_e32 vcc_lo, 0xc2ce8ed0, v1
	s_delay_alu instid0(VALU_DEP_2) | instskip(SKIP_1) | instid1(VALU_DEP_1)
	v_fma_f32 v5, 0x3fb8aa3b, v1, -v4
	v_rndne_f32_e32 v6, v4
	v_dual_fmac_f32 v5, 0x32a5705f, v1 :: v_dual_sub_f32 v4, v4, v6
	s_delay_alu instid0(VALU_DEP_1) | instskip(SKIP_1) | instid1(VALU_DEP_2)
	v_add_f32_e32 v4, v4, v5
	v_cvt_i32_f32_e32 v5, v6
	v_exp_f32_e32 v4, v4
	s_waitcnt_depctr 0xfff
	v_ldexp_f32 v4, v4, v5
	s_delay_alu instid0(VALU_DEP_1) | instskip(SKIP_1) | instid1(VALU_DEP_2)
	v_cndmask_b32_e32 v4, 0, v4, vcc_lo
	v_cmp_nlt_f32_e32 vcc_lo, 0x42b17218, v1
	v_cndmask_b32_e32 v1, 0x7f800000, v4, vcc_lo
	s_delay_alu instid0(VALU_DEP_1) | instskip(NEXT) | instid1(VALU_DEP_1)
	v_dual_add_f32 v0, v0, v1 :: v_dual_sub_f32 v1, v9, v7
	v_mul_f32_e32 v4, 0x3fb8aa3b, v1
	v_cmp_ngt_f32_e32 vcc_lo, 0xc2ce8ed0, v1
	s_delay_alu instid0(VALU_DEP_2) | instskip(SKIP_1) | instid1(VALU_DEP_1)
	v_fma_f32 v5, 0x3fb8aa3b, v1, -v4
	v_rndne_f32_e32 v6, v4
	v_dual_fmac_f32 v5, 0x32a5705f, v1 :: v_dual_sub_f32 v4, v4, v6
	s_delay_alu instid0(VALU_DEP_1) | instskip(SKIP_1) | instid1(VALU_DEP_2)
	v_add_f32_e32 v4, v4, v5
	v_cvt_i32_f32_e32 v5, v6
	v_exp_f32_e32 v4, v4
	s_waitcnt_depctr 0xfff
	v_ldexp_f32 v4, v4, v5
	s_delay_alu instid0(VALU_DEP_1) | instskip(SKIP_1) | instid1(VALU_DEP_2)
	v_cndmask_b32_e32 v4, 0, v4, vcc_lo
	v_cmp_nlt_f32_e32 vcc_lo, 0x42b17218, v1
	v_cndmask_b32_e32 v1, 0x7f800000, v4, vcc_lo
	s_delay_alu instid0(VALU_DEP_1) | instskip(NEXT) | instid1(VALU_DEP_1)
	v_dual_add_f32 v0, v0, v1 :: v_dual_sub_f32 v1, v10, v7
	v_mul_f32_e32 v4, 0x3fb8aa3b, v1
	v_cmp_ngt_f32_e32 vcc_lo, 0xc2ce8ed0, v1
	s_delay_alu instid0(VALU_DEP_2) | instskip(SKIP_1) | instid1(VALU_DEP_1)
	v_fma_f32 v5, 0x3fb8aa3b, v1, -v4
	v_rndne_f32_e32 v6, v4
	v_dual_fmac_f32 v5, 0x32a5705f, v1 :: v_dual_sub_f32 v4, v4, v6
	s_delay_alu instid0(VALU_DEP_1) | instskip(SKIP_1) | instid1(VALU_DEP_2)
	v_add_f32_e32 v4, v4, v5
	v_cvt_i32_f32_e32 v5, v6
	v_exp_f32_e32 v4, v4
	s_waitcnt_depctr 0xfff
	v_ldexp_f32 v4, v4, v5
	s_delay_alu instid0(VALU_DEP_1) | instskip(SKIP_1) | instid1(VALU_DEP_2)
	v_cndmask_b32_e32 v4, 0, v4, vcc_lo
	v_cmp_nlt_f32_e32 vcc_lo, 0x42b17218, v1
	v_cndmask_b32_e32 v1, 0x7f800000, v4, vcc_lo
	s_delay_alu instid0(VALU_DEP_1) | instskip(SKIP_3) | instid1(VALU_DEP_2)
	v_dual_add_f32 v0, v0, v1 :: v_dual_sub_f32 v1, v11, v7
	scratch_load_b128 v[8:11], off, off offset:64
	v_mul_f32_e32 v4, 0x3fb8aa3b, v1
	v_cmp_ngt_f32_e32 vcc_lo, 0xc2ce8ed0, v1
	v_fma_f32 v5, 0x3fb8aa3b, v1, -v4
	v_rndne_f32_e32 v6, v4
	s_delay_alu instid0(VALU_DEP_1) | instskip(NEXT) | instid1(VALU_DEP_1)
	v_dual_fmac_f32 v5, 0x32a5705f, v1 :: v_dual_sub_f32 v4, v4, v6
	v_add_f32_e32 v4, v4, v5
	v_cvt_i32_f32_e32 v5, v6
	s_delay_alu instid0(VALU_DEP_2) | instskip(SKIP_2) | instid1(VALU_DEP_1)
	v_exp_f32_e32 v4, v4
	s_waitcnt_depctr 0xfff
	v_ldexp_f32 v4, v4, v5
	v_cndmask_b32_e32 v4, 0, v4, vcc_lo
	v_cmp_nlt_f32_e32 vcc_lo, 0x42b17218, v1
	s_delay_alu instid0(VALU_DEP_2) | instskip(NEXT) | instid1(VALU_DEP_1)
	v_cndmask_b32_e32 v1, 0x7f800000, v4, vcc_lo
	v_add_f32_e32 v0, v0, v1
	s_waitcnt vmcnt(0)
	v_sub_f32_e32 v1, v8, v7
	s_delay_alu instid0(VALU_DEP_1) | instskip(SKIP_1) | instid1(VALU_DEP_2)
	v_mul_f32_e32 v4, 0x3fb8aa3b, v1
	v_cmp_ngt_f32_e32 vcc_lo, 0xc2ce8ed0, v1
	v_fma_f32 v5, 0x3fb8aa3b, v1, -v4
	v_rndne_f32_e32 v6, v4
	s_delay_alu instid0(VALU_DEP_1) | instskip(NEXT) | instid1(VALU_DEP_1)
	v_dual_fmac_f32 v5, 0x32a5705f, v1 :: v_dual_sub_f32 v4, v4, v6
	v_add_f32_e32 v4, v4, v5
	v_cvt_i32_f32_e32 v5, v6
	s_delay_alu instid0(VALU_DEP_2) | instskip(SKIP_2) | instid1(VALU_DEP_1)
	v_exp_f32_e32 v4, v4
	s_waitcnt_depctr 0xfff
	v_ldexp_f32 v4, v4, v5
	v_cndmask_b32_e32 v4, 0, v4, vcc_lo
	v_cmp_nlt_f32_e32 vcc_lo, 0x42b17218, v1
	s_delay_alu instid0(VALU_DEP_2) | instskip(NEXT) | instid1(VALU_DEP_1)
	v_cndmask_b32_e32 v1, 0x7f800000, v4, vcc_lo
	v_dual_add_f32 v0, v0, v1 :: v_dual_sub_f32 v1, v9, v7
	s_delay_alu instid0(VALU_DEP_1) | instskip(SKIP_1) | instid1(VALU_DEP_2)
	v_mul_f32_e32 v4, 0x3fb8aa3b, v1
	v_cmp_ngt_f32_e32 vcc_lo, 0xc2ce8ed0, v1
	v_fma_f32 v5, 0x3fb8aa3b, v1, -v4
	v_rndne_f32_e32 v6, v4
	s_delay_alu instid0(VALU_DEP_1) | instskip(NEXT) | instid1(VALU_DEP_1)
	v_dual_fmac_f32 v5, 0x32a5705f, v1 :: v_dual_sub_f32 v4, v4, v6
	v_add_f32_e32 v4, v4, v5
	v_cvt_i32_f32_e32 v5, v6
	s_delay_alu instid0(VALU_DEP_2) | instskip(SKIP_2) | instid1(VALU_DEP_1)
	v_exp_f32_e32 v4, v4
	s_waitcnt_depctr 0xfff
	v_ldexp_f32 v4, v4, v5
	v_cndmask_b32_e32 v4, 0, v4, vcc_lo
	v_cmp_nlt_f32_e32 vcc_lo, 0x42b17218, v1
	s_delay_alu instid0(VALU_DEP_2) | instskip(NEXT) | instid1(VALU_DEP_1)
	v_cndmask_b32_e32 v1, 0x7f800000, v4, vcc_lo
	v_dual_add_f32 v0, v0, v1 :: v_dual_sub_f32 v1, v10, v7
	;; [unrolled: 18-line block ×3, first 2 shown]
	s_delay_alu instid0(VALU_DEP_1) | instskip(SKIP_1) | instid1(VALU_DEP_2)
	v_mul_f32_e32 v4, 0x3fb8aa3b, v1
	v_cmp_ngt_f32_e32 vcc_lo, 0xc2ce8ed0, v1
	v_fma_f32 v5, 0x3fb8aa3b, v1, -v4
	v_rndne_f32_e32 v6, v4
	s_delay_alu instid0(VALU_DEP_1) | instskip(NEXT) | instid1(VALU_DEP_1)
	v_dual_fmac_f32 v5, 0x32a5705f, v1 :: v_dual_sub_f32 v4, v4, v6
	v_add_f32_e32 v4, v4, v5
	v_cvt_i32_f32_e32 v5, v6
	s_delay_alu instid0(VALU_DEP_2) | instskip(SKIP_2) | instid1(VALU_DEP_1)
	v_exp_f32_e32 v4, v4
	s_waitcnt_depctr 0xfff
	v_ldexp_f32 v4, v4, v5
	v_cndmask_b32_e32 v4, 0, v4, vcc_lo
	v_cmp_nlt_f32_e32 vcc_lo, 0x42b17218, v1
	s_delay_alu instid0(VALU_DEP_2) | instskip(SKIP_4) | instid1(VALU_DEP_1)
	v_cndmask_b32_e32 v1, 0x7f800000, v4, vcc_lo
	scratch_load_b96 v[4:6], off, off offset:80
	v_add_f32_e32 v0, v0, v1
	s_waitcnt vmcnt(0)
	v_sub_f32_e32 v1, v4, v7
	v_mul_f32_e32 v4, 0x3fb8aa3b, v1
	v_cmp_ngt_f32_e32 vcc_lo, 0xc2ce8ed0, v1
	s_delay_alu instid0(VALU_DEP_2) | instskip(SKIP_1) | instid1(VALU_DEP_2)
	v_fma_f32 v8, 0x3fb8aa3b, v1, -v4
	v_rndne_f32_e32 v9, v4
	v_fmac_f32_e32 v8, 0x32a5705f, v1
	s_delay_alu instid0(VALU_DEP_2) | instskip(NEXT) | instid1(VALU_DEP_1)
	v_sub_f32_e32 v4, v4, v9
	v_add_f32_e32 v4, v4, v8
	v_cvt_i32_f32_e32 v8, v9
	s_delay_alu instid0(VALU_DEP_2) | instskip(SKIP_2) | instid1(VALU_DEP_1)
	v_exp_f32_e32 v4, v4
	s_waitcnt_depctr 0xfff
	v_ldexp_f32 v4, v4, v8
	v_cndmask_b32_e32 v4, 0, v4, vcc_lo
	v_cmp_nlt_f32_e32 vcc_lo, 0x42b17218, v1
	s_delay_alu instid0(VALU_DEP_2) | instskip(NEXT) | instid1(VALU_DEP_1)
	v_cndmask_b32_e32 v1, 0x7f800000, v4, vcc_lo
	v_dual_add_f32 v0, v0, v1 :: v_dual_sub_f32 v1, v5, v7
	s_delay_alu instid0(VALU_DEP_1) | instskip(SKIP_1) | instid1(VALU_DEP_2)
	v_mul_f32_e32 v4, 0x3fb8aa3b, v1
	v_cmp_ngt_f32_e32 vcc_lo, 0xc2ce8ed0, v1
	v_fma_f32 v5, 0x3fb8aa3b, v1, -v4
	v_rndne_f32_e32 v8, v4
	s_delay_alu instid0(VALU_DEP_1) | instskip(NEXT) | instid1(VALU_DEP_1)
	v_dual_fmac_f32 v5, 0x32a5705f, v1 :: v_dual_sub_f32 v4, v4, v8
	v_add_f32_e32 v4, v4, v5
	v_cvt_i32_f32_e32 v5, v8
	s_delay_alu instid0(VALU_DEP_2) | instskip(SKIP_2) | instid1(VALU_DEP_1)
	v_exp_f32_e32 v4, v4
	s_waitcnt_depctr 0xfff
	v_ldexp_f32 v4, v4, v5
	v_cndmask_b32_e32 v4, 0, v4, vcc_lo
	v_cmp_nlt_f32_e32 vcc_lo, 0x42b17218, v1
	s_delay_alu instid0(VALU_DEP_2) | instskip(NEXT) | instid1(VALU_DEP_1)
	v_cndmask_b32_e32 v1, 0x7f800000, v4, vcc_lo
	v_dual_add_f32 v0, v0, v1 :: v_dual_sub_f32 v1, v6, v7
	s_delay_alu instid0(VALU_DEP_1) | instskip(SKIP_1) | instid1(VALU_DEP_2)
	v_mul_f32_e32 v4, 0x3fb8aa3b, v1
	v_cmp_ngt_f32_e32 vcc_lo, 0xc2ce8ed0, v1
	v_fma_f32 v5, 0x3fb8aa3b, v1, -v4
	v_rndne_f32_e32 v6, v4
	s_delay_alu instid0(VALU_DEP_1) | instskip(NEXT) | instid1(VALU_DEP_1)
	v_dual_fmac_f32 v5, 0x32a5705f, v1 :: v_dual_sub_f32 v4, v4, v6
	v_add_f32_e32 v4, v4, v5
	v_cvt_i32_f32_e32 v5, v6
	s_delay_alu instid0(VALU_DEP_2) | instskip(SKIP_2) | instid1(VALU_DEP_1)
	v_exp_f32_e32 v4, v4
	s_waitcnt_depctr 0xfff
	v_ldexp_f32 v4, v4, v5
	v_cndmask_b32_e32 v4, 0, v4, vcc_lo
	v_cmp_nlt_f32_e32 vcc_lo, 0x42b17218, v1
	s_delay_alu instid0(VALU_DEP_2) | instskip(NEXT) | instid1(VALU_DEP_1)
	v_cndmask_b32_e32 v1, 0x7f800000, v4, vcc_lo
	v_dual_add_f32 v0, v0, v1 :: v_dual_sub_f32 v1, v2, v7
	s_delay_alu instid0(VALU_DEP_1) | instskip(SKIP_1) | instid1(VALU_DEP_2)
	v_mul_f32_e32 v2, 0x3fb8aa3b, v1
	v_cmp_ngt_f32_e32 vcc_lo, 0xc2ce8ed0, v1
	v_fma_f32 v4, 0x3fb8aa3b, v1, -v2
	v_rndne_f32_e32 v5, v2
	s_delay_alu instid0(VALU_DEP_2) | instskip(NEXT) | instid1(VALU_DEP_2)
	v_fmac_f32_e32 v4, 0x32a5705f, v1
	v_sub_f32_e32 v2, v2, v5
	s_delay_alu instid0(VALU_DEP_1) | instskip(SKIP_1) | instid1(VALU_DEP_2)
	v_add_f32_e32 v2, v2, v4
	v_cvt_i32_f32_e32 v4, v5
	v_exp_f32_e32 v2, v2
	s_waitcnt_depctr 0xfff
	v_ldexp_f32 v2, v2, v4
	s_delay_alu instid0(VALU_DEP_1) | instskip(SKIP_1) | instid1(VALU_DEP_2)
	v_cndmask_b32_e32 v2, 0, v2, vcc_lo
	v_cmp_nlt_f32_e32 vcc_lo, 0x42b17218, v1
	v_cndmask_b32_e32 v1, 0x7f800000, v2, vcc_lo
	s_delay_alu instid0(VALU_DEP_1) | instskip(NEXT) | instid1(VALU_DEP_1)
	v_dual_add_f32 v0, v0, v1 :: v_dual_sub_f32 v1, v3, v7
	v_mul_f32_e32 v2, 0x3fb8aa3b, v1
	v_cmp_ngt_f32_e32 vcc_lo, 0xc2ce8ed0, v1
	s_delay_alu instid0(VALU_DEP_2) | instskip(SKIP_1) | instid1(VALU_DEP_1)
	v_fma_f32 v3, 0x3fb8aa3b, v1, -v2
	v_rndne_f32_e32 v4, v2
	v_dual_fmac_f32 v3, 0x32a5705f, v1 :: v_dual_sub_f32 v2, v2, v4
	s_delay_alu instid0(VALU_DEP_1) | instskip(SKIP_1) | instid1(VALU_DEP_2)
	v_add_f32_e32 v2, v2, v3
	v_cvt_i32_f32_e32 v3, v4
	v_exp_f32_e32 v2, v2
	s_waitcnt_depctr 0xfff
	v_ldexp_f32 v2, v2, v3
	s_delay_alu instid0(VALU_DEP_1) | instskip(SKIP_1) | instid1(VALU_DEP_2)
	v_cndmask_b32_e32 v2, 0, v2, vcc_lo
	v_cmp_nlt_f32_e32 vcc_lo, 0x42b17218, v1
	v_cndmask_b32_e32 v1, 0x7f800000, v2, vcc_lo
	s_delay_alu instid0(VALU_DEP_1) | instskip(SKIP_4) | instid1(VALU_DEP_2)
	v_add_f32_e32 v4, v0, v1
	scratch_load_b128 v[0:3], off, off offset:100
	s_waitcnt vmcnt(0)
	v_sub_f32_e32 v0, v0, v7
	v_sub_f32_e32 v1, v1, v7
	v_mul_f32_e32 v5, 0x3fb8aa3b, v0
	v_cmp_ngt_f32_e32 vcc_lo, 0xc2ce8ed0, v0
	s_delay_alu instid0(VALU_DEP_2) | instskip(SKIP_1) | instid1(VALU_DEP_2)
	v_fma_f32 v6, 0x3fb8aa3b, v0, -v5
	v_rndne_f32_e32 v8, v5
	v_fmac_f32_e32 v6, 0x32a5705f, v0
	s_delay_alu instid0(VALU_DEP_2) | instskip(NEXT) | instid1(VALU_DEP_1)
	v_sub_f32_e32 v5, v5, v8
	v_add_f32_e32 v5, v5, v6
	v_cvt_i32_f32_e32 v6, v8
	s_delay_alu instid0(VALU_DEP_2) | instskip(SKIP_2) | instid1(VALU_DEP_1)
	v_exp_f32_e32 v5, v5
	s_waitcnt_depctr 0xfff
	v_ldexp_f32 v5, v5, v6
	v_cndmask_b32_e32 v5, 0, v5, vcc_lo
	v_cmp_nlt_f32_e32 vcc_lo, 0x42b17218, v0
	s_delay_alu instid0(VALU_DEP_2) | instskip(SKIP_1) | instid1(VALU_DEP_2)
	v_cndmask_b32_e32 v0, 0x7f800000, v5, vcc_lo
	v_cmp_ngt_f32_e32 vcc_lo, 0xc2ce8ed0, v1
	v_add_f32_e32 v0, v4, v0
	v_mul_f32_e32 v4, 0x3fb8aa3b, v1
	s_delay_alu instid0(VALU_DEP_1) | instskip(SKIP_1) | instid1(VALU_DEP_1)
	v_fma_f32 v5, 0x3fb8aa3b, v1, -v4
	v_rndne_f32_e32 v6, v4
	v_dual_fmac_f32 v5, 0x32a5705f, v1 :: v_dual_sub_f32 v4, v4, v6
	s_delay_alu instid0(VALU_DEP_1) | instskip(SKIP_1) | instid1(VALU_DEP_2)
	v_add_f32_e32 v4, v4, v5
	v_cvt_i32_f32_e32 v5, v6
	v_exp_f32_e32 v4, v4
	s_waitcnt_depctr 0xfff
	v_ldexp_f32 v4, v4, v5
	s_delay_alu instid0(VALU_DEP_1) | instskip(SKIP_1) | instid1(VALU_DEP_2)
	v_cndmask_b32_e32 v4, 0, v4, vcc_lo
	v_cmp_nlt_f32_e32 vcc_lo, 0x42b17218, v1
	v_cndmask_b32_e32 v1, 0x7f800000, v4, vcc_lo
	s_delay_alu instid0(VALU_DEP_1) | instskip(NEXT) | instid1(VALU_DEP_1)
	v_dual_add_f32 v0, v0, v1 :: v_dual_sub_f32 v1, v2, v7
	v_mul_f32_e32 v2, 0x3fb8aa3b, v1
	v_cmp_ngt_f32_e32 vcc_lo, 0xc2ce8ed0, v1
	s_delay_alu instid0(VALU_DEP_2) | instskip(SKIP_1) | instid1(VALU_DEP_2)
	v_fma_f32 v4, 0x3fb8aa3b, v1, -v2
	v_rndne_f32_e32 v5, v2
	v_fmac_f32_e32 v4, 0x32a5705f, v1
	s_delay_alu instid0(VALU_DEP_2) | instskip(NEXT) | instid1(VALU_DEP_1)
	v_sub_f32_e32 v2, v2, v5
	v_add_f32_e32 v2, v2, v4
	v_cvt_i32_f32_e32 v4, v5
	s_delay_alu instid0(VALU_DEP_2) | instskip(SKIP_2) | instid1(VALU_DEP_1)
	v_exp_f32_e32 v2, v2
	s_waitcnt_depctr 0xfff
	v_ldexp_f32 v2, v2, v4
	v_cndmask_b32_e32 v2, 0, v2, vcc_lo
	v_cmp_nlt_f32_e32 vcc_lo, 0x42b17218, v1
	s_delay_alu instid0(VALU_DEP_2) | instskip(NEXT) | instid1(VALU_DEP_1)
	v_cndmask_b32_e32 v1, 0x7f800000, v2, vcc_lo
	v_dual_add_f32 v0, v0, v1 :: v_dual_sub_f32 v1, v3, v7
	s_delay_alu instid0(VALU_DEP_1) | instskip(SKIP_1) | instid1(VALU_DEP_2)
	v_mul_f32_e32 v2, 0x3fb8aa3b, v1
	v_cmp_ngt_f32_e32 vcc_lo, 0xc2ce8ed0, v1
	v_fma_f32 v3, 0x3fb8aa3b, v1, -v2
	v_rndne_f32_e32 v4, v2
	s_delay_alu instid0(VALU_DEP_1) | instskip(NEXT) | instid1(VALU_DEP_1)
	v_dual_fmac_f32 v3, 0x32a5705f, v1 :: v_dual_sub_f32 v2, v2, v4
	v_add_f32_e32 v2, v2, v3
	v_cvt_i32_f32_e32 v3, v4
	s_delay_alu instid0(VALU_DEP_2) | instskip(SKIP_2) | instid1(VALU_DEP_1)
	v_exp_f32_e32 v2, v2
	s_waitcnt_depctr 0xfff
	v_ldexp_f32 v2, v2, v3
	v_cndmask_b32_e32 v2, 0, v2, vcc_lo
	v_cmp_nlt_f32_e32 vcc_lo, 0x42b17218, v1
	s_delay_alu instid0(VALU_DEP_2) | instskip(NEXT) | instid1(VALU_DEP_1)
	v_cndmask_b32_e32 v1, 0x7f800000, v2, vcc_lo
	v_add_f32_e32 v3, v0, v1
	scratch_load_b96 v[0:2], off, off offset:116
	s_waitcnt vmcnt(0)
	v_sub_f32_e32 v0, v0, v7
	s_delay_alu instid0(VALU_DEP_1) | instskip(SKIP_1) | instid1(VALU_DEP_2)
	v_dual_sub_f32 v1, v1, v7 :: v_dual_mul_f32 v4, 0x3fb8aa3b, v0
	v_cmp_ngt_f32_e32 vcc_lo, 0xc2ce8ed0, v0
	v_fma_f32 v5, 0x3fb8aa3b, v0, -v4
	v_rndne_f32_e32 v6, v4
	s_delay_alu instid0(VALU_DEP_1) | instskip(NEXT) | instid1(VALU_DEP_1)
	v_dual_fmac_f32 v5, 0x32a5705f, v0 :: v_dual_sub_f32 v4, v4, v6
	v_add_f32_e32 v4, v4, v5
	v_cvt_i32_f32_e32 v5, v6
	s_delay_alu instid0(VALU_DEP_2) | instskip(SKIP_2) | instid1(VALU_DEP_1)
	v_exp_f32_e32 v4, v4
	s_waitcnt_depctr 0xfff
	v_ldexp_f32 v4, v4, v5
	v_cndmask_b32_e32 v4, 0, v4, vcc_lo
	v_cmp_nlt_f32_e32 vcc_lo, 0x42b17218, v0
	s_delay_alu instid0(VALU_DEP_2) | instskip(SKIP_1) | instid1(VALU_DEP_2)
	v_cndmask_b32_e32 v0, 0x7f800000, v4, vcc_lo
	v_cmp_ngt_f32_e32 vcc_lo, 0xc2ce8ed0, v1
	v_dual_add_f32 v0, v3, v0 :: v_dual_mul_f32 v3, 0x3fb8aa3b, v1
	s_delay_alu instid0(VALU_DEP_1) | instskip(SKIP_1) | instid1(VALU_DEP_2)
	v_fma_f32 v4, 0x3fb8aa3b, v1, -v3
	v_rndne_f32_e32 v5, v3
	v_fmac_f32_e32 v4, 0x32a5705f, v1
	s_delay_alu instid0(VALU_DEP_2) | instskip(NEXT) | instid1(VALU_DEP_1)
	v_sub_f32_e32 v3, v3, v5
	v_add_f32_e32 v3, v3, v4
	v_cvt_i32_f32_e32 v4, v5
	s_delay_alu instid0(VALU_DEP_2) | instskip(SKIP_2) | instid1(VALU_DEP_1)
	v_exp_f32_e32 v3, v3
	s_waitcnt_depctr 0xfff
	v_ldexp_f32 v3, v3, v4
	v_cndmask_b32_e32 v3, 0, v3, vcc_lo
	v_cmp_nlt_f32_e32 vcc_lo, 0x42b17218, v1
	s_delay_alu instid0(VALU_DEP_2) | instskip(NEXT) | instid1(VALU_DEP_1)
	v_cndmask_b32_e32 v1, 0x7f800000, v3, vcc_lo
	v_dual_add_f32 v0, v0, v1 :: v_dual_sub_f32 v1, v2, v7
	s_delay_alu instid0(VALU_DEP_1) | instskip(SKIP_1) | instid1(VALU_DEP_2)
	v_mul_f32_e32 v2, 0x3fb8aa3b, v1
	v_cmp_ngt_f32_e32 vcc_lo, 0xc2ce8ed0, v1
	v_fma_f32 v3, 0x3fb8aa3b, v1, -v2
	v_rndne_f32_e32 v4, v2
	s_delay_alu instid0(VALU_DEP_1) | instskip(NEXT) | instid1(VALU_DEP_1)
	v_dual_fmac_f32 v3, 0x32a5705f, v1 :: v_dual_sub_f32 v2, v2, v4
	v_add_f32_e32 v2, v2, v3
	v_cvt_i32_f32_e32 v3, v4
	s_delay_alu instid0(VALU_DEP_2) | instskip(SKIP_2) | instid1(VALU_DEP_1)
	v_exp_f32_e32 v2, v2
	s_waitcnt_depctr 0xfff
	v_ldexp_f32 v2, v2, v3
	v_cndmask_b32_e32 v2, 0, v2, vcc_lo
	v_cmp_nlt_f32_e32 vcc_lo, 0x42b17218, v1
	s_delay_alu instid0(VALU_DEP_2) | instskip(SKIP_1) | instid1(VALU_DEP_2)
	v_cndmask_b32_e32 v1, 0x7f800000, v2, vcc_lo
	v_cmp_eq_u32_e32 vcc_lo, 0, v30
	v_add_f32_e32 v0, v0, v1
	s_delay_alu instid0(VALU_DEP_1) | instskip(NEXT) | instid1(VALU_DEP_1)
	v_mov_b32_dpp v1, v0 quad_perm:[1,0,3,2] row_mask:0xf bank_mask:0xf
	v_add_f32_e32 v0, v0, v1
	s_delay_alu instid0(VALU_DEP_1) | instskip(NEXT) | instid1(VALU_DEP_1)
	v_mov_b32_dpp v1, v0 quad_perm:[2,3,0,1] row_mask:0xf bank_mask:0xf
	v_add_f32_e32 v0, v0, v1
	s_delay_alu instid0(VALU_DEP_1) | instskip(NEXT) | instid1(VALU_DEP_1)
	v_mov_b32_dpp v1, v0 row_half_mirror row_mask:0xf bank_mask:0xf
	v_add_f32_e32 v0, v0, v1
	s_delay_alu instid0(VALU_DEP_1)
	v_mov_b32_dpp v1, v0 row_mirror row_mask:0xf bank_mask:0xf
	s_and_b32 exec_lo, exec_lo, vcc_lo
	s_cbranch_execz .LBB203_24
; %bb.20:
	s_delay_alu instid0(VALU_DEP_1) | instskip(NEXT) | instid1(VALU_DEP_1)
	v_add_f32_e32 v0, v0, v1
	v_add_f32_e32 v0, v31, v0
	s_delay_alu instid0(VALU_DEP_1)
	v_cmp_neq_f32_e32 vcc_lo, 0, v0
	s_and_b32 exec_lo, exec_lo, vcc_lo
	s_cbranch_execz .LBB203_24
; %bb.21:
	s_and_not1_b32 vcc_lo, exec_lo, s3
	s_cbranch_vccnz .LBB203_24
; %bb.22:
	v_div_scale_f32 v2, null, v0, v0, 1.0
	v_div_scale_f32 v4, vcc_lo, 1.0, v0, 1.0
	s_delay_alu instid0(VALU_DEP_2) | instskip(SKIP_2) | instid1(VALU_DEP_1)
	v_rcp_f32_e32 v3, v2
	s_waitcnt_depctr 0xfff
	v_fma_f32 v1, -v2, v3, 1.0
	v_fmac_f32_e32 v3, v1, v3
	v_mul_lo_u32 v1, v29, s7
	s_delay_alu instid0(VALU_DEP_2) | instskip(NEXT) | instid1(VALU_DEP_1)
	v_mul_f32_e32 v5, v4, v3
	v_fma_f32 v6, -v2, v5, v4
	s_delay_alu instid0(VALU_DEP_1) | instskip(NEXT) | instid1(VALU_DEP_1)
	v_fmac_f32_e32 v5, v6, v3
	v_fma_f32 v4, -v2, v5, v4
	v_ashrrev_i32_e32 v2, 31, v1
	s_delay_alu instid0(VALU_DEP_2) | instskip(NEXT) | instid1(VALU_DEP_2)
	v_div_fmas_f32 v5, v4, v3, v5
	v_lshlrev_b64 v[3:4], 2, v[1:2]
	s_delay_alu instid0(VALU_DEP_2) | instskip(NEXT) | instid1(VALU_DEP_2)
	v_div_fixup_f32 v2, v5, v0, 1.0
	v_add_co_u32 v0, vcc_lo, s12, v3
	s_delay_alu instid0(VALU_DEP_3)
	v_add_co_ci_u32_e32 v1, vcc_lo, s13, v4, vcc_lo
.LBB203_23:                             ; =>This Inner Loop Header: Depth=1
	global_load_b32 v3, v[0:1], off
	s_add_i32 s4, s4, -1
	s_delay_alu instid0(SALU_CYCLE_1)
	s_cmp_lg_u32 s4, 0
	s_waitcnt vmcnt(0)
	v_mul_f32_e32 v3, v2, v3
	global_store_b32 v[0:1], v3, off
	v_add_co_u32 v0, vcc_lo, v0, 4
	v_add_co_ci_u32_e32 v1, vcc_lo, 0, v1, vcc_lo
	s_cbranch_scc1 .LBB203_23
.LBB203_24:
	s_endpgm
	.section	.rodata,"a",@progbits
	.p2align	6, 0x0
	.amdhsa_kernel _ZN4vllm3moe17topkGatingSoftmaxIDF16_Li32ELi512ELi2ELi64ELb0ELi4ELNS0_23SharedExpertScoringFuncE1EEEvPKT_PKbPfiPiS9_iiiiii
		.amdhsa_group_segment_fixed_size 0
		.amdhsa_private_segment_fixed_size 144
		.amdhsa_kernarg_size 72
		.amdhsa_user_sgpr_count 15
		.amdhsa_user_sgpr_dispatch_ptr 0
		.amdhsa_user_sgpr_queue_ptr 0
		.amdhsa_user_sgpr_kernarg_segment_ptr 1
		.amdhsa_user_sgpr_dispatch_id 0
		.amdhsa_user_sgpr_private_segment_size 0
		.amdhsa_wavefront_size32 1
		.amdhsa_uses_dynamic_stack 0
		.amdhsa_enable_private_segment 1
		.amdhsa_system_sgpr_workgroup_id_x 1
		.amdhsa_system_sgpr_workgroup_id_y 0
		.amdhsa_system_sgpr_workgroup_id_z 0
		.amdhsa_system_sgpr_workgroup_info 0
		.amdhsa_system_vgpr_workitem_id 1
		.amdhsa_next_free_vgpr 77
		.amdhsa_next_free_sgpr 19
		.amdhsa_reserve_vcc 1
		.amdhsa_float_round_mode_32 0
		.amdhsa_float_round_mode_16_64 0
		.amdhsa_float_denorm_mode_32 3
		.amdhsa_float_denorm_mode_16_64 3
		.amdhsa_dx10_clamp 1
		.amdhsa_ieee_mode 1
		.amdhsa_fp16_overflow 0
		.amdhsa_workgroup_processor_mode 1
		.amdhsa_memory_ordered 1
		.amdhsa_forward_progress 0
		.amdhsa_shared_vgpr_count 0
		.amdhsa_exception_fp_ieee_invalid_op 0
		.amdhsa_exception_fp_denorm_src 0
		.amdhsa_exception_fp_ieee_div_zero 0
		.amdhsa_exception_fp_ieee_overflow 0
		.amdhsa_exception_fp_ieee_underflow 0
		.amdhsa_exception_fp_ieee_inexact 0
		.amdhsa_exception_int_div_zero 0
	.end_amdhsa_kernel
	.section	.text._ZN4vllm3moe17topkGatingSoftmaxIDF16_Li32ELi512ELi2ELi64ELb0ELi4ELNS0_23SharedExpertScoringFuncE1EEEvPKT_PKbPfiPiS9_iiiiii,"axG",@progbits,_ZN4vllm3moe17topkGatingSoftmaxIDF16_Li32ELi512ELi2ELi64ELb0ELi4ELNS0_23SharedExpertScoringFuncE1EEEvPKT_PKbPfiPiS9_iiiiii,comdat
.Lfunc_end203:
	.size	_ZN4vllm3moe17topkGatingSoftmaxIDF16_Li32ELi512ELi2ELi64ELb0ELi4ELNS0_23SharedExpertScoringFuncE1EEEvPKT_PKbPfiPiS9_iiiiii, .Lfunc_end203-_ZN4vllm3moe17topkGatingSoftmaxIDF16_Li32ELi512ELi2ELi64ELb0ELi4ELNS0_23SharedExpertScoringFuncE1EEEvPKT_PKbPfiPiS9_iiiiii
                                        ; -- End function
	.section	.AMDGPU.csdata,"",@progbits
; Kernel info:
; codeLenInByte = 8168
; NumSgprs: 21
; NumVgprs: 77
; ScratchSize: 144
; MemoryBound: 0
; FloatMode: 240
; IeeeMode: 1
; LDSByteSize: 0 bytes/workgroup (compile time only)
; SGPRBlocks: 2
; VGPRBlocks: 9
; NumSGPRsForWavesPerEU: 21
; NumVGPRsForWavesPerEU: 77
; Occupancy: 16
; WaveLimiterHint : 0
; COMPUTE_PGM_RSRC2:SCRATCH_EN: 1
; COMPUTE_PGM_RSRC2:USER_SGPR: 15
; COMPUTE_PGM_RSRC2:TRAP_HANDLER: 0
; COMPUTE_PGM_RSRC2:TGID_X_EN: 1
; COMPUTE_PGM_RSRC2:TGID_Y_EN: 0
; COMPUTE_PGM_RSRC2:TGID_Z_EN: 0
; COMPUTE_PGM_RSRC2:TIDIG_COMP_CNT: 1
	.section	.text._ZN4vllm3moe17topkGatingSoftmaxIDF16_Li32ELi512ELi2ELi64ELb1ELi8ELNS0_23SharedExpertScoringFuncE1EEEvPKT_PKbPfiPiS9_iiiiii,"axG",@progbits,_ZN4vllm3moe17topkGatingSoftmaxIDF16_Li32ELi512ELi2ELi64ELb1ELi8ELNS0_23SharedExpertScoringFuncE1EEEvPKT_PKbPfiPiS9_iiiiii,comdat
	.protected	_ZN4vllm3moe17topkGatingSoftmaxIDF16_Li32ELi512ELi2ELi64ELb1ELi8ELNS0_23SharedExpertScoringFuncE1EEEvPKT_PKbPfiPiS9_iiiiii ; -- Begin function _ZN4vllm3moe17topkGatingSoftmaxIDF16_Li32ELi512ELi2ELi64ELb1ELi8ELNS0_23SharedExpertScoringFuncE1EEEvPKT_PKbPfiPiS9_iiiiii
	.globl	_ZN4vllm3moe17topkGatingSoftmaxIDF16_Li32ELi512ELi2ELi64ELb1ELi8ELNS0_23SharedExpertScoringFuncE1EEEvPKT_PKbPfiPiS9_iiiiii
	.p2align	8
	.type	_ZN4vllm3moe17topkGatingSoftmaxIDF16_Li32ELi512ELi2ELi64ELb1ELi8ELNS0_23SharedExpertScoringFuncE1EEEvPKT_PKbPfiPiS9_iiiiii,@function
_ZN4vllm3moe17topkGatingSoftmaxIDF16_Li32ELi512ELi2ELi64ELb1ELi8ELNS0_23SharedExpertScoringFuncE1EEEvPKT_PKbPfiPiS9_iiiiii: ; @_ZN4vllm3moe17topkGatingSoftmaxIDF16_Li32ELi512ELi2ELi64ELb1ELi8ELNS0_23SharedExpertScoringFuncE1EEEvPKT_PKbPfiPiS9_iiiiii
; %bb.0:
	s_load_b32 s16, s[0:1], 0x18
	v_bfe_u32 v1, v0, 10, 10
	v_and_b32_e32 v0, 0x3ff, v0
	s_lshl_b32 s18, s15, 2
	s_mov_b32 s2, exec_lo
	s_delay_alu instid0(VALU_DEP_2) | instskip(NEXT) | instid1(VALU_DEP_2)
	v_lshlrev_b32_e32 v29, 1, v1
	v_lshrrev_b32_e32 v30, 4, v0
	s_delay_alu instid0(VALU_DEP_1) | instskip(SKIP_1) | instid1(VALU_DEP_1)
	v_add3_u32 v25, s18, v29, v30
	s_waitcnt lgkmcnt(0)
	v_cmpx_gt_i32_e64 s16, v25
	s_cbranch_execz .LBB204_22
; %bb.1:
	s_clause 0x1
	s_load_b128 s[4:7], s[0:1], 0x0
	s_load_b64 s[12:13], s[0:1], 0x10
	s_waitcnt lgkmcnt(0)
	s_cmp_eq_u64 s[6:7], 0
	s_cbranch_scc1 .LBB204_3
; %bb.2:
	v_ashrrev_i32_e32 v2, 31, v25
	v_add_co_u32 v1, vcc_lo, s6, v25
	s_delay_alu instid0(VALU_DEP_2) | instskip(SKIP_3) | instid1(VALU_DEP_1)
	v_add_co_ci_u32_e32 v2, vcc_lo, s7, v2, vcc_lo
	global_load_u8 v1, v[1:2], off
	s_waitcnt vmcnt(0)
	v_and_b32_e32 v1, 1, v1
	v_cmp_eq_u32_e32 vcc_lo, 1, v1
	s_xor_b32 s2, vcc_lo, -1
	s_delay_alu instid0(SALU_CYCLE_1)
	s_or_not1_b32 s17, s2, exec_lo
	s_branch .LBB204_4
.LBB204_3:
	s_mov_b32 s17, -1
.LBB204_4:
	s_load_b64 s[14:15], s[0:1], 0x40
	v_and_b32_e32 v26, 15, v0
	s_delay_alu instid0(VALU_DEP_1) | instskip(SKIP_2) | instid1(VALU_DEP_1)
	v_dual_mov_b32 v28, 0 :: v_dual_lshlrev_b32 v27, 5, v26
	s_waitcnt lgkmcnt(0)
	v_mul_lo_u32 v1, v25, s15
	v_ashrrev_i32_e32 v2, 31, v1
	s_delay_alu instid0(VALU_DEP_1) | instskip(SKIP_1) | instid1(VALU_DEP_2)
	v_lshlrev_b64 v[0:1], 1, v[1:2]
	v_lshlrev_b32_e32 v2, 6, v26
	v_add_co_u32 v32, vcc_lo, s4, v0
	s_delay_alu instid0(VALU_DEP_3) | instskip(SKIP_1) | instid1(VALU_DEP_2)
	v_add_co_ci_u32_e32 v33, vcc_lo, s5, v1, vcc_lo
	s_load_b128 s[4:7], s[0:1], 0x30
	v_add_co_u32 v8, vcc_lo, v32, v2
	s_delay_alu instid0(VALU_DEP_2)
	v_add_co_ci_u32_e32 v9, vcc_lo, 0, v33, vcc_lo
	v_cmp_gt_u32_e32 vcc_lo, 8, v26
	s_clause 0x3
	global_load_b128 v[0:3], v[8:9], off
	global_load_b128 v[4:7], v[8:9], off offset:16
	global_load_b128 v[34:37], v[8:9], off offset:32
	;; [unrolled: 1-line block ×3, first 2 shown]
	s_waitcnt vmcnt(3)
	v_lshrrev_b32_e32 v31, 16, v0
	v_cvt_f32_f16_e32 v23, v1
	v_lshrrev_b32_e32 v8, 16, v1
	v_cvt_f32_f16_e32 v17, v2
	v_lshrrev_b32_e32 v2, 16, v2
	v_cvt_f32_f16_e32 v19, v3
	v_lshrrev_b32_e32 v10, 16, v3
	s_waitcnt vmcnt(2)
	v_cvt_f32_f16_e32 v13, v4
	v_lshrrev_b32_e32 v4, 16, v4
	v_cvt_f32_f16_e32 v15, v5
	v_lshrrev_b32_e32 v12, 16, v5
	v_cvt_f32_f16_e32 v9, v6
	v_lshrrev_b32_e32 v6, 16, v6
	v_cvt_f32_f16_e32 v11, v7
	v_lshrrev_b32_e32 v42, 16, v7
	s_waitcnt vmcnt(1)
	v_cvt_f32_f16_e32 v1, v34
	;; [unrolled: 9-line block ×3, first 2 shown]
	v_lshrrev_b32_e32 v37, 16, v38
	v_cvt_f32_f16_e32 v36, v39
	v_lshrrev_b32_e32 v46, 16, v39
	v_cvt_f32_f16_e32 v38, v40
	;; [unrolled: 2-line block ×4, first 2 shown]
	v_cvt_f32_f16_e32 v22, v31
	v_cvt_f32_f16_e32 v24, v8
	;; [unrolled: 1-line block ×16, first 2 shown]
	s_clause 0x7
	scratch_store_b128 off, v[38:41], off offset:112
	scratch_store_b128 off, v[34:37], off offset:96
	;; [unrolled: 1-line block ×7, first 2 shown]
	scratch_store_b128 off, v[21:24], off
	s_and_saveexec_b32 s2, vcc_lo
	s_cbranch_execz .LBB204_6
; %bb.5:
	v_lshlrev_b32_e32 v6, 1, v26
	s_mov_b32 s3, 0x3fb8aa3b
	s_delay_alu instid0(VALU_DEP_1) | instskip(SKIP_4) | instid1(VALU_DEP_1)
	v_add_co_u32 v6, vcc_lo, v32, v6
	v_add_co_ci_u32_e32 v7, vcc_lo, 0, v33, vcc_lo
	global_load_u16 v6, v[6:7], off offset:1024
	s_waitcnt vmcnt(0)
	v_cvt_f32_f16_e64 v7, -v6
	v_mul_f32_e32 v8, 0x3fb8aa3b, v7
	v_cmp_ngt_f32_e32 vcc_lo, 0xc2ce8ed0, v7
	s_delay_alu instid0(VALU_DEP_2)
	v_fma_mix_f32 v32, -v6, s3, -v8 op_sel_hi:[1,0,0]
	v_rndne_f32_e32 v33, v8
	s_mov_b32 s3, 0x32a5705f
	s_delay_alu instid0(VALU_DEP_2) | instid1(SALU_CYCLE_1)
	v_fma_mix_f32 v6, -v6, s3, v32 op_sel_hi:[1,0,0]
	s_delay_alu instid0(VALU_DEP_2) | instskip(NEXT) | instid1(VALU_DEP_1)
	v_sub_f32_e32 v8, v8, v33
	v_add_f32_e32 v6, v8, v6
	v_cvt_i32_f32_e32 v8, v33
	s_delay_alu instid0(VALU_DEP_2) | instskip(SKIP_2) | instid1(VALU_DEP_1)
	v_exp_f32_e32 v6, v6
	s_waitcnt_depctr 0xfff
	v_ldexp_f32 v6, v6, v8
	v_cndmask_b32_e32 v6, 0, v6, vcc_lo
	v_cmp_nlt_f32_e32 vcc_lo, 0x42b17218, v7
	s_delay_alu instid0(VALU_DEP_2) | instskip(NEXT) | instid1(VALU_DEP_1)
	v_cndmask_b32_e32 v6, 0x7f800000, v6, vcc_lo
	v_add_f32_e32 v8, 1.0, v6
	s_delay_alu instid0(VALU_DEP_1) | instskip(SKIP_1) | instid1(VALU_DEP_2)
	v_div_scale_f32 v7, null, v8, v8, 1.0
	v_div_scale_f32 v33, vcc_lo, 1.0, v8, 1.0
	v_rcp_f32_e32 v32, v7
	s_waitcnt_depctr 0xfff
	v_fma_f32 v6, -v7, v32, 1.0
	s_delay_alu instid0(VALU_DEP_1) | instskip(SKIP_2) | instid1(VALU_DEP_2)
	v_fmac_f32_e32 v32, v6, v32
	s_waitcnt lgkmcnt(0)
	v_mul_lo_u32 v6, v25, s7
	v_mul_f32_e32 v34, v33, v32
	s_delay_alu instid0(VALU_DEP_2) | instskip(NEXT) | instid1(VALU_DEP_2)
	v_add3_u32 v6, v6, s4, v26
	v_fma_f32 v35, -v7, v34, v33
	s_delay_alu instid0(VALU_DEP_1) | instskip(NEXT) | instid1(VALU_DEP_1)
	v_fmac_f32_e32 v34, v35, v32
	v_fma_f32 v33, -v7, v34, v33
	s_delay_alu instid0(VALU_DEP_4) | instskip(NEXT) | instid1(VALU_DEP_2)
	v_ashrrev_i32_e32 v7, 31, v6
	v_div_fmas_f32 v32, v33, v32, v34
	s_delay_alu instid0(VALU_DEP_2) | instskip(NEXT) | instid1(VALU_DEP_2)
	v_lshlrev_b64 v[6:7], 2, v[6:7]
	v_div_fixup_f32 v8, v32, v8, 1.0
	s_delay_alu instid0(VALU_DEP_2) | instskip(NEXT) | instid1(VALU_DEP_3)
	v_add_co_u32 v6, vcc_lo, s12, v6
	v_add_co_ci_u32_e32 v7, vcc_lo, s13, v7, vcc_lo
	global_store_b32 v[6:7], v8, off
.LBB204_6:
	s_or_b32 exec_lo, exec_lo, s2
	s_clause 0x2
	scratch_load_b128 v[34:37], off, off offset:84
	scratch_load_b128 v[38:41], off, off offset:100
	scratch_load_b96 v[42:44], off, off offset:116
	v_cmp_lt_f16_e32 vcc_lo, v0, v31
	v_or_b32_e32 v7, 1, v27
	v_or_b32_e32 v8, 2, v27
	;; [unrolled: 1-line block ×4, first 2 shown]
	v_cndmask_b32_e32 v6, v21, v22, vcc_lo
	v_cndmask_b32_e32 v0, v27, v7, vcc_lo
	v_or_b32_e32 v21, 3, v27
	v_or_b32_e32 v22, 4, v27
	;; [unrolled: 1-line block ×3, first 2 shown]
	v_cmp_lt_f32_e32 vcc_lo, v6, v23
	v_cndmask_b32_e32 v6, v6, v23, vcc_lo
	v_cndmask_b32_e32 v0, v0, v8, vcc_lo
	v_or_b32_e32 v23, 17, v27
	s_delay_alu instid0(VALU_DEP_3) | instskip(SKIP_1) | instid1(VALU_DEP_4)
	v_cmp_lt_f32_e32 vcc_lo, v6, v24
	v_cndmask_b32_e32 v6, v6, v24, vcc_lo
	v_cndmask_b32_e32 v0, v0, v21, vcc_lo
	v_or_b32_e32 v24, 18, v27
	s_delay_alu instid0(VALU_DEP_3) | instskip(SKIP_1) | instid1(VALU_DEP_4)
	v_cmp_lt_f32_e32 vcc_lo, v6, v17
	v_cndmask_b32_e32 v6, v6, v17, vcc_lo
	v_cndmask_b32_e32 v0, v0, v22, vcc_lo
	v_or_b32_e32 v17, 5, v27
	s_delay_alu instid0(VALU_DEP_3) | instskip(SKIP_1) | instid1(VALU_DEP_3)
	v_cmp_lt_f32_e32 vcc_lo, v6, v18
	v_cndmask_b32_e32 v6, v6, v18, vcc_lo
	v_cndmask_b32_e32 v0, v0, v17, vcc_lo
	v_or_b32_e32 v18, 6, v27
	s_delay_alu instid0(VALU_DEP_3) | instskip(SKIP_1) | instid1(VALU_DEP_3)
	;; [unrolled: 5-line block ×11, first 2 shown]
	v_cmp_lt_f32_e32 vcc_lo, v6, v12
	v_cndmask_b32_e32 v6, v6, v12, vcc_lo
	v_cndmask_b32_e32 v0, v0, v11, vcc_lo
	v_or_b32_e32 v12, 16, v27
	s_delay_alu instid0(VALU_DEP_3) | instskip(NEXT) | instid1(VALU_DEP_2)
	v_cmp_lt_f32_e32 vcc_lo, v6, v1
	v_dual_cndmask_b32 v1, v6, v1 :: v_dual_cndmask_b32 v0, v0, v12
	s_delay_alu instid0(VALU_DEP_1) | instskip(NEXT) | instid1(VALU_DEP_2)
	v_cmp_lt_f32_e32 vcc_lo, v1, v2
	v_dual_cndmask_b32 v1, v1, v2 :: v_dual_cndmask_b32 v0, v0, v23
	s_delay_alu instid0(VALU_DEP_1) | instskip(NEXT) | instid1(VALU_DEP_2)
	;; [unrolled: 3-line block ×4, first 2 shown]
	v_cmp_lt_f32_e32 vcc_lo, v1, v5
	v_dual_cndmask_b32 v1, v1, v5 :: v_dual_cndmask_b32 v0, v0, v32
	s_waitcnt vmcnt(2)
	s_delay_alu instid0(VALU_DEP_1) | instskip(NEXT) | instid1(VALU_DEP_2)
	v_cmp_lt_f32_e32 vcc_lo, v1, v34
	v_dual_cndmask_b32 v1, v1, v34 :: v_dual_cndmask_b32 v0, v0, v33
	v_or_b32_e32 v34, 22, v27
	s_delay_alu instid0(VALU_DEP_2) | instskip(NEXT) | instid1(VALU_DEP_2)
	v_cmp_lt_f32_e32 vcc_lo, v1, v35
	v_dual_cndmask_b32 v1, v1, v35 :: v_dual_cndmask_b32 v0, v0, v34
	v_or_b32_e32 v35, 23, v27
	s_delay_alu instid0(VALU_DEP_2) | instskip(NEXT) | instid1(VALU_DEP_2)
	;; [unrolled: 4-line block ×3, first 2 shown]
	v_cmp_lt_f32_e32 vcc_lo, v1, v37
	v_dual_cndmask_b32 v1, v1, v37 :: v_dual_cndmask_b32 v0, v0, v36
	v_or_b32_e32 v37, 25, v27
	s_waitcnt vmcnt(1)
	s_delay_alu instid0(VALU_DEP_2) | instskip(NEXT) | instid1(VALU_DEP_2)
	v_cmp_lt_f32_e32 vcc_lo, v1, v38
	v_dual_cndmask_b32 v1, v1, v38 :: v_dual_cndmask_b32 v0, v0, v37
	v_or_b32_e32 v38, 26, v27
	s_delay_alu instid0(VALU_DEP_2) | instskip(NEXT) | instid1(VALU_DEP_2)
	v_cmp_lt_f32_e32 vcc_lo, v1, v39
	v_dual_cndmask_b32 v1, v1, v39 :: v_dual_cndmask_b32 v0, v0, v38
	v_or_b32_e32 v39, 27, v27
	;; [unrolled: 4-line block ×4, first 2 shown]
	s_waitcnt vmcnt(0)
	s_delay_alu instid0(VALU_DEP_2) | instskip(NEXT) | instid1(VALU_DEP_2)
	v_cmp_lt_f32_e32 vcc_lo, v1, v42
	v_dual_cndmask_b32 v1, v1, v42 :: v_dual_cndmask_b32 v0, v0, v41
	v_or_b32_e32 v42, 30, v27
	s_delay_alu instid0(VALU_DEP_2) | instskip(NEXT) | instid1(VALU_DEP_2)
	v_cmp_lt_f32_e32 vcc_lo, v1, v43
	v_dual_cndmask_b32 v1, v1, v43 :: v_dual_cndmask_b32 v0, v0, v42
	v_or_b32_e32 v43, 31, v27
	s_delay_alu instid0(VALU_DEP_2) | instskip(NEXT) | instid1(VALU_DEP_2)
	v_cmp_lt_f32_e32 vcc_lo, v1, v44
	v_dual_cndmask_b32 v0, v0, v43 :: v_dual_cndmask_b32 v1, v1, v44
	s_delay_alu instid0(VALU_DEP_1) | instskip(NEXT) | instid1(VALU_DEP_2)
	v_mov_b32_dpp v2, v0 quad_perm:[1,0,3,2] row_mask:0xf bank_mask:0xf
	v_mov_b32_dpp v3, v1 quad_perm:[1,0,3,2] row_mask:0xf bank_mask:0xf
	s_delay_alu instid0(VALU_DEP_2) | instskip(NEXT) | instid1(VALU_DEP_2)
	v_cmp_lt_i32_e32 vcc_lo, v2, v0
	v_cmp_eq_f32_e64 s2, v1, v3
	v_cmp_lt_f32_e64 s3, v1, v3
	s_delay_alu instid0(VALU_DEP_2)
	s_and_b32 s2, s2, vcc_lo
	s_delay_alu instid0(VALU_DEP_1) | instid1(SALU_CYCLE_1)
	s_or_b32 vcc_lo, s3, s2
	v_dual_cndmask_b32 v1, v1, v3 :: v_dual_cndmask_b32 v0, v0, v2
	s_delay_alu instid0(VALU_DEP_1) | instskip(NEXT) | instid1(VALU_DEP_2)
	v_mov_b32_dpp v2, v1 quad_perm:[2,3,0,1] row_mask:0xf bank_mask:0xf
	v_mov_b32_dpp v3, v0 quad_perm:[2,3,0,1] row_mask:0xf bank_mask:0xf
	s_delay_alu instid0(VALU_DEP_2) | instskip(NEXT) | instid1(VALU_DEP_2)
	v_cmp_eq_f32_e32 vcc_lo, v1, v2
	v_cmp_lt_i32_e64 s2, v3, v0
	v_cmp_lt_f32_e64 s3, v1, v2
	s_delay_alu instid0(VALU_DEP_2)
	s_and_b32 s2, vcc_lo, s2
	s_delay_alu instid0(VALU_DEP_1) | instid1(SALU_CYCLE_1)
	s_or_b32 vcc_lo, s3, s2
	v_dual_cndmask_b32 v1, v1, v2 :: v_dual_cndmask_b32 v0, v0, v3
	s_delay_alu instid0(VALU_DEP_1) | instskip(NEXT) | instid1(VALU_DEP_2)
	v_mov_b32_dpp v2, v1 row_half_mirror row_mask:0xf bank_mask:0xf
	v_mov_b32_dpp v3, v0 row_half_mirror row_mask:0xf bank_mask:0xf
	s_delay_alu instid0(VALU_DEP_2) | instskip(NEXT) | instid1(VALU_DEP_2)
	v_cmp_eq_f32_e32 vcc_lo, v1, v2
	v_cmp_lt_i32_e64 s2, v3, v0
	v_cmp_lt_f32_e64 s3, v1, v2
	s_delay_alu instid0(VALU_DEP_2)
	s_and_b32 s2, vcc_lo, s2
	s_delay_alu instid0(VALU_DEP_1) | instid1(SALU_CYCLE_1)
	s_or_b32 vcc_lo, s3, s2
	s_waitcnt lgkmcnt(0)
	s_cmp_gt_i32 s4, 0
	v_cndmask_b32_e32 v2, v1, v2, vcc_lo
	v_cndmask_b32_e32 v0, v0, v3, vcc_lo
	v_cmp_eq_u32_e32 vcc_lo, 0, v26
	s_cselect_b32 s3, -1, 0
	s_cmp_lt_i32 s4, 1
	v_mov_b32_dpp v4, v2 row_mirror row_mask:0xf bank_mask:0xf
	v_mov_b32_dpp v6, v0 row_mirror row_mask:0xf bank_mask:0xf
	s_cbranch_scc1 .LBB204_18
; %bb.7:
	s_load_b128 s[8:11], s[0:1], 0x20
	s_delay_alu instid0(VALU_DEP_2) | instskip(NEXT) | instid1(VALU_DEP_2)
	v_cmp_eq_f32_e64 s0, v2, v4
	v_cmp_lt_i32_e64 s1, v6, v0
	v_cmp_lt_f32_e64 s2, v2, v4
	v_mul_lo_u32 v1, v25, s7
	v_mul_lo_u32 v3, v25, s14
	;; [unrolled: 1-line block ×3, first 2 shown]
	s_and_b32 s0, s0, s1
	v_mov_b32_e32 v28, 0
	s_or_b32 s0, s2, s0
	s_delay_alu instid0(SALU_CYCLE_1)
	v_cndmask_b32_e64 v0, v0, v6, s0
	v_cndmask_b32_e64 v44, v2, v4, s0
	s_and_saveexec_b32 s2, vcc_lo
	s_cbranch_execz .LBB204_9
; %bb.8:
	s_delay_alu instid0(VALU_DEP_1)
	v_sub_f32_e32 v28, v44, v44
	v_cmp_le_i32_e64 s0, s5, v0
	v_cmp_gt_i32_e64 s1, s6, v0
	v_subrev_nc_u32_e32 v51, s5, v0
	v_ashrrev_i32_e32 v6, 31, v5
	v_mul_f32_e32 v2, 0x3fb8aa3b, v28
	s_delay_alu instid0(VALU_DEP_4) | instskip(NEXT) | instid1(SALU_CYCLE_1)
	s_and_b32 s0, s0, s1
	s_and_b32 s0, s17, s0
	s_delay_alu instid0(VALU_DEP_1) | instskip(SKIP_2) | instid1(VALU_DEP_3)
	v_rndne_f32_e32 v47, v2
	v_fma_f32 v4, 0x3fb8aa3b, v28, -v2
	v_lshlrev_b64 v[49:50], 2, v[5:6]
	v_sub_f32_e32 v2, v2, v47
	s_delay_alu instid0(VALU_DEP_3) | instskip(NEXT) | instid1(VALU_DEP_1)
	v_fmamk_f32 v4, v28, 0x32a5705f, v4
	v_add_f32_e32 v4, v2, v4
	v_ashrrev_i32_e32 v2, 31, v1
	s_delay_alu instid0(VALU_DEP_2) | instskip(NEXT) | instid1(VALU_DEP_1)
	v_exp_f32_e32 v52, v4
	v_lshlrev_b64 v[45:46], 2, v[1:2]
	v_ashrrev_i32_e32 v4, 31, v3
	v_cvt_i32_f32_e32 v2, v47
	s_delay_alu instid0(VALU_DEP_2) | instskip(SKIP_2) | instid1(VALU_DEP_1)
	v_lshlrev_b64 v[47:48], 2, v[3:4]
	v_cndmask_b32_e64 v4, 0x200, v51, s0
	v_add_co_u32 v45, s0, s12, v45
	v_add_co_ci_u32_e64 v46, s0, s13, v46, s0
	s_delay_alu instid0(TRANS32_DEP_1) | instskip(SKIP_1) | instid1(VALU_DEP_1)
	v_ldexp_f32 v2, v52, v2
	v_cmp_ngt_f32_e64 s0, 0xc2ce8ed0, v28
	v_cndmask_b32_e64 v2, 0, v2, s0
	s_waitcnt lgkmcnt(0)
	v_add_co_u32 v47, s0, s8, v47
	s_delay_alu instid0(VALU_DEP_1) | instskip(SKIP_1) | instid1(VALU_DEP_1)
	v_add_co_ci_u32_e64 v48, s0, s9, v48, s0
	v_cmp_nlt_f32_e64 s0, 0x42b17218, v28
	v_cndmask_b32_e64 v28, 0x7f800000, v2, s0
	v_add_co_u32 v49, s0, s10, v49
	s_delay_alu instid0(VALU_DEP_1)
	v_add_co_ci_u32_e64 v50, s0, s11, v50, s0
	global_store_b32 v[47:48], v4, off
	global_store_b32 v[45:46], v28, off
	;; [unrolled: 1-line block ×3, first 2 shown]
.LBB204_9:
	s_or_b32 exec_lo, exec_lo, s2
	v_ashrrev_i32_e32 v4, 31, v0
	s_mov_b32 s1, exec_lo
	s_delay_alu instid0(VALU_DEP_1) | instskip(NEXT) | instid1(VALU_DEP_1)
	v_lshrrev_b32_e32 v2, 27, v4
	v_add_nc_u32_e32 v2, v0, v2
	s_delay_alu instid0(VALU_DEP_1) | instskip(NEXT) | instid1(VALU_DEP_1)
	v_ashrrev_i32_e32 v2, 5, v2
	v_lshrrev_b32_e32 v6, 28, v2
	s_delay_alu instid0(VALU_DEP_1) | instskip(NEXT) | instid1(VALU_DEP_1)
	v_add_nc_u32_e32 v6, v2, v6
	v_and_b32_e32 v6, -16, v6
	s_delay_alu instid0(VALU_DEP_1) | instskip(NEXT) | instid1(VALU_DEP_1)
	v_sub_nc_u32_e32 v6, v2, v6
	v_cmpx_eq_u32_e64 v26, v6
	s_cbranch_execz .LBB204_11
; %bb.10:
	v_lshrrev_b32_e32 v4, 23, v4
	v_lshlrev_b32_e32 v2, 5, v2
	s_delay_alu instid0(VALU_DEP_2) | instskip(NEXT) | instid1(VALU_DEP_2)
	v_add_nc_u32_e32 v4, v0, v4
	v_sub_nc_u32_e32 v0, v0, v2
	s_delay_alu instid0(VALU_DEP_2) | instskip(NEXT) | instid1(VALU_DEP_1)
	v_ashrrev_i32_e32 v2, 9, v4
	v_lshl_add_u32 v0, v2, 5, v0
	v_mov_b32_e32 v2, 0xff800000
	s_delay_alu instid0(VALU_DEP_2)
	v_lshl_add_u32 v0, v0, 2, 0
	scratch_store_b32 v0, v2, off
.LBB204_11:
	s_or_b32 exec_lo, exec_lo, s1
	s_cmp_eq_u32 s4, 1
	s_cbranch_scc1 .LBB204_18
; %bb.12:
	s_add_i32 s18, s18, s16
	v_add_nc_u32_e32 v0, 1, v5
	v_add3_u32 v6, s18, v30, v29
	v_dual_mov_b32 v29, 0xff800000 :: v_dual_add_nc_u32 v2, 1, v3
	v_add_nc_u32_e32 v4, 1, v1
	s_add_i32 s14, s4, -1
	s_branch .LBB204_14
.LBB204_13:                             ;   in Loop: Header=BB204_14 Depth=1
	s_or_b32 exec_lo, exec_lo, s1
	v_add_nc_u32_e32 v6, s16, v6
	v_add_nc_u32_e32 v0, 1, v0
	;; [unrolled: 1-line block ×4, first 2 shown]
	s_add_i32 s14, s14, -1
	s_delay_alu instid0(SALU_CYCLE_1)
	s_cmp_eq_u32 s14, 0
	s_cbranch_scc1 .LBB204_18
.LBB204_14:                             ; =>This Inner Loop Header: Depth=1
	s_clause 0x7
	scratch_load_b128 v[45:48], off, off
	scratch_load_b128 v[49:52], off, off offset:16
	scratch_load_b128 v[53:56], off, off offset:32
	;; [unrolled: 1-line block ×7, first 2 shown]
	s_waitcnt vmcnt(7)
	v_cmp_gt_f32_e64 s0, v46, v45
	s_delay_alu instid0(VALU_DEP_1) | instskip(SKIP_1) | instid1(VALU_DEP_2)
	v_cndmask_b32_e64 v3, v45, v46, s0
	v_cndmask_b32_e64 v1, v27, v7, s0
	v_cmp_gt_f32_e64 s0, v47, v3
	s_delay_alu instid0(VALU_DEP_1) | instskip(NEXT) | instid1(VALU_DEP_3)
	v_cndmask_b32_e64 v3, v3, v47, s0
	v_cndmask_b32_e64 v1, v1, v8, s0
	s_delay_alu instid0(VALU_DEP_2) | instskip(NEXT) | instid1(VALU_DEP_1)
	v_cmp_gt_f32_e64 s0, v48, v3
	v_cndmask_b32_e64 v3, v3, v48, s0
	s_delay_alu instid0(VALU_DEP_3) | instskip(SKIP_1) | instid1(VALU_DEP_2)
	v_cndmask_b32_e64 v1, v1, v21, s0
	s_waitcnt vmcnt(6)
	v_cmp_gt_f32_e64 s0, v49, v3
	s_delay_alu instid0(VALU_DEP_1) | instskip(NEXT) | instid1(VALU_DEP_3)
	v_cndmask_b32_e64 v3, v3, v49, s0
	v_cndmask_b32_e64 v1, v1, v22, s0
	s_delay_alu instid0(VALU_DEP_2) | instskip(NEXT) | instid1(VALU_DEP_1)
	v_cmp_gt_f32_e64 s0, v50, v3
	v_cndmask_b32_e64 v3, v3, v50, s0
	s_delay_alu instid0(VALU_DEP_3) | instskip(NEXT) | instid1(VALU_DEP_2)
	v_cndmask_b32_e64 v1, v1, v17, s0
	v_cmp_gt_f32_e64 s0, v51, v3
	s_delay_alu instid0(VALU_DEP_1) | instskip(NEXT) | instid1(VALU_DEP_3)
	v_cndmask_b32_e64 v3, v3, v51, s0
	v_cndmask_b32_e64 v1, v1, v18, s0
	s_delay_alu instid0(VALU_DEP_2) | instskip(NEXT) | instid1(VALU_DEP_1)
	v_cmp_gt_f32_e64 s0, v52, v3
	v_cndmask_b32_e64 v3, v3, v52, s0
	s_delay_alu instid0(VALU_DEP_3) | instskip(SKIP_1) | instid1(VALU_DEP_2)
	v_cndmask_b32_e64 v1, v1, v19, s0
	s_waitcnt vmcnt(5)
	v_cmp_gt_f32_e64 s0, v53, v3
	s_delay_alu instid0(VALU_DEP_1) | instskip(NEXT) | instid1(VALU_DEP_3)
	v_cndmask_b32_e64 v3, v3, v53, s0
	v_cndmask_b32_e64 v1, v1, v20, s0
	s_delay_alu instid0(VALU_DEP_2) | instskip(NEXT) | instid1(VALU_DEP_1)
	v_cmp_gt_f32_e64 s0, v54, v3
	v_cndmask_b32_e64 v3, v3, v54, s0
	s_delay_alu instid0(VALU_DEP_3) | instskip(NEXT) | instid1(VALU_DEP_2)
	;; [unrolled: 19-line block ×7, first 2 shown]
	v_cndmask_b32_e64 v1, v1, v41, s0
	v_cmp_gt_f32_e64 s0, v75, v3
	s_delay_alu instid0(VALU_DEP_1) | instskip(NEXT) | instid1(VALU_DEP_3)
	v_cndmask_b32_e64 v3, v3, v75, s0
	v_cndmask_b32_e64 v1, v1, v42, s0
	s_delay_alu instid0(VALU_DEP_2) | instskip(NEXT) | instid1(VALU_DEP_1)
	v_cmp_gt_f32_e64 s0, v76, v3
	v_cndmask_b32_e64 v1, v1, v43, s0
	v_cndmask_b32_e64 v3, v3, v76, s0
	s_delay_alu instid0(VALU_DEP_2) | instskip(NEXT) | instid1(VALU_DEP_2)
	v_mov_b32_dpp v5, v1 quad_perm:[1,0,3,2] row_mask:0xf bank_mask:0xf
	v_mov_b32_dpp v30, v3 quad_perm:[1,0,3,2] row_mask:0xf bank_mask:0xf
	s_delay_alu instid0(VALU_DEP_2) | instskip(NEXT) | instid1(VALU_DEP_2)
	v_cmp_lt_i32_e64 s0, v5, v1
	v_cmp_eq_f32_e64 s1, v3, v30
	v_cmp_lt_f32_e64 s2, v3, v30
	s_delay_alu instid0(VALU_DEP_2)
	s_and_b32 s0, s1, s0
	s_delay_alu instid0(VALU_DEP_1) | instid1(SALU_CYCLE_1)
	s_or_b32 s0, s2, s0
	s_delay_alu instid0(SALU_CYCLE_1) | instskip(SKIP_1) | instid1(VALU_DEP_2)
	v_cndmask_b32_e64 v3, v3, v30, s0
	v_cndmask_b32_e64 v1, v1, v5, s0
	v_mov_b32_dpp v5, v3 quad_perm:[2,3,0,1] row_mask:0xf bank_mask:0xf
	s_delay_alu instid0(VALU_DEP_2) | instskip(NEXT) | instid1(VALU_DEP_2)
	v_mov_b32_dpp v30, v1 quad_perm:[2,3,0,1] row_mask:0xf bank_mask:0xf
	v_cmp_eq_f32_e64 s0, v3, v5
	s_delay_alu instid0(VALU_DEP_2) | instskip(SKIP_1) | instid1(VALU_DEP_2)
	v_cmp_lt_i32_e64 s1, v30, v1
	v_cmp_lt_f32_e64 s2, v3, v5
	s_and_b32 s0, s0, s1
	s_delay_alu instid0(VALU_DEP_1) | instid1(SALU_CYCLE_1)
	s_or_b32 s0, s2, s0
	s_delay_alu instid0(SALU_CYCLE_1) | instskip(SKIP_1) | instid1(VALU_DEP_2)
	v_cndmask_b32_e64 v3, v3, v5, s0
	v_cndmask_b32_e64 v5, v1, v30, s0
	v_mov_b32_dpp v1, v3 row_half_mirror row_mask:0xf bank_mask:0xf
	s_delay_alu instid0(VALU_DEP_2) | instskip(NEXT) | instid1(VALU_DEP_2)
	v_mov_b32_dpp v30, v5 row_half_mirror row_mask:0xf bank_mask:0xf
	v_cmp_eq_f32_e64 s0, v3, v1
	s_delay_alu instid0(VALU_DEP_2) | instskip(SKIP_1) | instid1(VALU_DEP_2)
	v_cmp_lt_i32_e64 s1, v30, v5
	v_cmp_lt_f32_e64 s2, v3, v1
	s_and_b32 s0, s0, s1
	s_delay_alu instid0(VALU_DEP_1) | instid1(SALU_CYCLE_1)
	s_or_b32 s0, s2, s0
	s_delay_alu instid0(SALU_CYCLE_1) | instskip(SKIP_1) | instid1(VALU_DEP_2)
	v_cndmask_b32_e64 v1, v3, v1, s0
	v_cndmask_b32_e64 v5, v5, v30, s0
	v_mov_b32_dpp v3, v1 row_mirror row_mask:0xf bank_mask:0xf
	s_delay_alu instid0(VALU_DEP_2) | instskip(NEXT) | instid1(VALU_DEP_2)
	v_mov_b32_dpp v30, v5 row_mirror row_mask:0xf bank_mask:0xf
	v_cmp_eq_f32_e64 s0, v1, v3
	s_delay_alu instid0(VALU_DEP_2) | instskip(SKIP_1) | instid1(VALU_DEP_2)
	v_cmp_lt_i32_e64 s1, v30, v5
	v_cmp_lt_f32_e64 s2, v1, v3
	s_and_b32 s0, s0, s1
	s_delay_alu instid0(VALU_DEP_1) | instid1(SALU_CYCLE_1)
	s_or_b32 s0, s2, s0
	s_delay_alu instid0(SALU_CYCLE_1)
	v_cndmask_b32_e64 v30, v5, v30, s0
	s_and_saveexec_b32 s2, vcc_lo
	s_cbranch_execz .LBB204_16
; %bb.15:                               ;   in Loop: Header=BB204_14 Depth=1
	v_cndmask_b32_e64 v1, v1, v3, s0
	s_delay_alu instid0(VALU_DEP_2) | instskip(SKIP_4) | instid1(VALU_DEP_4)
	v_cmp_le_i32_e64 s0, s5, v30
	v_cmp_gt_i32_e64 s1, s6, v30
	v_ashrrev_i32_e32 v5, 31, v4
	v_subrev_nc_u32_e32 v52, s5, v30
	v_sub_f32_e32 v51, v1, v44
	s_and_b32 s0, s0, s1
	s_delay_alu instid0(SALU_CYCLE_1) | instskip(NEXT) | instid1(VALU_DEP_1)
	s_and_b32 s0, s17, s0
	v_mul_f32_e32 v1, 0x3fb8aa3b, v51
	s_delay_alu instid0(VALU_DEP_1) | instskip(SKIP_1) | instid1(VALU_DEP_2)
	v_fma_f32 v3, 0x3fb8aa3b, v51, -v1
	v_rndne_f32_e32 v45, v1
	v_fmac_f32_e32 v3, 0x32a5705f, v51
	s_delay_alu instid0(VALU_DEP_2) | instskip(SKIP_2) | instid1(VALU_DEP_3)
	v_sub_f32_e32 v1, v1, v45
	v_cvt_i32_f32_e32 v50, v45
	v_lshlrev_b64 v[45:46], 2, v[4:5]
	v_add_f32_e32 v1, v1, v3
	v_ashrrev_i32_e32 v3, 31, v2
	s_delay_alu instid0(VALU_DEP_2) | instskip(SKIP_1) | instid1(VALU_DEP_2)
	v_exp_f32_e32 v49, v1
	v_ashrrev_i32_e32 v1, 31, v0
	v_lshlrev_b64 v[47:48], 2, v[2:3]
	s_waitcnt_depctr 0xfff
	v_ldexp_f32 v3, v49, v50
	v_lshlrev_b64 v[49:50], 2, v[0:1]
	v_cndmask_b32_e64 v1, 0x200, v52, s0
	v_cmp_ngt_f32_e64 s0, 0xc2ce8ed0, v51
	s_delay_alu instid0(VALU_DEP_1) | instskip(SKIP_1) | instid1(VALU_DEP_1)
	v_cndmask_b32_e64 v3, 0, v3, s0
	v_add_co_u32 v45, s0, s12, v45
	v_add_co_ci_u32_e64 v46, s0, s13, v46, s0
	v_cmp_nlt_f32_e64 s0, 0x42b17218, v51
	s_delay_alu instid0(VALU_DEP_1) | instskip(SKIP_2) | instid1(VALU_DEP_1)
	v_cndmask_b32_e64 v3, 0x7f800000, v3, s0
	s_waitcnt lgkmcnt(0)
	v_add_co_u32 v47, s0, s8, v47
	v_add_co_ci_u32_e64 v48, s0, s9, v48, s0
	s_delay_alu instid0(VALU_DEP_3) | instskip(SKIP_1) | instid1(VALU_DEP_1)
	v_add_f32_e32 v28, v28, v3
	v_add_co_u32 v49, s0, s10, v49
	v_add_co_ci_u32_e64 v50, s0, s11, v50, s0
	global_store_b32 v[45:46], v3, off
	global_store_b32 v[47:48], v1, off
	;; [unrolled: 1-line block ×3, first 2 shown]
.LBB204_16:                             ;   in Loop: Header=BB204_14 Depth=1
	s_or_b32 exec_lo, exec_lo, s2
	s_delay_alu instid0(VALU_DEP_1) | instskip(SKIP_1) | instid1(VALU_DEP_1)
	v_ashrrev_i32_e32 v3, 31, v30
	s_mov_b32 s1, exec_lo
	v_lshrrev_b32_e32 v1, 27, v3
	s_delay_alu instid0(VALU_DEP_1) | instskip(NEXT) | instid1(VALU_DEP_1)
	v_add_nc_u32_e32 v1, v30, v1
	v_ashrrev_i32_e32 v1, 5, v1
	s_delay_alu instid0(VALU_DEP_1) | instskip(NEXT) | instid1(VALU_DEP_1)
	v_lshrrev_b32_e32 v5, 28, v1
	v_add_nc_u32_e32 v5, v1, v5
	s_delay_alu instid0(VALU_DEP_1) | instskip(NEXT) | instid1(VALU_DEP_1)
	v_and_b32_e32 v5, -16, v5
	v_sub_nc_u32_e32 v5, v1, v5
	s_delay_alu instid0(VALU_DEP_1)
	v_cmpx_eq_u32_e64 v26, v5
	s_cbranch_execz .LBB204_13
; %bb.17:                               ;   in Loop: Header=BB204_14 Depth=1
	v_lshrrev_b32_e32 v3, 23, v3
	v_lshlrev_b32_e32 v1, 5, v1
	s_delay_alu instid0(VALU_DEP_2) | instskip(NEXT) | instid1(VALU_DEP_2)
	v_add_nc_u32_e32 v3, v30, v3
	v_sub_nc_u32_e32 v1, v30, v1
	s_delay_alu instid0(VALU_DEP_2) | instskip(NEXT) | instid1(VALU_DEP_1)
	v_ashrrev_i32_e32 v3, 9, v3
	v_lshl_add_u32 v1, v3, 5, v1
	s_delay_alu instid0(VALU_DEP_1)
	v_lshl_add_u32 v1, v1, 2, 0
	scratch_store_b32 v1, v29, off
	s_branch .LBB204_13
.LBB204_18:
	v_cmp_eq_u32_e32 vcc_lo, 0, v26
	v_cmp_neq_f32_e64 s0, 0, v28
	s_delay_alu instid0(VALU_DEP_1) | instskip(NEXT) | instid1(SALU_CYCLE_1)
	s_and_b32 s0, vcc_lo, s0
	s_and_b32 exec_lo, exec_lo, s0
	s_cbranch_execz .LBB204_22
; %bb.19:
	s_and_not1_b32 vcc_lo, exec_lo, s3
	s_cbranch_vccnz .LBB204_22
; %bb.20:
	v_div_scale_f32 v1, null, v28, v28, 1.0
	v_div_scale_f32 v3, vcc_lo, 1.0, v28, 1.0
	s_delay_alu instid0(VALU_DEP_2) | instskip(SKIP_2) | instid1(VALU_DEP_1)
	v_rcp_f32_e32 v2, v1
	s_waitcnt_depctr 0xfff
	v_fma_f32 v0, -v1, v2, 1.0
	v_fmac_f32_e32 v2, v0, v2
	v_mul_lo_u32 v0, v25, s7
	s_delay_alu instid0(VALU_DEP_2) | instskip(NEXT) | instid1(VALU_DEP_1)
	v_mul_f32_e32 v4, v3, v2
	v_fma_f32 v5, -v1, v4, v3
	s_delay_alu instid0(VALU_DEP_1) | instskip(NEXT) | instid1(VALU_DEP_1)
	v_fmac_f32_e32 v4, v5, v2
	v_fma_f32 v3, -v1, v4, v3
	v_ashrrev_i32_e32 v1, 31, v0
	s_delay_alu instid0(VALU_DEP_2) | instskip(NEXT) | instid1(VALU_DEP_2)
	v_div_fmas_f32 v2, v3, v2, v4
	v_lshlrev_b64 v[0:1], 2, v[0:1]
	s_delay_alu instid0(VALU_DEP_2) | instskip(NEXT) | instid1(VALU_DEP_2)
	v_div_fixup_f32 v2, v2, v28, 1.0
	v_add_co_u32 v0, vcc_lo, s12, v0
	s_delay_alu instid0(VALU_DEP_3)
	v_add_co_ci_u32_e32 v1, vcc_lo, s13, v1, vcc_lo
.LBB204_21:                             ; =>This Inner Loop Header: Depth=1
	global_load_b32 v3, v[0:1], off
	s_add_i32 s4, s4, -1
	s_delay_alu instid0(SALU_CYCLE_1)
	s_cmp_lg_u32 s4, 0
	s_waitcnt vmcnt(0)
	v_mul_f32_e32 v3, v2, v3
	global_store_b32 v[0:1], v3, off
	v_add_co_u32 v0, vcc_lo, v0, 4
	v_add_co_ci_u32_e32 v1, vcc_lo, 0, v1, vcc_lo
	s_cbranch_scc1 .LBB204_21
.LBB204_22:
	s_endpgm
	.section	.rodata,"a",@progbits
	.p2align	6, 0x0
	.amdhsa_kernel _ZN4vllm3moe17topkGatingSoftmaxIDF16_Li32ELi512ELi2ELi64ELb1ELi8ELNS0_23SharedExpertScoringFuncE1EEEvPKT_PKbPfiPiS9_iiiiii
		.amdhsa_group_segment_fixed_size 0
		.amdhsa_private_segment_fixed_size 144
		.amdhsa_kernarg_size 72
		.amdhsa_user_sgpr_count 15
		.amdhsa_user_sgpr_dispatch_ptr 0
		.amdhsa_user_sgpr_queue_ptr 0
		.amdhsa_user_sgpr_kernarg_segment_ptr 1
		.amdhsa_user_sgpr_dispatch_id 0
		.amdhsa_user_sgpr_private_segment_size 0
		.amdhsa_wavefront_size32 1
		.amdhsa_uses_dynamic_stack 0
		.amdhsa_enable_private_segment 1
		.amdhsa_system_sgpr_workgroup_id_x 1
		.amdhsa_system_sgpr_workgroup_id_y 0
		.amdhsa_system_sgpr_workgroup_id_z 0
		.amdhsa_system_sgpr_workgroup_info 0
		.amdhsa_system_vgpr_workitem_id 1
		.amdhsa_next_free_vgpr 77
		.amdhsa_next_free_sgpr 19
		.amdhsa_reserve_vcc 1
		.amdhsa_float_round_mode_32 0
		.amdhsa_float_round_mode_16_64 0
		.amdhsa_float_denorm_mode_32 3
		.amdhsa_float_denorm_mode_16_64 3
		.amdhsa_dx10_clamp 1
		.amdhsa_ieee_mode 1
		.amdhsa_fp16_overflow 0
		.amdhsa_workgroup_processor_mode 1
		.amdhsa_memory_ordered 1
		.amdhsa_forward_progress 0
		.amdhsa_shared_vgpr_count 0
		.amdhsa_exception_fp_ieee_invalid_op 0
		.amdhsa_exception_fp_denorm_src 0
		.amdhsa_exception_fp_ieee_div_zero 0
		.amdhsa_exception_fp_ieee_overflow 0
		.amdhsa_exception_fp_ieee_underflow 0
		.amdhsa_exception_fp_ieee_inexact 0
		.amdhsa_exception_int_div_zero 0
	.end_amdhsa_kernel
	.section	.text._ZN4vllm3moe17topkGatingSoftmaxIDF16_Li32ELi512ELi2ELi64ELb1ELi8ELNS0_23SharedExpertScoringFuncE1EEEvPKT_PKbPfiPiS9_iiiiii,"axG",@progbits,_ZN4vllm3moe17topkGatingSoftmaxIDF16_Li32ELi512ELi2ELi64ELb1ELi8ELNS0_23SharedExpertScoringFuncE1EEEvPKT_PKbPfiPiS9_iiiiii,comdat
.Lfunc_end204:
	.size	_ZN4vllm3moe17topkGatingSoftmaxIDF16_Li32ELi512ELi2ELi64ELb1ELi8ELNS0_23SharedExpertScoringFuncE1EEEvPKT_PKbPfiPiS9_iiiiii, .Lfunc_end204-_ZN4vllm3moe17topkGatingSoftmaxIDF16_Li32ELi512ELi2ELi64ELb1ELi8ELNS0_23SharedExpertScoringFuncE1EEEvPKT_PKbPfiPiS9_iiiiii
                                        ; -- End function
	.section	.AMDGPU.csdata,"",@progbits
; Kernel info:
; codeLenInByte = 4424
; NumSgprs: 21
; NumVgprs: 77
; ScratchSize: 144
; MemoryBound: 0
; FloatMode: 240
; IeeeMode: 1
; LDSByteSize: 0 bytes/workgroup (compile time only)
; SGPRBlocks: 2
; VGPRBlocks: 9
; NumSGPRsForWavesPerEU: 21
; NumVGPRsForWavesPerEU: 77
; Occupancy: 16
; WaveLimiterHint : 0
; COMPUTE_PGM_RSRC2:SCRATCH_EN: 1
; COMPUTE_PGM_RSRC2:USER_SGPR: 15
; COMPUTE_PGM_RSRC2:TRAP_HANDLER: 0
; COMPUTE_PGM_RSRC2:TGID_X_EN: 1
; COMPUTE_PGM_RSRC2:TGID_Y_EN: 0
; COMPUTE_PGM_RSRC2:TGID_Z_EN: 0
; COMPUTE_PGM_RSRC2:TIDIG_COMP_CNT: 1
	.section	.text._ZN4vllm3moe17topkGatingSoftmaxIDF16_Li32ELi512ELi2ELi64ELb0ELi8ELNS0_23SharedExpertScoringFuncE1EEEvPKT_PKbPfiPiS9_iiiiii,"axG",@progbits,_ZN4vllm3moe17topkGatingSoftmaxIDF16_Li32ELi512ELi2ELi64ELb0ELi8ELNS0_23SharedExpertScoringFuncE1EEEvPKT_PKbPfiPiS9_iiiiii,comdat
	.protected	_ZN4vllm3moe17topkGatingSoftmaxIDF16_Li32ELi512ELi2ELi64ELb0ELi8ELNS0_23SharedExpertScoringFuncE1EEEvPKT_PKbPfiPiS9_iiiiii ; -- Begin function _ZN4vllm3moe17topkGatingSoftmaxIDF16_Li32ELi512ELi2ELi64ELb0ELi8ELNS0_23SharedExpertScoringFuncE1EEEvPKT_PKbPfiPiS9_iiiiii
	.globl	_ZN4vllm3moe17topkGatingSoftmaxIDF16_Li32ELi512ELi2ELi64ELb0ELi8ELNS0_23SharedExpertScoringFuncE1EEEvPKT_PKbPfiPiS9_iiiiii
	.p2align	8
	.type	_ZN4vllm3moe17topkGatingSoftmaxIDF16_Li32ELi512ELi2ELi64ELb0ELi8ELNS0_23SharedExpertScoringFuncE1EEEvPKT_PKbPfiPiS9_iiiiii,@function
_ZN4vllm3moe17topkGatingSoftmaxIDF16_Li32ELi512ELi2ELi64ELb0ELi8ELNS0_23SharedExpertScoringFuncE1EEEvPKT_PKbPfiPiS9_iiiiii: ; @_ZN4vllm3moe17topkGatingSoftmaxIDF16_Li32ELi512ELi2ELi64ELb0ELi8ELNS0_23SharedExpertScoringFuncE1EEEvPKT_PKbPfiPiS9_iiiiii
; %bb.0:
	s_load_b32 s16, s[0:1], 0x18
	v_bfe_u32 v1, v0, 10, 10
	v_and_b32_e32 v0, 0x3ff, v0
	s_lshl_b32 s18, s15, 2
	s_mov_b32 s2, exec_lo
	s_delay_alu instid0(VALU_DEP_2) | instskip(NEXT) | instid1(VALU_DEP_2)
	v_lshlrev_b32_e32 v33, 1, v1
	v_lshrrev_b32_e32 v34, 4, v0
	s_delay_alu instid0(VALU_DEP_1) | instskip(SKIP_1) | instid1(VALU_DEP_1)
	v_add3_u32 v29, s18, v33, v34
	s_waitcnt lgkmcnt(0)
	v_cmpx_gt_i32_e64 s16, v29
	s_cbranch_execz .LBB205_24
; %bb.1:
	s_clause 0x1
	s_load_b128 s[4:7], s[0:1], 0x0
	s_load_b64 s[12:13], s[0:1], 0x10
	s_waitcnt lgkmcnt(0)
	s_cmp_eq_u64 s[6:7], 0
	s_cbranch_scc1 .LBB205_3
; %bb.2:
	v_ashrrev_i32_e32 v2, 31, v29
	v_add_co_u32 v1, vcc_lo, s6, v29
	s_delay_alu instid0(VALU_DEP_2) | instskip(SKIP_3) | instid1(VALU_DEP_1)
	v_add_co_ci_u32_e32 v2, vcc_lo, s7, v2, vcc_lo
	global_load_u8 v1, v[1:2], off
	s_waitcnt vmcnt(0)
	v_and_b32_e32 v1, 1, v1
	v_cmp_eq_u32_e32 vcc_lo, 1, v1
	s_xor_b32 s2, vcc_lo, -1
	s_delay_alu instid0(SALU_CYCLE_1)
	s_or_not1_b32 s17, s2, exec_lo
	s_branch .LBB205_4
.LBB205_3:
	s_mov_b32 s17, -1
.LBB205_4:
	s_load_b64 s[14:15], s[0:1], 0x40
	v_dual_mov_b32 v31, 0 :: v_dual_and_b32 v30, 15, v0
	s_delay_alu instid0(VALU_DEP_1) | instskip(SKIP_2) | instid1(VALU_DEP_1)
	v_lshlrev_b32_e32 v32, 5, v30
	s_waitcnt lgkmcnt(0)
	v_mul_lo_u32 v1, v29, s15
	v_ashrrev_i32_e32 v2, 31, v1
	s_delay_alu instid0(VALU_DEP_1) | instskip(SKIP_1) | instid1(VALU_DEP_2)
	v_lshlrev_b64 v[0:1], 1, v[1:2]
	v_lshlrev_b32_e32 v2, 6, v30
	v_add_co_u32 v0, vcc_lo, s4, v0
	s_delay_alu instid0(VALU_DEP_3) | instskip(SKIP_1) | instid1(VALU_DEP_2)
	v_add_co_ci_u32_e32 v1, vcc_lo, s5, v1, vcc_lo
	s_load_b128 s[4:7], s[0:1], 0x30
	v_add_co_u32 v2, vcc_lo, v0, v2
	s_delay_alu instid0(VALU_DEP_2)
	v_add_co_ci_u32_e32 v3, vcc_lo, 0, v1, vcc_lo
	v_cmp_gt_u32_e32 vcc_lo, 8, v30
	s_clause 0x3
	global_load_b128 v[4:7], v[2:3], off
	global_load_b128 v[8:11], v[2:3], off offset:16
	global_load_b128 v[36:39], v[2:3], off offset:32
	;; [unrolled: 1-line block ×3, first 2 shown]
	s_waitcnt vmcnt(3)
	v_lshrrev_b32_e32 v35, 16, v4
	v_cvt_f32_f16_e32 v27, v5
	v_lshrrev_b32_e32 v2, 16, v5
	v_cvt_f32_f16_e32 v21, v6
	v_lshrrev_b32_e32 v3, 16, v6
	v_cvt_f32_f16_e32 v23, v7
	v_lshrrev_b32_e32 v6, 16, v7
	s_waitcnt vmcnt(2)
	v_cvt_f32_f16_e32 v17, v8
	v_lshrrev_b32_e32 v8, 16, v8
	v_cvt_f32_f16_e32 v19, v9
	v_lshrrev_b32_e32 v12, 16, v9
	v_cvt_f32_f16_e32 v13, v10
	v_lshrrev_b32_e32 v10, 16, v10
	v_cvt_f32_f16_e32 v15, v11
	v_lshrrev_b32_e32 v16, 16, v11
	s_waitcnt vmcnt(1)
	v_cvt_f32_f16_e32 v5, v36
	;; [unrolled: 9-line block ×3, first 2 shown]
	v_lshrrev_b32_e32 v39, 16, v40
	v_cvt_f32_f16_e32 v38, v41
	v_lshrrev_b32_e32 v47, 16, v41
	v_cvt_f32_f16_e32 v40, v42
	;; [unrolled: 2-line block ×4, first 2 shown]
	v_cvt_f32_f16_e32 v26, v35
	v_cvt_f32_f16_e32 v28, v2
	v_cvt_f32_f16_e32 v22, v3
	v_cvt_f32_f16_e32 v24, v6
	v_cvt_f32_f16_e32 v18, v8
	v_cvt_f32_f16_e32 v20, v12
	v_cvt_f32_f16_e32 v14, v10
	v_cvt_f32_f16_e32 v6, v44
	v_cvt_f32_f16_e32 v41, v41
	v_cvt_f32_f16_e32 v43, v43
	v_cvt_f32_f16_e32 v8, v45
	v_cvt_f32_f16_e32 v16, v16
	v_cvt_f32_f16_e32 v10, v37
	v_cvt_f32_f16_e32 v37, v39
	v_cvt_f32_f16_e32 v39, v47
	v_cvt_f32_f16_e32 v12, v46
	s_clause 0x7
	scratch_store_b128 off, v[40:43], off offset:112
	scratch_store_b128 off, v[36:39], off offset:96
	;; [unrolled: 1-line block ×7, first 2 shown]
	scratch_store_b128 off, v[25:28], off
	s_and_saveexec_b32 s2, vcc_lo
	s_cbranch_execz .LBB205_6
; %bb.5:
	v_lshlrev_b32_e32 v2, 1, v30
	s_mov_b32 s3, 0x3fb8aa3b
	s_delay_alu instid0(VALU_DEP_1) | instskip(SKIP_4) | instid1(VALU_DEP_1)
	v_add_co_u32 v0, vcc_lo, v0, v2
	v_add_co_ci_u32_e32 v1, vcc_lo, 0, v1, vcc_lo
	global_load_u16 v0, v[0:1], off offset:1024
	s_waitcnt vmcnt(0)
	v_cvt_f32_f16_e64 v1, -v0
	v_mul_f32_e32 v2, 0x3fb8aa3b, v1
	v_cmp_ngt_f32_e32 vcc_lo, 0xc2ce8ed0, v1
	s_delay_alu instid0(VALU_DEP_2)
	v_fma_mix_f32 v3, -v0, s3, -v2 op_sel_hi:[1,0,0]
	v_rndne_f32_e32 v10, v2
	s_mov_b32 s3, 0x32a5705f
	s_delay_alu instid0(VALU_DEP_2) | instid1(SALU_CYCLE_1)
	v_fma_mix_f32 v0, -v0, s3, v3 op_sel_hi:[1,0,0]
	s_delay_alu instid0(VALU_DEP_2) | instskip(NEXT) | instid1(VALU_DEP_1)
	v_sub_f32_e32 v2, v2, v10
	v_add_f32_e32 v0, v2, v0
	v_cvt_i32_f32_e32 v2, v10
	s_delay_alu instid0(VALU_DEP_2) | instskip(SKIP_2) | instid1(VALU_DEP_1)
	v_exp_f32_e32 v0, v0
	s_waitcnt_depctr 0xfff
	v_ldexp_f32 v0, v0, v2
	v_cndmask_b32_e32 v0, 0, v0, vcc_lo
	v_cmp_nlt_f32_e32 vcc_lo, 0x42b17218, v1
	s_delay_alu instid0(VALU_DEP_2) | instskip(NEXT) | instid1(VALU_DEP_1)
	v_cndmask_b32_e32 v0, 0x7f800000, v0, vcc_lo
	v_add_f32_e32 v2, 1.0, v0
	s_delay_alu instid0(VALU_DEP_1) | instskip(SKIP_1) | instid1(VALU_DEP_2)
	v_div_scale_f32 v1, null, v2, v2, 1.0
	v_div_scale_f32 v10, vcc_lo, 1.0, v2, 1.0
	v_rcp_f32_e32 v3, v1
	s_waitcnt_depctr 0xfff
	v_fma_f32 v0, -v1, v3, 1.0
	s_delay_alu instid0(VALU_DEP_1) | instskip(SKIP_2) | instid1(VALU_DEP_2)
	v_fmac_f32_e32 v3, v0, v3
	s_waitcnt lgkmcnt(0)
	v_mul_lo_u32 v0, v29, s7
	v_mul_f32_e32 v11, v10, v3
	s_delay_alu instid0(VALU_DEP_2) | instskip(NEXT) | instid1(VALU_DEP_2)
	v_add3_u32 v0, v0, s4, v30
	v_fma_f32 v12, -v1, v11, v10
	s_delay_alu instid0(VALU_DEP_1) | instskip(NEXT) | instid1(VALU_DEP_1)
	v_fmac_f32_e32 v11, v12, v3
	v_fma_f32 v10, -v1, v11, v10
	s_delay_alu instid0(VALU_DEP_4) | instskip(NEXT) | instid1(VALU_DEP_2)
	v_ashrrev_i32_e32 v1, 31, v0
	v_div_fmas_f32 v3, v10, v3, v11
	s_delay_alu instid0(VALU_DEP_2) | instskip(NEXT) | instid1(VALU_DEP_2)
	v_lshlrev_b64 v[0:1], 2, v[0:1]
	v_div_fixup_f32 v2, v3, v2, 1.0
	s_delay_alu instid0(VALU_DEP_2) | instskip(NEXT) | instid1(VALU_DEP_3)
	v_add_co_u32 v0, vcc_lo, s12, v0
	v_add_co_ci_u32_e32 v1, vcc_lo, s13, v1, vcc_lo
	global_store_b32 v[0:1], v2, off
.LBB205_6:
	s_or_b32 exec_lo, exec_lo, s2
	s_clause 0x2
	scratch_load_b128 v[0:3], off, off offset:84
	scratch_load_b128 v[39:42], off, off offset:100
	scratch_load_b96 v[43:45], off, off offset:116
	v_cmp_lt_f16_e32 vcc_lo, v4, v35
	v_or_b32_e32 v10, 1, v32
	v_or_b32_e32 v36, 23, v32
	;; [unrolled: 1-line block ×4, first 2 shown]
	v_cndmask_b32_e32 v12, v25, v26, vcc_lo
	v_cndmask_b32_e32 v4, v32, v10, vcc_lo
	v_or_b32_e32 v37, 24, v32
	v_or_b32_e32 v35, 22, v32
	s_delay_alu instid0(VALU_DEP_4) | instskip(SKIP_4) | instid1(VALU_DEP_4)
	v_cmp_lt_f32_e32 vcc_lo, v12, v27
	v_cndmask_b32_e32 v25, v12, v27, vcc_lo
	v_cndmask_b32_e32 v4, v4, v11, vcc_lo
	v_or_b32_e32 v12, 3, v32
	v_or_b32_e32 v27, 18, v32
	v_cmp_lt_f32_e32 vcc_lo, v25, v28
	v_cndmask_b32_e32 v26, v25, v28, vcc_lo
	s_delay_alu instid0(VALU_DEP_4) | instskip(SKIP_2) | instid1(VALU_DEP_4)
	v_cndmask_b32_e32 v4, v4, v12, vcc_lo
	v_or_b32_e32 v25, 4, v32
	v_or_b32_e32 v28, 19, v32
	v_cmp_lt_f32_e32 vcc_lo, v26, v21
	v_cndmask_b32_e32 v26, v26, v21, vcc_lo
	s_delay_alu instid0(VALU_DEP_4) | instskip(SKIP_1) | instid1(VALU_DEP_3)
	v_cndmask_b32_e32 v4, v4, v25, vcc_lo
	v_or_b32_e32 v21, 5, v32
	v_cmp_lt_f32_e32 vcc_lo, v26, v22
	v_cndmask_b32_e32 v26, v26, v22, vcc_lo
	s_delay_alu instid0(VALU_DEP_3) | instskip(SKIP_1) | instid1(VALU_DEP_3)
	v_cndmask_b32_e32 v4, v4, v21, vcc_lo
	v_or_b32_e32 v22, 6, v32
	v_cmp_lt_f32_e32 vcc_lo, v26, v23
	v_cndmask_b32_e32 v26, v26, v23, vcc_lo
	s_delay_alu instid0(VALU_DEP_3) | instskip(SKIP_1) | instid1(VALU_DEP_3)
	;; [unrolled: 5-line block ×11, first 2 shown]
	v_cndmask_b32_e32 v4, v4, v15, vcc_lo
	v_or_b32_e32 v16, 16, v32
	v_cmp_lt_f32_e32 vcc_lo, v26, v5
	s_delay_alu instid0(VALU_DEP_2) | instskip(SKIP_1) | instid1(VALU_DEP_2)
	v_dual_cndmask_b32 v5, v26, v5 :: v_dual_cndmask_b32 v4, v4, v16
	v_or_b32_e32 v26, 17, v32
	v_cmp_lt_f32_e32 vcc_lo, v5, v6
	v_cndmask_b32_e32 v5, v5, v6, vcc_lo
	s_delay_alu instid0(VALU_DEP_3) | instskip(NEXT) | instid1(VALU_DEP_2)
	v_cndmask_b32_e32 v4, v4, v26, vcc_lo
	v_cmp_lt_f32_e32 vcc_lo, v5, v7
	v_cndmask_b32_e32 v5, v5, v7, vcc_lo
	s_delay_alu instid0(VALU_DEP_3) | instskip(NEXT) | instid1(VALU_DEP_2)
	v_cndmask_b32_e32 v4, v4, v27, vcc_lo
	v_cmp_lt_f32_e32 vcc_lo, v5, v8
	v_cndmask_b32_e32 v5, v5, v8, vcc_lo
	s_delay_alu instid0(VALU_DEP_3) | instskip(SKIP_1) | instid1(VALU_DEP_3)
	v_cndmask_b32_e32 v4, v4, v28, vcc_lo
	v_or_b32_e32 v8, 20, v32
	v_cmp_lt_f32_e32 vcc_lo, v5, v9
	s_delay_alu instid0(VALU_DEP_2) | instskip(SKIP_2) | instid1(VALU_DEP_2)
	v_dual_cndmask_b32 v5, v5, v9 :: v_dual_cndmask_b32 v4, v4, v8
	v_or_b32_e32 v9, 21, v32
	s_waitcnt vmcnt(2)
	v_cmp_lt_f32_e32 vcc_lo, v5, v0
	v_cndmask_b32_e32 v0, v5, v0, vcc_lo
	s_delay_alu instid0(VALU_DEP_3) | instskip(NEXT) | instid1(VALU_DEP_2)
	v_cndmask_b32_e32 v4, v4, v9, vcc_lo
	v_cmp_lt_f32_e32 vcc_lo, v0, v1
	v_cndmask_b32_e32 v0, v0, v1, vcc_lo
	s_delay_alu instid0(VALU_DEP_3) | instskip(NEXT) | instid1(VALU_DEP_2)
	v_cndmask_b32_e32 v4, v4, v35, vcc_lo
	;; [unrolled: 4-line block ×3, first 2 shown]
	v_cmp_lt_f32_e32 vcc_lo, v0, v3
	s_delay_alu instid0(VALU_DEP_2) | instskip(SKIP_1) | instid1(VALU_DEP_1)
	v_dual_cndmask_b32 v0, v0, v3 :: v_dual_cndmask_b32 v1, v1, v37
	s_waitcnt vmcnt(1)
	v_cmp_lt_f32_e32 vcc_lo, v0, v39
	s_delay_alu instid0(VALU_DEP_2) | instskip(SKIP_1) | instid1(VALU_DEP_2)
	v_dual_cndmask_b32 v0, v0, v39 :: v_dual_cndmask_b32 v1, v1, v38
	v_or_b32_e32 v39, 26, v32
	v_cmp_lt_f32_e32 vcc_lo, v0, v40
	s_delay_alu instid0(VALU_DEP_2) | instskip(SKIP_1) | instid1(VALU_DEP_2)
	v_dual_cndmask_b32 v0, v0, v40 :: v_dual_cndmask_b32 v1, v1, v39
	v_or_b32_e32 v40, 27, v32
	;; [unrolled: 4-line block ×3, first 2 shown]
	v_cmp_lt_f32_e32 vcc_lo, v0, v42
	s_delay_alu instid0(VALU_DEP_2) | instskip(SKIP_2) | instid1(VALU_DEP_2)
	v_dual_cndmask_b32 v0, v0, v42 :: v_dual_cndmask_b32 v1, v1, v41
	v_or_b32_e32 v42, 29, v32
	s_waitcnt vmcnt(0)
	v_cmp_lt_f32_e32 vcc_lo, v0, v43
	s_delay_alu instid0(VALU_DEP_2) | instskip(SKIP_1) | instid1(VALU_DEP_2)
	v_dual_cndmask_b32 v0, v0, v43 :: v_dual_cndmask_b32 v1, v1, v42
	v_or_b32_e32 v43, 30, v32
	v_cmp_lt_f32_e32 vcc_lo, v0, v44
	s_delay_alu instid0(VALU_DEP_2) | instskip(SKIP_1) | instid1(VALU_DEP_2)
	v_dual_cndmask_b32 v0, v0, v44 :: v_dual_cndmask_b32 v1, v1, v43
	v_or_b32_e32 v44, 31, v32
	v_cmp_lt_f32_e32 vcc_lo, v0, v45
	s_delay_alu instid0(VALU_DEP_2) | instskip(NEXT) | instid1(VALU_DEP_1)
	v_dual_cndmask_b32 v1, v1, v44 :: v_dual_cndmask_b32 v0, v0, v45
	v_mov_b32_dpp v4, v1 quad_perm:[1,0,3,2] row_mask:0xf bank_mask:0xf
	s_delay_alu instid0(VALU_DEP_2) | instskip(NEXT) | instid1(VALU_DEP_2)
	v_mov_b32_dpp v5, v0 quad_perm:[1,0,3,2] row_mask:0xf bank_mask:0xf
	v_cmp_lt_i32_e32 vcc_lo, v4, v1
	s_delay_alu instid0(VALU_DEP_2) | instskip(SKIP_1) | instid1(VALU_DEP_2)
	v_cmp_eq_f32_e64 s2, v0, v5
	v_cmp_lt_f32_e64 s3, v0, v5
	s_and_b32 s2, s2, vcc_lo
	s_delay_alu instid0(VALU_DEP_1) | instid1(SALU_CYCLE_1)
	s_or_b32 vcc_lo, s3, s2
	v_dual_cndmask_b32 v0, v0, v5 :: v_dual_cndmask_b32 v1, v1, v4
	s_delay_alu instid0(VALU_DEP_1) | instskip(NEXT) | instid1(VALU_DEP_2)
	v_mov_b32_dpp v4, v0 quad_perm:[2,3,0,1] row_mask:0xf bank_mask:0xf
	v_mov_b32_dpp v5, v1 quad_perm:[2,3,0,1] row_mask:0xf bank_mask:0xf
	s_delay_alu instid0(VALU_DEP_2) | instskip(NEXT) | instid1(VALU_DEP_2)
	v_cmp_eq_f32_e32 vcc_lo, v0, v4
	v_cmp_lt_i32_e64 s2, v5, v1
	v_cmp_lt_f32_e64 s3, v0, v4
	s_delay_alu instid0(VALU_DEP_2)
	s_and_b32 s2, vcc_lo, s2
	s_delay_alu instid0(VALU_DEP_1) | instid1(SALU_CYCLE_1)
	s_or_b32 vcc_lo, s3, s2
	v_dual_cndmask_b32 v1, v1, v5 :: v_dual_cndmask_b32 v0, v0, v4
	s_delay_alu instid0(VALU_DEP_1) | instskip(NEXT) | instid1(VALU_DEP_2)
	v_mov_b32_dpp v5, v1 row_half_mirror row_mask:0xf bank_mask:0xf
	v_mov_b32_dpp v4, v0 row_half_mirror row_mask:0xf bank_mask:0xf
	s_delay_alu instid0(VALU_DEP_2) | instskip(NEXT) | instid1(VALU_DEP_2)
	v_cmp_lt_i32_e64 s2, v5, v1
	v_cmp_eq_f32_e32 vcc_lo, v0, v4
	v_cmp_lt_f32_e64 s3, v0, v4
	s_delay_alu instid0(VALU_DEP_3)
	s_and_b32 s2, vcc_lo, s2
	s_delay_alu instid0(VALU_DEP_1) | instid1(SALU_CYCLE_1)
	s_or_b32 vcc_lo, s3, s2
	v_cndmask_b32_e32 v6, v0, v4, vcc_lo
	v_cndmask_b32_e32 v0, v1, v5, vcc_lo
	s_delay_alu instid0(VALU_DEP_2) | instskip(NEXT) | instid1(VALU_DEP_2)
	v_mov_b32_dpp v1, v6 row_mirror row_mask:0xf bank_mask:0xf
	v_mov_b32_dpp v4, v0 row_mirror row_mask:0xf bank_mask:0xf
	s_delay_alu instid0(VALU_DEP_2) | instskip(NEXT) | instid1(VALU_DEP_2)
	v_cmp_eq_f32_e32 vcc_lo, v6, v1
	v_cmp_lt_i32_e64 s2, v4, v0
	v_cmp_lt_f32_e64 s3, v6, v1
	s_delay_alu instid0(VALU_DEP_2) | instskip(SKIP_1) | instid1(VALU_DEP_2)
	s_and_b32 s2, vcc_lo, s2
	v_cmp_eq_u32_e32 vcc_lo, 0, v30
	s_or_b32 s2, s3, s2
	s_waitcnt lgkmcnt(0)
	s_cmp_gt_i32 s4, 0
	v_cndmask_b32_e64 v7, v6, v1, s2
	s_cselect_b32 s3, -1, 0
	s_cmp_lt_i32 s4, 1
	s_cbranch_scc1 .LBB205_19
; %bb.7:
	s_load_b128 s[8:11], s[0:1], 0x20
	v_mul_lo_u32 v1, v29, s7
	v_mul_lo_u32 v3, v29, s14
	;; [unrolled: 1-line block ×3, first 2 shown]
	v_cndmask_b32_e64 v0, v0, v4, s2
	v_mov_b32_e32 v31, 0
	s_and_saveexec_b32 s2, vcc_lo
	s_cbranch_execz .LBB205_9
; %bb.8:
	v_sub_f32_e32 v31, v7, v7
	v_cmp_le_i32_e64 s0, s5, v0
	v_cmp_gt_i32_e64 s1, s6, v0
	v_subrev_nc_u32_e32 v51, s5, v0
	v_ashrrev_i32_e32 v6, 31, v5
	v_mul_f32_e32 v2, 0x3fb8aa3b, v31
	s_delay_alu instid0(VALU_DEP_4) | instskip(NEXT) | instid1(SALU_CYCLE_1)
	s_and_b32 s0, s0, s1
	s_and_b32 s0, s17, s0
	s_delay_alu instid0(VALU_DEP_1) | instskip(SKIP_2) | instid1(VALU_DEP_3)
	v_rndne_f32_e32 v47, v2
	v_fma_f32 v4, 0x3fb8aa3b, v31, -v2
	v_lshlrev_b64 v[49:50], 2, v[5:6]
	v_sub_f32_e32 v2, v2, v47
	s_delay_alu instid0(VALU_DEP_3) | instskip(NEXT) | instid1(VALU_DEP_1)
	v_fmamk_f32 v4, v31, 0x32a5705f, v4
	v_add_f32_e32 v4, v2, v4
	v_ashrrev_i32_e32 v2, 31, v1
	s_delay_alu instid0(VALU_DEP_2) | instskip(NEXT) | instid1(VALU_DEP_1)
	v_exp_f32_e32 v52, v4
	v_lshlrev_b64 v[45:46], 2, v[1:2]
	v_ashrrev_i32_e32 v4, 31, v3
	v_cvt_i32_f32_e32 v2, v47
	s_delay_alu instid0(VALU_DEP_2) | instskip(SKIP_2) | instid1(VALU_DEP_1)
	v_lshlrev_b64 v[47:48], 2, v[3:4]
	v_cndmask_b32_e64 v4, 0x200, v51, s0
	v_add_co_u32 v45, s0, s12, v45
	v_add_co_ci_u32_e64 v46, s0, s13, v46, s0
	s_delay_alu instid0(TRANS32_DEP_1) | instskip(SKIP_1) | instid1(VALU_DEP_1)
	v_ldexp_f32 v2, v52, v2
	v_cmp_ngt_f32_e64 s0, 0xc2ce8ed0, v31
	v_cndmask_b32_e64 v2, 0, v2, s0
	s_waitcnt lgkmcnt(0)
	v_add_co_u32 v47, s0, s8, v47
	s_delay_alu instid0(VALU_DEP_1) | instskip(SKIP_1) | instid1(VALU_DEP_1)
	v_add_co_ci_u32_e64 v48, s0, s9, v48, s0
	v_cmp_nlt_f32_e64 s0, 0x42b17218, v31
	v_cndmask_b32_e64 v31, 0x7f800000, v2, s0
	v_add_co_u32 v49, s0, s10, v49
	s_delay_alu instid0(VALU_DEP_1)
	v_add_co_ci_u32_e64 v50, s0, s11, v50, s0
	global_store_b32 v[47:48], v4, off
	global_store_b32 v[45:46], v31, off
	;; [unrolled: 1-line block ×3, first 2 shown]
.LBB205_9:
	s_or_b32 exec_lo, exec_lo, s2
	v_ashrrev_i32_e32 v4, 31, v0
	s_mov_b32 s1, exec_lo
	s_delay_alu instid0(VALU_DEP_1) | instskip(NEXT) | instid1(VALU_DEP_1)
	v_lshrrev_b32_e32 v2, 27, v4
	v_add_nc_u32_e32 v2, v0, v2
	s_delay_alu instid0(VALU_DEP_1) | instskip(NEXT) | instid1(VALU_DEP_1)
	v_ashrrev_i32_e32 v2, 5, v2
	v_lshrrev_b32_e32 v6, 28, v2
	s_delay_alu instid0(VALU_DEP_1) | instskip(NEXT) | instid1(VALU_DEP_1)
	v_add_nc_u32_e32 v6, v2, v6
	v_and_b32_e32 v6, -16, v6
	s_delay_alu instid0(VALU_DEP_1) | instskip(NEXT) | instid1(VALU_DEP_1)
	v_sub_nc_u32_e32 v6, v2, v6
	v_cmpx_eq_u32_e64 v30, v6
	s_cbranch_execz .LBB205_11
; %bb.10:
	v_lshrrev_b32_e32 v4, 23, v4
	v_lshlrev_b32_e32 v2, 5, v2
	s_delay_alu instid0(VALU_DEP_2) | instskip(NEXT) | instid1(VALU_DEP_2)
	v_add_nc_u32_e32 v4, v0, v4
	v_sub_nc_u32_e32 v0, v0, v2
	s_delay_alu instid0(VALU_DEP_2) | instskip(NEXT) | instid1(VALU_DEP_1)
	v_ashrrev_i32_e32 v2, 9, v4
	v_lshl_add_u32 v0, v2, 5, v0
	v_mov_b32_e32 v2, 0xff800000
	s_delay_alu instid0(VALU_DEP_2)
	v_lshl_add_u32 v0, v0, 2, 0
	scratch_store_b32 v0, v2, off
.LBB205_11:
	s_or_b32 exec_lo, exec_lo, s1
	s_cmp_eq_u32 s4, 1
	s_cbranch_scc1 .LBB205_18
; %bb.12:
	s_add_i32 s18, s18, s16
	v_add_nc_u32_e32 v0, 1, v5
	v_add3_u32 v6, s18, v34, v33
	v_dual_mov_b32 v33, 0xff800000 :: v_dual_add_nc_u32 v2, 1, v3
	v_add_nc_u32_e32 v4, 1, v1
	s_add_i32 s14, s4, -1
	s_branch .LBB205_14
.LBB205_13:                             ;   in Loop: Header=BB205_14 Depth=1
	s_or_b32 exec_lo, exec_lo, s1
	v_add_nc_u32_e32 v6, s16, v6
	v_add_nc_u32_e32 v0, 1, v0
	;; [unrolled: 1-line block ×4, first 2 shown]
	s_add_i32 s14, s14, -1
	s_delay_alu instid0(SALU_CYCLE_1)
	s_cmp_eq_u32 s14, 0
	s_cbranch_scc1 .LBB205_18
.LBB205_14:                             ; =>This Inner Loop Header: Depth=1
	s_clause 0x7
	scratch_load_b128 v[45:48], off, off
	scratch_load_b128 v[49:52], off, off offset:16
	scratch_load_b128 v[53:56], off, off offset:32
	;; [unrolled: 1-line block ×7, first 2 shown]
	s_waitcnt vmcnt(7)
	v_cmp_gt_f32_e64 s0, v46, v45
	s_delay_alu instid0(VALU_DEP_1) | instskip(SKIP_1) | instid1(VALU_DEP_2)
	v_cndmask_b32_e64 v3, v45, v46, s0
	v_cndmask_b32_e64 v1, v32, v10, s0
	v_cmp_gt_f32_e64 s0, v47, v3
	s_delay_alu instid0(VALU_DEP_1) | instskip(NEXT) | instid1(VALU_DEP_3)
	v_cndmask_b32_e64 v3, v3, v47, s0
	v_cndmask_b32_e64 v1, v1, v11, s0
	s_delay_alu instid0(VALU_DEP_2) | instskip(NEXT) | instid1(VALU_DEP_1)
	v_cmp_gt_f32_e64 s0, v48, v3
	v_cndmask_b32_e64 v3, v3, v48, s0
	s_delay_alu instid0(VALU_DEP_3) | instskip(SKIP_1) | instid1(VALU_DEP_2)
	v_cndmask_b32_e64 v1, v1, v12, s0
	s_waitcnt vmcnt(6)
	v_cmp_gt_f32_e64 s0, v49, v3
	s_delay_alu instid0(VALU_DEP_1) | instskip(NEXT) | instid1(VALU_DEP_3)
	v_cndmask_b32_e64 v3, v3, v49, s0
	v_cndmask_b32_e64 v1, v1, v25, s0
	s_delay_alu instid0(VALU_DEP_2) | instskip(NEXT) | instid1(VALU_DEP_1)
	v_cmp_gt_f32_e64 s0, v50, v3
	v_cndmask_b32_e64 v3, v3, v50, s0
	s_delay_alu instid0(VALU_DEP_3) | instskip(NEXT) | instid1(VALU_DEP_2)
	v_cndmask_b32_e64 v1, v1, v21, s0
	v_cmp_gt_f32_e64 s0, v51, v3
	s_delay_alu instid0(VALU_DEP_1) | instskip(NEXT) | instid1(VALU_DEP_3)
	v_cndmask_b32_e64 v3, v3, v51, s0
	v_cndmask_b32_e64 v1, v1, v22, s0
	s_delay_alu instid0(VALU_DEP_2) | instskip(NEXT) | instid1(VALU_DEP_1)
	v_cmp_gt_f32_e64 s0, v52, v3
	v_cndmask_b32_e64 v3, v3, v52, s0
	s_delay_alu instid0(VALU_DEP_3) | instskip(SKIP_1) | instid1(VALU_DEP_2)
	v_cndmask_b32_e64 v1, v1, v23, s0
	s_waitcnt vmcnt(5)
	v_cmp_gt_f32_e64 s0, v53, v3
	s_delay_alu instid0(VALU_DEP_1) | instskip(NEXT) | instid1(VALU_DEP_3)
	v_cndmask_b32_e64 v3, v3, v53, s0
	v_cndmask_b32_e64 v1, v1, v24, s0
	s_delay_alu instid0(VALU_DEP_2) | instskip(NEXT) | instid1(VALU_DEP_1)
	v_cmp_gt_f32_e64 s0, v54, v3
	v_cndmask_b32_e64 v3, v3, v54, s0
	s_delay_alu instid0(VALU_DEP_3) | instskip(NEXT) | instid1(VALU_DEP_2)
	;; [unrolled: 19-line block ×7, first 2 shown]
	v_cndmask_b32_e64 v1, v1, v42, s0
	v_cmp_gt_f32_e64 s0, v75, v3
	s_delay_alu instid0(VALU_DEP_1) | instskip(NEXT) | instid1(VALU_DEP_3)
	v_cndmask_b32_e64 v3, v3, v75, s0
	v_cndmask_b32_e64 v1, v1, v43, s0
	s_delay_alu instid0(VALU_DEP_2) | instskip(NEXT) | instid1(VALU_DEP_1)
	v_cmp_gt_f32_e64 s0, v76, v3
	v_cndmask_b32_e64 v1, v1, v44, s0
	v_cndmask_b32_e64 v3, v3, v76, s0
	s_delay_alu instid0(VALU_DEP_2) | instskip(NEXT) | instid1(VALU_DEP_2)
	v_mov_b32_dpp v5, v1 quad_perm:[1,0,3,2] row_mask:0xf bank_mask:0xf
	v_mov_b32_dpp v34, v3 quad_perm:[1,0,3,2] row_mask:0xf bank_mask:0xf
	s_delay_alu instid0(VALU_DEP_2) | instskip(NEXT) | instid1(VALU_DEP_2)
	v_cmp_lt_i32_e64 s0, v5, v1
	v_cmp_eq_f32_e64 s1, v3, v34
	v_cmp_lt_f32_e64 s2, v3, v34
	s_delay_alu instid0(VALU_DEP_2)
	s_and_b32 s0, s1, s0
	s_delay_alu instid0(VALU_DEP_1) | instid1(SALU_CYCLE_1)
	s_or_b32 s0, s2, s0
	s_delay_alu instid0(SALU_CYCLE_1) | instskip(SKIP_1) | instid1(VALU_DEP_2)
	v_cndmask_b32_e64 v3, v3, v34, s0
	v_cndmask_b32_e64 v1, v1, v5, s0
	v_mov_b32_dpp v5, v3 quad_perm:[2,3,0,1] row_mask:0xf bank_mask:0xf
	s_delay_alu instid0(VALU_DEP_2) | instskip(NEXT) | instid1(VALU_DEP_2)
	v_mov_b32_dpp v34, v1 quad_perm:[2,3,0,1] row_mask:0xf bank_mask:0xf
	v_cmp_eq_f32_e64 s0, v3, v5
	s_delay_alu instid0(VALU_DEP_2) | instskip(SKIP_1) | instid1(VALU_DEP_2)
	v_cmp_lt_i32_e64 s1, v34, v1
	v_cmp_lt_f32_e64 s2, v3, v5
	s_and_b32 s0, s0, s1
	s_delay_alu instid0(VALU_DEP_1) | instid1(SALU_CYCLE_1)
	s_or_b32 s0, s2, s0
	s_delay_alu instid0(SALU_CYCLE_1) | instskip(SKIP_1) | instid1(VALU_DEP_2)
	v_cndmask_b32_e64 v3, v3, v5, s0
	v_cndmask_b32_e64 v5, v1, v34, s0
	v_mov_b32_dpp v1, v3 row_half_mirror row_mask:0xf bank_mask:0xf
	s_delay_alu instid0(VALU_DEP_2) | instskip(NEXT) | instid1(VALU_DEP_2)
	v_mov_b32_dpp v34, v5 row_half_mirror row_mask:0xf bank_mask:0xf
	v_cmp_eq_f32_e64 s0, v3, v1
	s_delay_alu instid0(VALU_DEP_2) | instskip(SKIP_1) | instid1(VALU_DEP_2)
	v_cmp_lt_i32_e64 s1, v34, v5
	v_cmp_lt_f32_e64 s2, v3, v1
	s_and_b32 s0, s0, s1
	s_delay_alu instid0(VALU_DEP_1) | instid1(SALU_CYCLE_1)
	s_or_b32 s0, s2, s0
	s_delay_alu instid0(SALU_CYCLE_1) | instskip(SKIP_1) | instid1(VALU_DEP_2)
	v_cndmask_b32_e64 v1, v3, v1, s0
	v_cndmask_b32_e64 v5, v5, v34, s0
	v_mov_b32_dpp v3, v1 row_mirror row_mask:0xf bank_mask:0xf
	s_delay_alu instid0(VALU_DEP_2) | instskip(NEXT) | instid1(VALU_DEP_2)
	v_mov_b32_dpp v34, v5 row_mirror row_mask:0xf bank_mask:0xf
	v_cmp_eq_f32_e64 s0, v1, v3
	s_delay_alu instid0(VALU_DEP_2) | instskip(SKIP_1) | instid1(VALU_DEP_2)
	v_cmp_lt_i32_e64 s1, v34, v5
	v_cmp_lt_f32_e64 s2, v1, v3
	s_and_b32 s0, s0, s1
	s_delay_alu instid0(VALU_DEP_1) | instid1(SALU_CYCLE_1)
	s_or_b32 s0, s2, s0
	s_delay_alu instid0(SALU_CYCLE_1)
	v_cndmask_b32_e64 v34, v5, v34, s0
	s_and_saveexec_b32 s2, vcc_lo
	s_cbranch_execz .LBB205_16
; %bb.15:                               ;   in Loop: Header=BB205_14 Depth=1
	v_cndmask_b32_e64 v1, v1, v3, s0
	s_delay_alu instid0(VALU_DEP_2) | instskip(SKIP_4) | instid1(VALU_DEP_4)
	v_cmp_le_i32_e64 s0, s5, v34
	v_cmp_gt_i32_e64 s1, s6, v34
	v_ashrrev_i32_e32 v5, 31, v4
	v_subrev_nc_u32_e32 v52, s5, v34
	v_sub_f32_e32 v51, v1, v7
	s_and_b32 s0, s0, s1
	s_delay_alu instid0(SALU_CYCLE_1) | instskip(NEXT) | instid1(VALU_DEP_1)
	s_and_b32 s0, s17, s0
	v_mul_f32_e32 v1, 0x3fb8aa3b, v51
	s_delay_alu instid0(VALU_DEP_1) | instskip(SKIP_1) | instid1(VALU_DEP_2)
	v_fma_f32 v3, 0x3fb8aa3b, v51, -v1
	v_rndne_f32_e32 v45, v1
	v_fmac_f32_e32 v3, 0x32a5705f, v51
	s_delay_alu instid0(VALU_DEP_2) | instskip(SKIP_2) | instid1(VALU_DEP_3)
	v_sub_f32_e32 v1, v1, v45
	v_cvt_i32_f32_e32 v50, v45
	v_lshlrev_b64 v[45:46], 2, v[4:5]
	v_add_f32_e32 v1, v1, v3
	v_ashrrev_i32_e32 v3, 31, v2
	s_delay_alu instid0(VALU_DEP_2) | instskip(SKIP_1) | instid1(VALU_DEP_2)
	v_exp_f32_e32 v49, v1
	v_ashrrev_i32_e32 v1, 31, v0
	v_lshlrev_b64 v[47:48], 2, v[2:3]
	s_waitcnt_depctr 0xfff
	v_ldexp_f32 v3, v49, v50
	v_lshlrev_b64 v[49:50], 2, v[0:1]
	v_cndmask_b32_e64 v1, 0x200, v52, s0
	v_cmp_ngt_f32_e64 s0, 0xc2ce8ed0, v51
	s_delay_alu instid0(VALU_DEP_1) | instskip(SKIP_1) | instid1(VALU_DEP_1)
	v_cndmask_b32_e64 v3, 0, v3, s0
	v_add_co_u32 v45, s0, s12, v45
	v_add_co_ci_u32_e64 v46, s0, s13, v46, s0
	v_cmp_nlt_f32_e64 s0, 0x42b17218, v51
	s_delay_alu instid0(VALU_DEP_1) | instskip(SKIP_2) | instid1(VALU_DEP_1)
	v_cndmask_b32_e64 v3, 0x7f800000, v3, s0
	s_waitcnt lgkmcnt(0)
	v_add_co_u32 v47, s0, s8, v47
	v_add_co_ci_u32_e64 v48, s0, s9, v48, s0
	v_add_co_u32 v49, s0, s10, v49
	v_add_f32_e32 v31, v31, v3
	v_add_co_ci_u32_e64 v50, s0, s11, v50, s0
	global_store_b32 v[45:46], v3, off
	global_store_b32 v[47:48], v1, off
	;; [unrolled: 1-line block ×3, first 2 shown]
.LBB205_16:                             ;   in Loop: Header=BB205_14 Depth=1
	s_or_b32 exec_lo, exec_lo, s2
	s_delay_alu instid0(VALU_DEP_1) | instskip(SKIP_1) | instid1(VALU_DEP_1)
	v_ashrrev_i32_e32 v3, 31, v34
	s_mov_b32 s1, exec_lo
	v_lshrrev_b32_e32 v1, 27, v3
	s_delay_alu instid0(VALU_DEP_1) | instskip(NEXT) | instid1(VALU_DEP_1)
	v_add_nc_u32_e32 v1, v34, v1
	v_ashrrev_i32_e32 v1, 5, v1
	s_delay_alu instid0(VALU_DEP_1) | instskip(NEXT) | instid1(VALU_DEP_1)
	v_lshrrev_b32_e32 v5, 28, v1
	v_add_nc_u32_e32 v5, v1, v5
	s_delay_alu instid0(VALU_DEP_1) | instskip(NEXT) | instid1(VALU_DEP_1)
	v_and_b32_e32 v5, -16, v5
	v_sub_nc_u32_e32 v5, v1, v5
	s_delay_alu instid0(VALU_DEP_1)
	v_cmpx_eq_u32_e64 v30, v5
	s_cbranch_execz .LBB205_13
; %bb.17:                               ;   in Loop: Header=BB205_14 Depth=1
	v_lshrrev_b32_e32 v3, 23, v3
	v_lshlrev_b32_e32 v1, 5, v1
	s_delay_alu instid0(VALU_DEP_2) | instskip(NEXT) | instid1(VALU_DEP_2)
	v_add_nc_u32_e32 v3, v34, v3
	v_sub_nc_u32_e32 v1, v34, v1
	s_delay_alu instid0(VALU_DEP_2) | instskip(NEXT) | instid1(VALU_DEP_1)
	v_ashrrev_i32_e32 v3, 9, v3
	v_lshl_add_u32 v1, v3, 5, v1
	s_delay_alu instid0(VALU_DEP_1)
	v_lshl_add_u32 v1, v1, 2, 0
	scratch_store_b32 v1, v33, off
	s_branch .LBB205_13
.LBB205_18:
	scratch_load_b64 v[2:3], off, off offset:92
.LBB205_19:
	scratch_load_b128 v[8:11], off, off
	s_waitcnt vmcnt(0)
	v_sub_f32_e32 v0, v8, v7
	s_delay_alu instid0(VALU_DEP_1) | instskip(NEXT) | instid1(VALU_DEP_1)
	v_mul_f32_e32 v1, 0x3fb8aa3b, v0
	v_fma_f32 v4, 0x3fb8aa3b, v0, -v1
	v_rndne_f32_e32 v5, v1
	s_delay_alu instid0(VALU_DEP_1) | instskip(SKIP_1) | instid1(VALU_DEP_4)
	v_sub_f32_e32 v1, v1, v5
	v_cmp_ngt_f32_e32 vcc_lo, 0xc2ce8ed0, v0
	v_fmac_f32_e32 v4, 0x32a5705f, v0
	s_delay_alu instid0(VALU_DEP_1) | instskip(SKIP_1) | instid1(VALU_DEP_2)
	v_add_f32_e32 v1, v1, v4
	v_cvt_i32_f32_e32 v4, v5
	v_exp_f32_e32 v1, v1
	s_waitcnt_depctr 0xfff
	v_ldexp_f32 v1, v1, v4
	s_delay_alu instid0(VALU_DEP_1) | instskip(SKIP_1) | instid1(VALU_DEP_2)
	v_cndmask_b32_e32 v1, 0, v1, vcc_lo
	v_cmp_nlt_f32_e32 vcc_lo, 0x42b17218, v0
	v_dual_cndmask_b32 v0, 0x7f800000, v1 :: v_dual_sub_f32 v1, v9, v7
	s_delay_alu instid0(VALU_DEP_1) | instskip(SKIP_1) | instid1(VALU_DEP_2)
	v_mul_f32_e32 v4, 0x3fb8aa3b, v1
	v_cmp_ngt_f32_e32 vcc_lo, 0xc2ce8ed0, v1
	v_fma_f32 v5, 0x3fb8aa3b, v1, -v4
	v_rndne_f32_e32 v6, v4
	s_delay_alu instid0(VALU_DEP_1) | instskip(NEXT) | instid1(VALU_DEP_1)
	v_dual_fmac_f32 v5, 0x32a5705f, v1 :: v_dual_sub_f32 v4, v4, v6
	v_add_f32_e32 v4, v4, v5
	v_cvt_i32_f32_e32 v5, v6
	s_delay_alu instid0(VALU_DEP_2) | instskip(SKIP_2) | instid1(VALU_DEP_1)
	v_exp_f32_e32 v4, v4
	s_waitcnt_depctr 0xfff
	v_ldexp_f32 v4, v4, v5
	v_cndmask_b32_e32 v4, 0, v4, vcc_lo
	v_cmp_nlt_f32_e32 vcc_lo, 0x42b17218, v1
	s_delay_alu instid0(VALU_DEP_2) | instskip(NEXT) | instid1(VALU_DEP_1)
	v_cndmask_b32_e32 v1, 0x7f800000, v4, vcc_lo
	v_dual_add_f32 v0, v0, v1 :: v_dual_sub_f32 v1, v10, v7
	s_delay_alu instid0(VALU_DEP_1) | instskip(SKIP_1) | instid1(VALU_DEP_2)
	v_mul_f32_e32 v4, 0x3fb8aa3b, v1
	v_cmp_ngt_f32_e32 vcc_lo, 0xc2ce8ed0, v1
	v_fma_f32 v5, 0x3fb8aa3b, v1, -v4
	v_rndne_f32_e32 v6, v4
	s_delay_alu instid0(VALU_DEP_1) | instskip(NEXT) | instid1(VALU_DEP_1)
	v_dual_fmac_f32 v5, 0x32a5705f, v1 :: v_dual_sub_f32 v4, v4, v6
	v_add_f32_e32 v4, v4, v5
	v_cvt_i32_f32_e32 v5, v6
	s_delay_alu instid0(VALU_DEP_2) | instskip(SKIP_2) | instid1(VALU_DEP_1)
	v_exp_f32_e32 v4, v4
	s_waitcnt_depctr 0xfff
	v_ldexp_f32 v4, v4, v5
	v_cndmask_b32_e32 v4, 0, v4, vcc_lo
	v_cmp_nlt_f32_e32 vcc_lo, 0x42b17218, v1
	s_delay_alu instid0(VALU_DEP_2) | instskip(NEXT) | instid1(VALU_DEP_1)
	v_cndmask_b32_e32 v1, 0x7f800000, v4, vcc_lo
	v_dual_add_f32 v0, v0, v1 :: v_dual_sub_f32 v1, v11, v7
	scratch_load_b128 v[8:11], off, off offset:16
	v_mul_f32_e32 v4, 0x3fb8aa3b, v1
	v_cmp_ngt_f32_e32 vcc_lo, 0xc2ce8ed0, v1
	s_delay_alu instid0(VALU_DEP_2) | instskip(SKIP_1) | instid1(VALU_DEP_1)
	v_fma_f32 v5, 0x3fb8aa3b, v1, -v4
	v_rndne_f32_e32 v6, v4
	v_dual_fmac_f32 v5, 0x32a5705f, v1 :: v_dual_sub_f32 v4, v4, v6
	s_delay_alu instid0(VALU_DEP_1) | instskip(SKIP_1) | instid1(VALU_DEP_2)
	v_add_f32_e32 v4, v4, v5
	v_cvt_i32_f32_e32 v5, v6
	v_exp_f32_e32 v4, v4
	s_waitcnt_depctr 0xfff
	v_ldexp_f32 v4, v4, v5
	s_delay_alu instid0(VALU_DEP_1) | instskip(SKIP_1) | instid1(VALU_DEP_2)
	v_cndmask_b32_e32 v4, 0, v4, vcc_lo
	v_cmp_nlt_f32_e32 vcc_lo, 0x42b17218, v1
	v_cndmask_b32_e32 v1, 0x7f800000, v4, vcc_lo
	s_delay_alu instid0(VALU_DEP_1) | instskip(SKIP_2) | instid1(VALU_DEP_1)
	v_add_f32_e32 v0, v0, v1
	s_waitcnt vmcnt(0)
	v_sub_f32_e32 v1, v8, v7
	v_mul_f32_e32 v4, 0x3fb8aa3b, v1
	v_cmp_ngt_f32_e32 vcc_lo, 0xc2ce8ed0, v1
	s_delay_alu instid0(VALU_DEP_2) | instskip(SKIP_1) | instid1(VALU_DEP_1)
	v_fma_f32 v5, 0x3fb8aa3b, v1, -v4
	v_rndne_f32_e32 v6, v4
	v_dual_fmac_f32 v5, 0x32a5705f, v1 :: v_dual_sub_f32 v4, v4, v6
	s_delay_alu instid0(VALU_DEP_1) | instskip(SKIP_1) | instid1(VALU_DEP_2)
	v_add_f32_e32 v4, v4, v5
	v_cvt_i32_f32_e32 v5, v6
	v_exp_f32_e32 v4, v4
	s_waitcnt_depctr 0xfff
	v_ldexp_f32 v4, v4, v5
	s_delay_alu instid0(VALU_DEP_1) | instskip(SKIP_1) | instid1(VALU_DEP_2)
	v_cndmask_b32_e32 v4, 0, v4, vcc_lo
	v_cmp_nlt_f32_e32 vcc_lo, 0x42b17218, v1
	v_cndmask_b32_e32 v1, 0x7f800000, v4, vcc_lo
	s_delay_alu instid0(VALU_DEP_1) | instskip(NEXT) | instid1(VALU_DEP_1)
	v_dual_add_f32 v0, v0, v1 :: v_dual_sub_f32 v1, v9, v7
	v_mul_f32_e32 v4, 0x3fb8aa3b, v1
	v_cmp_ngt_f32_e32 vcc_lo, 0xc2ce8ed0, v1
	s_delay_alu instid0(VALU_DEP_2) | instskip(SKIP_1) | instid1(VALU_DEP_1)
	v_fma_f32 v5, 0x3fb8aa3b, v1, -v4
	v_rndne_f32_e32 v6, v4
	v_dual_fmac_f32 v5, 0x32a5705f, v1 :: v_dual_sub_f32 v4, v4, v6
	s_delay_alu instid0(VALU_DEP_1) | instskip(SKIP_1) | instid1(VALU_DEP_2)
	v_add_f32_e32 v4, v4, v5
	v_cvt_i32_f32_e32 v5, v6
	v_exp_f32_e32 v4, v4
	s_waitcnt_depctr 0xfff
	v_ldexp_f32 v4, v4, v5
	s_delay_alu instid0(VALU_DEP_1) | instskip(SKIP_1) | instid1(VALU_DEP_2)
	v_cndmask_b32_e32 v4, 0, v4, vcc_lo
	v_cmp_nlt_f32_e32 vcc_lo, 0x42b17218, v1
	v_cndmask_b32_e32 v1, 0x7f800000, v4, vcc_lo
	s_delay_alu instid0(VALU_DEP_1) | instskip(NEXT) | instid1(VALU_DEP_1)
	v_dual_add_f32 v0, v0, v1 :: v_dual_sub_f32 v1, v10, v7
	v_mul_f32_e32 v4, 0x3fb8aa3b, v1
	v_cmp_ngt_f32_e32 vcc_lo, 0xc2ce8ed0, v1
	s_delay_alu instid0(VALU_DEP_2) | instskip(SKIP_1) | instid1(VALU_DEP_1)
	v_fma_f32 v5, 0x3fb8aa3b, v1, -v4
	v_rndne_f32_e32 v6, v4
	v_dual_fmac_f32 v5, 0x32a5705f, v1 :: v_dual_sub_f32 v4, v4, v6
	s_delay_alu instid0(VALU_DEP_1) | instskip(SKIP_1) | instid1(VALU_DEP_2)
	v_add_f32_e32 v4, v4, v5
	v_cvt_i32_f32_e32 v5, v6
	v_exp_f32_e32 v4, v4
	s_waitcnt_depctr 0xfff
	v_ldexp_f32 v4, v4, v5
	s_delay_alu instid0(VALU_DEP_1) | instskip(SKIP_1) | instid1(VALU_DEP_2)
	v_cndmask_b32_e32 v4, 0, v4, vcc_lo
	v_cmp_nlt_f32_e32 vcc_lo, 0x42b17218, v1
	v_cndmask_b32_e32 v1, 0x7f800000, v4, vcc_lo
	s_delay_alu instid0(VALU_DEP_1) | instskip(SKIP_3) | instid1(VALU_DEP_2)
	v_dual_add_f32 v0, v0, v1 :: v_dual_sub_f32 v1, v11, v7
	scratch_load_b128 v[8:11], off, off offset:32
	v_mul_f32_e32 v4, 0x3fb8aa3b, v1
	v_cmp_ngt_f32_e32 vcc_lo, 0xc2ce8ed0, v1
	v_fma_f32 v5, 0x3fb8aa3b, v1, -v4
	v_rndne_f32_e32 v6, v4
	s_delay_alu instid0(VALU_DEP_1) | instskip(NEXT) | instid1(VALU_DEP_1)
	v_dual_fmac_f32 v5, 0x32a5705f, v1 :: v_dual_sub_f32 v4, v4, v6
	v_add_f32_e32 v4, v4, v5
	v_cvt_i32_f32_e32 v5, v6
	s_delay_alu instid0(VALU_DEP_2) | instskip(SKIP_2) | instid1(VALU_DEP_1)
	v_exp_f32_e32 v4, v4
	s_waitcnt_depctr 0xfff
	v_ldexp_f32 v4, v4, v5
	v_cndmask_b32_e32 v4, 0, v4, vcc_lo
	v_cmp_nlt_f32_e32 vcc_lo, 0x42b17218, v1
	s_delay_alu instid0(VALU_DEP_2) | instskip(NEXT) | instid1(VALU_DEP_1)
	v_cndmask_b32_e32 v1, 0x7f800000, v4, vcc_lo
	v_add_f32_e32 v0, v0, v1
	s_waitcnt vmcnt(0)
	v_sub_f32_e32 v1, v8, v7
	s_delay_alu instid0(VALU_DEP_1) | instskip(SKIP_1) | instid1(VALU_DEP_2)
	v_mul_f32_e32 v4, 0x3fb8aa3b, v1
	v_cmp_ngt_f32_e32 vcc_lo, 0xc2ce8ed0, v1
	v_fma_f32 v5, 0x3fb8aa3b, v1, -v4
	v_rndne_f32_e32 v6, v4
	s_delay_alu instid0(VALU_DEP_1) | instskip(NEXT) | instid1(VALU_DEP_1)
	v_dual_fmac_f32 v5, 0x32a5705f, v1 :: v_dual_sub_f32 v4, v4, v6
	v_add_f32_e32 v4, v4, v5
	v_cvt_i32_f32_e32 v5, v6
	s_delay_alu instid0(VALU_DEP_2) | instskip(SKIP_2) | instid1(VALU_DEP_1)
	v_exp_f32_e32 v4, v4
	s_waitcnt_depctr 0xfff
	v_ldexp_f32 v4, v4, v5
	v_cndmask_b32_e32 v4, 0, v4, vcc_lo
	v_cmp_nlt_f32_e32 vcc_lo, 0x42b17218, v1
	s_delay_alu instid0(VALU_DEP_2) | instskip(NEXT) | instid1(VALU_DEP_1)
	v_cndmask_b32_e32 v1, 0x7f800000, v4, vcc_lo
	v_dual_add_f32 v0, v0, v1 :: v_dual_sub_f32 v1, v9, v7
	s_delay_alu instid0(VALU_DEP_1) | instskip(SKIP_1) | instid1(VALU_DEP_2)
	v_mul_f32_e32 v4, 0x3fb8aa3b, v1
	v_cmp_ngt_f32_e32 vcc_lo, 0xc2ce8ed0, v1
	v_fma_f32 v5, 0x3fb8aa3b, v1, -v4
	v_rndne_f32_e32 v6, v4
	s_delay_alu instid0(VALU_DEP_1) | instskip(NEXT) | instid1(VALU_DEP_1)
	v_dual_fmac_f32 v5, 0x32a5705f, v1 :: v_dual_sub_f32 v4, v4, v6
	v_add_f32_e32 v4, v4, v5
	v_cvt_i32_f32_e32 v5, v6
	s_delay_alu instid0(VALU_DEP_2) | instskip(SKIP_2) | instid1(VALU_DEP_1)
	v_exp_f32_e32 v4, v4
	s_waitcnt_depctr 0xfff
	v_ldexp_f32 v4, v4, v5
	v_cndmask_b32_e32 v4, 0, v4, vcc_lo
	v_cmp_nlt_f32_e32 vcc_lo, 0x42b17218, v1
	s_delay_alu instid0(VALU_DEP_2) | instskip(NEXT) | instid1(VALU_DEP_1)
	v_cndmask_b32_e32 v1, 0x7f800000, v4, vcc_lo
	v_dual_add_f32 v0, v0, v1 :: v_dual_sub_f32 v1, v10, v7
	;; [unrolled: 18-line block ×3, first 2 shown]
	scratch_load_b128 v[8:11], off, off offset:48
	v_mul_f32_e32 v4, 0x3fb8aa3b, v1
	v_cmp_ngt_f32_e32 vcc_lo, 0xc2ce8ed0, v1
	s_delay_alu instid0(VALU_DEP_2) | instskip(SKIP_1) | instid1(VALU_DEP_1)
	v_fma_f32 v5, 0x3fb8aa3b, v1, -v4
	v_rndne_f32_e32 v6, v4
	v_dual_fmac_f32 v5, 0x32a5705f, v1 :: v_dual_sub_f32 v4, v4, v6
	s_delay_alu instid0(VALU_DEP_1) | instskip(SKIP_1) | instid1(VALU_DEP_2)
	v_add_f32_e32 v4, v4, v5
	v_cvt_i32_f32_e32 v5, v6
	v_exp_f32_e32 v4, v4
	s_waitcnt_depctr 0xfff
	v_ldexp_f32 v4, v4, v5
	s_delay_alu instid0(VALU_DEP_1) | instskip(SKIP_1) | instid1(VALU_DEP_2)
	v_cndmask_b32_e32 v4, 0, v4, vcc_lo
	v_cmp_nlt_f32_e32 vcc_lo, 0x42b17218, v1
	v_cndmask_b32_e32 v1, 0x7f800000, v4, vcc_lo
	s_delay_alu instid0(VALU_DEP_1) | instskip(SKIP_2) | instid1(VALU_DEP_1)
	v_add_f32_e32 v0, v0, v1
	s_waitcnt vmcnt(0)
	v_sub_f32_e32 v1, v8, v7
	v_mul_f32_e32 v4, 0x3fb8aa3b, v1
	v_cmp_ngt_f32_e32 vcc_lo, 0xc2ce8ed0, v1
	s_delay_alu instid0(VALU_DEP_2) | instskip(SKIP_1) | instid1(VALU_DEP_1)
	v_fma_f32 v5, 0x3fb8aa3b, v1, -v4
	v_rndne_f32_e32 v6, v4
	v_dual_fmac_f32 v5, 0x32a5705f, v1 :: v_dual_sub_f32 v4, v4, v6
	s_delay_alu instid0(VALU_DEP_1) | instskip(SKIP_1) | instid1(VALU_DEP_2)
	v_add_f32_e32 v4, v4, v5
	v_cvt_i32_f32_e32 v5, v6
	v_exp_f32_e32 v4, v4
	s_waitcnt_depctr 0xfff
	v_ldexp_f32 v4, v4, v5
	s_delay_alu instid0(VALU_DEP_1) | instskip(SKIP_1) | instid1(VALU_DEP_2)
	v_cndmask_b32_e32 v4, 0, v4, vcc_lo
	v_cmp_nlt_f32_e32 vcc_lo, 0x42b17218, v1
	v_cndmask_b32_e32 v1, 0x7f800000, v4, vcc_lo
	s_delay_alu instid0(VALU_DEP_1) | instskip(NEXT) | instid1(VALU_DEP_1)
	v_dual_add_f32 v0, v0, v1 :: v_dual_sub_f32 v1, v9, v7
	v_mul_f32_e32 v4, 0x3fb8aa3b, v1
	v_cmp_ngt_f32_e32 vcc_lo, 0xc2ce8ed0, v1
	s_delay_alu instid0(VALU_DEP_2) | instskip(SKIP_1) | instid1(VALU_DEP_1)
	v_fma_f32 v5, 0x3fb8aa3b, v1, -v4
	v_rndne_f32_e32 v6, v4
	v_dual_fmac_f32 v5, 0x32a5705f, v1 :: v_dual_sub_f32 v4, v4, v6
	s_delay_alu instid0(VALU_DEP_1) | instskip(SKIP_1) | instid1(VALU_DEP_2)
	v_add_f32_e32 v4, v4, v5
	v_cvt_i32_f32_e32 v5, v6
	v_exp_f32_e32 v4, v4
	s_waitcnt_depctr 0xfff
	v_ldexp_f32 v4, v4, v5
	s_delay_alu instid0(VALU_DEP_1) | instskip(SKIP_1) | instid1(VALU_DEP_2)
	v_cndmask_b32_e32 v4, 0, v4, vcc_lo
	v_cmp_nlt_f32_e32 vcc_lo, 0x42b17218, v1
	v_cndmask_b32_e32 v1, 0x7f800000, v4, vcc_lo
	s_delay_alu instid0(VALU_DEP_1) | instskip(NEXT) | instid1(VALU_DEP_1)
	v_dual_add_f32 v0, v0, v1 :: v_dual_sub_f32 v1, v10, v7
	v_mul_f32_e32 v4, 0x3fb8aa3b, v1
	v_cmp_ngt_f32_e32 vcc_lo, 0xc2ce8ed0, v1
	s_delay_alu instid0(VALU_DEP_2) | instskip(SKIP_1) | instid1(VALU_DEP_1)
	v_fma_f32 v5, 0x3fb8aa3b, v1, -v4
	v_rndne_f32_e32 v6, v4
	v_dual_fmac_f32 v5, 0x32a5705f, v1 :: v_dual_sub_f32 v4, v4, v6
	s_delay_alu instid0(VALU_DEP_1) | instskip(SKIP_1) | instid1(VALU_DEP_2)
	v_add_f32_e32 v4, v4, v5
	v_cvt_i32_f32_e32 v5, v6
	v_exp_f32_e32 v4, v4
	s_waitcnt_depctr 0xfff
	v_ldexp_f32 v4, v4, v5
	s_delay_alu instid0(VALU_DEP_1) | instskip(SKIP_1) | instid1(VALU_DEP_2)
	v_cndmask_b32_e32 v4, 0, v4, vcc_lo
	v_cmp_nlt_f32_e32 vcc_lo, 0x42b17218, v1
	v_cndmask_b32_e32 v1, 0x7f800000, v4, vcc_lo
	s_delay_alu instid0(VALU_DEP_1) | instskip(SKIP_3) | instid1(VALU_DEP_2)
	v_dual_add_f32 v0, v0, v1 :: v_dual_sub_f32 v1, v11, v7
	scratch_load_b128 v[8:11], off, off offset:64
	v_mul_f32_e32 v4, 0x3fb8aa3b, v1
	v_cmp_ngt_f32_e32 vcc_lo, 0xc2ce8ed0, v1
	v_fma_f32 v5, 0x3fb8aa3b, v1, -v4
	v_rndne_f32_e32 v6, v4
	s_delay_alu instid0(VALU_DEP_1) | instskip(NEXT) | instid1(VALU_DEP_1)
	v_dual_fmac_f32 v5, 0x32a5705f, v1 :: v_dual_sub_f32 v4, v4, v6
	v_add_f32_e32 v4, v4, v5
	v_cvt_i32_f32_e32 v5, v6
	s_delay_alu instid0(VALU_DEP_2) | instskip(SKIP_2) | instid1(VALU_DEP_1)
	v_exp_f32_e32 v4, v4
	s_waitcnt_depctr 0xfff
	v_ldexp_f32 v4, v4, v5
	v_cndmask_b32_e32 v4, 0, v4, vcc_lo
	v_cmp_nlt_f32_e32 vcc_lo, 0x42b17218, v1
	s_delay_alu instid0(VALU_DEP_2) | instskip(NEXT) | instid1(VALU_DEP_1)
	v_cndmask_b32_e32 v1, 0x7f800000, v4, vcc_lo
	v_add_f32_e32 v0, v0, v1
	s_waitcnt vmcnt(0)
	v_sub_f32_e32 v1, v8, v7
	s_delay_alu instid0(VALU_DEP_1) | instskip(SKIP_1) | instid1(VALU_DEP_2)
	v_mul_f32_e32 v4, 0x3fb8aa3b, v1
	v_cmp_ngt_f32_e32 vcc_lo, 0xc2ce8ed0, v1
	v_fma_f32 v5, 0x3fb8aa3b, v1, -v4
	v_rndne_f32_e32 v6, v4
	s_delay_alu instid0(VALU_DEP_1) | instskip(NEXT) | instid1(VALU_DEP_1)
	v_dual_fmac_f32 v5, 0x32a5705f, v1 :: v_dual_sub_f32 v4, v4, v6
	v_add_f32_e32 v4, v4, v5
	v_cvt_i32_f32_e32 v5, v6
	s_delay_alu instid0(VALU_DEP_2) | instskip(SKIP_2) | instid1(VALU_DEP_1)
	v_exp_f32_e32 v4, v4
	s_waitcnt_depctr 0xfff
	v_ldexp_f32 v4, v4, v5
	v_cndmask_b32_e32 v4, 0, v4, vcc_lo
	v_cmp_nlt_f32_e32 vcc_lo, 0x42b17218, v1
	s_delay_alu instid0(VALU_DEP_2) | instskip(NEXT) | instid1(VALU_DEP_1)
	v_cndmask_b32_e32 v1, 0x7f800000, v4, vcc_lo
	v_dual_add_f32 v0, v0, v1 :: v_dual_sub_f32 v1, v9, v7
	s_delay_alu instid0(VALU_DEP_1) | instskip(SKIP_1) | instid1(VALU_DEP_2)
	v_mul_f32_e32 v4, 0x3fb8aa3b, v1
	v_cmp_ngt_f32_e32 vcc_lo, 0xc2ce8ed0, v1
	v_fma_f32 v5, 0x3fb8aa3b, v1, -v4
	v_rndne_f32_e32 v6, v4
	s_delay_alu instid0(VALU_DEP_1) | instskip(NEXT) | instid1(VALU_DEP_1)
	v_dual_fmac_f32 v5, 0x32a5705f, v1 :: v_dual_sub_f32 v4, v4, v6
	v_add_f32_e32 v4, v4, v5
	v_cvt_i32_f32_e32 v5, v6
	s_delay_alu instid0(VALU_DEP_2) | instskip(SKIP_2) | instid1(VALU_DEP_1)
	v_exp_f32_e32 v4, v4
	s_waitcnt_depctr 0xfff
	v_ldexp_f32 v4, v4, v5
	v_cndmask_b32_e32 v4, 0, v4, vcc_lo
	v_cmp_nlt_f32_e32 vcc_lo, 0x42b17218, v1
	s_delay_alu instid0(VALU_DEP_2) | instskip(NEXT) | instid1(VALU_DEP_1)
	v_cndmask_b32_e32 v1, 0x7f800000, v4, vcc_lo
	v_dual_add_f32 v0, v0, v1 :: v_dual_sub_f32 v1, v10, v7
	s_delay_alu instid0(VALU_DEP_1) | instskip(SKIP_1) | instid1(VALU_DEP_2)
	v_mul_f32_e32 v4, 0x3fb8aa3b, v1
	v_cmp_ngt_f32_e32 vcc_lo, 0xc2ce8ed0, v1
	v_fma_f32 v5, 0x3fb8aa3b, v1, -v4
	v_rndne_f32_e32 v6, v4
	s_delay_alu instid0(VALU_DEP_1) | instskip(NEXT) | instid1(VALU_DEP_1)
	v_dual_fmac_f32 v5, 0x32a5705f, v1 :: v_dual_sub_f32 v4, v4, v6
	v_add_f32_e32 v4, v4, v5
	v_cvt_i32_f32_e32 v5, v6
	s_delay_alu instid0(VALU_DEP_2) | instskip(SKIP_2) | instid1(VALU_DEP_1)
	v_exp_f32_e32 v4, v4
	s_waitcnt_depctr 0xfff
	v_ldexp_f32 v4, v4, v5
	v_cndmask_b32_e32 v4, 0, v4, vcc_lo
	v_cmp_nlt_f32_e32 vcc_lo, 0x42b17218, v1
	s_delay_alu instid0(VALU_DEP_2) | instskip(NEXT) | instid1(VALU_DEP_1)
	v_cndmask_b32_e32 v1, 0x7f800000, v4, vcc_lo
	v_dual_add_f32 v0, v0, v1 :: v_dual_sub_f32 v1, v11, v7
	s_delay_alu instid0(VALU_DEP_1) | instskip(SKIP_1) | instid1(VALU_DEP_2)
	v_mul_f32_e32 v4, 0x3fb8aa3b, v1
	v_cmp_ngt_f32_e32 vcc_lo, 0xc2ce8ed0, v1
	v_fma_f32 v5, 0x3fb8aa3b, v1, -v4
	v_rndne_f32_e32 v6, v4
	s_delay_alu instid0(VALU_DEP_1) | instskip(NEXT) | instid1(VALU_DEP_1)
	v_dual_fmac_f32 v5, 0x32a5705f, v1 :: v_dual_sub_f32 v4, v4, v6
	v_add_f32_e32 v4, v4, v5
	v_cvt_i32_f32_e32 v5, v6
	s_delay_alu instid0(VALU_DEP_2) | instskip(SKIP_2) | instid1(VALU_DEP_1)
	v_exp_f32_e32 v4, v4
	s_waitcnt_depctr 0xfff
	v_ldexp_f32 v4, v4, v5
	v_cndmask_b32_e32 v4, 0, v4, vcc_lo
	v_cmp_nlt_f32_e32 vcc_lo, 0x42b17218, v1
	s_delay_alu instid0(VALU_DEP_2) | instskip(SKIP_4) | instid1(VALU_DEP_1)
	v_cndmask_b32_e32 v1, 0x7f800000, v4, vcc_lo
	scratch_load_b96 v[4:6], off, off offset:80
	v_add_f32_e32 v0, v0, v1
	s_waitcnt vmcnt(0)
	v_sub_f32_e32 v1, v4, v7
	v_mul_f32_e32 v4, 0x3fb8aa3b, v1
	v_cmp_ngt_f32_e32 vcc_lo, 0xc2ce8ed0, v1
	s_delay_alu instid0(VALU_DEP_2) | instskip(SKIP_1) | instid1(VALU_DEP_2)
	v_fma_f32 v8, 0x3fb8aa3b, v1, -v4
	v_rndne_f32_e32 v9, v4
	v_fmac_f32_e32 v8, 0x32a5705f, v1
	s_delay_alu instid0(VALU_DEP_2) | instskip(NEXT) | instid1(VALU_DEP_1)
	v_sub_f32_e32 v4, v4, v9
	v_add_f32_e32 v4, v4, v8
	v_cvt_i32_f32_e32 v8, v9
	s_delay_alu instid0(VALU_DEP_2) | instskip(SKIP_2) | instid1(VALU_DEP_1)
	v_exp_f32_e32 v4, v4
	s_waitcnt_depctr 0xfff
	v_ldexp_f32 v4, v4, v8
	v_cndmask_b32_e32 v4, 0, v4, vcc_lo
	v_cmp_nlt_f32_e32 vcc_lo, 0x42b17218, v1
	s_delay_alu instid0(VALU_DEP_2) | instskip(NEXT) | instid1(VALU_DEP_1)
	v_cndmask_b32_e32 v1, 0x7f800000, v4, vcc_lo
	v_dual_add_f32 v0, v0, v1 :: v_dual_sub_f32 v1, v5, v7
	s_delay_alu instid0(VALU_DEP_1) | instskip(SKIP_1) | instid1(VALU_DEP_2)
	v_mul_f32_e32 v4, 0x3fb8aa3b, v1
	v_cmp_ngt_f32_e32 vcc_lo, 0xc2ce8ed0, v1
	v_fma_f32 v5, 0x3fb8aa3b, v1, -v4
	v_rndne_f32_e32 v8, v4
	s_delay_alu instid0(VALU_DEP_1) | instskip(NEXT) | instid1(VALU_DEP_1)
	v_dual_fmac_f32 v5, 0x32a5705f, v1 :: v_dual_sub_f32 v4, v4, v8
	v_add_f32_e32 v4, v4, v5
	v_cvt_i32_f32_e32 v5, v8
	s_delay_alu instid0(VALU_DEP_2) | instskip(SKIP_2) | instid1(VALU_DEP_1)
	v_exp_f32_e32 v4, v4
	s_waitcnt_depctr 0xfff
	v_ldexp_f32 v4, v4, v5
	v_cndmask_b32_e32 v4, 0, v4, vcc_lo
	v_cmp_nlt_f32_e32 vcc_lo, 0x42b17218, v1
	s_delay_alu instid0(VALU_DEP_2) | instskip(NEXT) | instid1(VALU_DEP_1)
	v_cndmask_b32_e32 v1, 0x7f800000, v4, vcc_lo
	v_dual_add_f32 v0, v0, v1 :: v_dual_sub_f32 v1, v6, v7
	s_delay_alu instid0(VALU_DEP_1) | instskip(SKIP_1) | instid1(VALU_DEP_2)
	v_mul_f32_e32 v4, 0x3fb8aa3b, v1
	v_cmp_ngt_f32_e32 vcc_lo, 0xc2ce8ed0, v1
	v_fma_f32 v5, 0x3fb8aa3b, v1, -v4
	v_rndne_f32_e32 v6, v4
	s_delay_alu instid0(VALU_DEP_1) | instskip(NEXT) | instid1(VALU_DEP_1)
	v_dual_fmac_f32 v5, 0x32a5705f, v1 :: v_dual_sub_f32 v4, v4, v6
	v_add_f32_e32 v4, v4, v5
	v_cvt_i32_f32_e32 v5, v6
	s_delay_alu instid0(VALU_DEP_2) | instskip(SKIP_2) | instid1(VALU_DEP_1)
	v_exp_f32_e32 v4, v4
	s_waitcnt_depctr 0xfff
	v_ldexp_f32 v4, v4, v5
	v_cndmask_b32_e32 v4, 0, v4, vcc_lo
	v_cmp_nlt_f32_e32 vcc_lo, 0x42b17218, v1
	s_delay_alu instid0(VALU_DEP_2) | instskip(NEXT) | instid1(VALU_DEP_1)
	v_cndmask_b32_e32 v1, 0x7f800000, v4, vcc_lo
	v_dual_add_f32 v0, v0, v1 :: v_dual_sub_f32 v1, v2, v7
	s_delay_alu instid0(VALU_DEP_1) | instskip(SKIP_1) | instid1(VALU_DEP_2)
	v_mul_f32_e32 v2, 0x3fb8aa3b, v1
	v_cmp_ngt_f32_e32 vcc_lo, 0xc2ce8ed0, v1
	v_fma_f32 v4, 0x3fb8aa3b, v1, -v2
	v_rndne_f32_e32 v5, v2
	s_delay_alu instid0(VALU_DEP_2) | instskip(NEXT) | instid1(VALU_DEP_2)
	v_fmac_f32_e32 v4, 0x32a5705f, v1
	v_sub_f32_e32 v2, v2, v5
	s_delay_alu instid0(VALU_DEP_1) | instskip(SKIP_1) | instid1(VALU_DEP_2)
	v_add_f32_e32 v2, v2, v4
	v_cvt_i32_f32_e32 v4, v5
	v_exp_f32_e32 v2, v2
	s_waitcnt_depctr 0xfff
	v_ldexp_f32 v2, v2, v4
	s_delay_alu instid0(VALU_DEP_1) | instskip(SKIP_1) | instid1(VALU_DEP_2)
	v_cndmask_b32_e32 v2, 0, v2, vcc_lo
	v_cmp_nlt_f32_e32 vcc_lo, 0x42b17218, v1
	v_cndmask_b32_e32 v1, 0x7f800000, v2, vcc_lo
	s_delay_alu instid0(VALU_DEP_1) | instskip(NEXT) | instid1(VALU_DEP_1)
	v_dual_add_f32 v0, v0, v1 :: v_dual_sub_f32 v1, v3, v7
	v_mul_f32_e32 v2, 0x3fb8aa3b, v1
	v_cmp_ngt_f32_e32 vcc_lo, 0xc2ce8ed0, v1
	s_delay_alu instid0(VALU_DEP_2) | instskip(SKIP_1) | instid1(VALU_DEP_1)
	v_fma_f32 v3, 0x3fb8aa3b, v1, -v2
	v_rndne_f32_e32 v4, v2
	v_dual_fmac_f32 v3, 0x32a5705f, v1 :: v_dual_sub_f32 v2, v2, v4
	s_delay_alu instid0(VALU_DEP_1) | instskip(SKIP_1) | instid1(VALU_DEP_2)
	v_add_f32_e32 v2, v2, v3
	v_cvt_i32_f32_e32 v3, v4
	v_exp_f32_e32 v2, v2
	s_waitcnt_depctr 0xfff
	v_ldexp_f32 v2, v2, v3
	s_delay_alu instid0(VALU_DEP_1) | instskip(SKIP_1) | instid1(VALU_DEP_2)
	v_cndmask_b32_e32 v2, 0, v2, vcc_lo
	v_cmp_nlt_f32_e32 vcc_lo, 0x42b17218, v1
	v_cndmask_b32_e32 v1, 0x7f800000, v2, vcc_lo
	s_delay_alu instid0(VALU_DEP_1) | instskip(SKIP_4) | instid1(VALU_DEP_2)
	v_add_f32_e32 v4, v0, v1
	scratch_load_b128 v[0:3], off, off offset:100
	s_waitcnt vmcnt(0)
	v_sub_f32_e32 v0, v0, v7
	v_sub_f32_e32 v1, v1, v7
	v_mul_f32_e32 v5, 0x3fb8aa3b, v0
	v_cmp_ngt_f32_e32 vcc_lo, 0xc2ce8ed0, v0
	s_delay_alu instid0(VALU_DEP_2) | instskip(SKIP_1) | instid1(VALU_DEP_2)
	v_fma_f32 v6, 0x3fb8aa3b, v0, -v5
	v_rndne_f32_e32 v8, v5
	v_fmac_f32_e32 v6, 0x32a5705f, v0
	s_delay_alu instid0(VALU_DEP_2) | instskip(NEXT) | instid1(VALU_DEP_1)
	v_sub_f32_e32 v5, v5, v8
	v_add_f32_e32 v5, v5, v6
	v_cvt_i32_f32_e32 v6, v8
	s_delay_alu instid0(VALU_DEP_2) | instskip(SKIP_2) | instid1(VALU_DEP_1)
	v_exp_f32_e32 v5, v5
	s_waitcnt_depctr 0xfff
	v_ldexp_f32 v5, v5, v6
	v_cndmask_b32_e32 v5, 0, v5, vcc_lo
	v_cmp_nlt_f32_e32 vcc_lo, 0x42b17218, v0
	s_delay_alu instid0(VALU_DEP_2) | instskip(SKIP_1) | instid1(VALU_DEP_2)
	v_cndmask_b32_e32 v0, 0x7f800000, v5, vcc_lo
	v_cmp_ngt_f32_e32 vcc_lo, 0xc2ce8ed0, v1
	v_add_f32_e32 v0, v4, v0
	v_mul_f32_e32 v4, 0x3fb8aa3b, v1
	s_delay_alu instid0(VALU_DEP_1) | instskip(SKIP_1) | instid1(VALU_DEP_1)
	v_fma_f32 v5, 0x3fb8aa3b, v1, -v4
	v_rndne_f32_e32 v6, v4
	v_dual_fmac_f32 v5, 0x32a5705f, v1 :: v_dual_sub_f32 v4, v4, v6
	s_delay_alu instid0(VALU_DEP_1) | instskip(SKIP_1) | instid1(VALU_DEP_2)
	v_add_f32_e32 v4, v4, v5
	v_cvt_i32_f32_e32 v5, v6
	v_exp_f32_e32 v4, v4
	s_waitcnt_depctr 0xfff
	v_ldexp_f32 v4, v4, v5
	s_delay_alu instid0(VALU_DEP_1) | instskip(SKIP_1) | instid1(VALU_DEP_2)
	v_cndmask_b32_e32 v4, 0, v4, vcc_lo
	v_cmp_nlt_f32_e32 vcc_lo, 0x42b17218, v1
	v_cndmask_b32_e32 v1, 0x7f800000, v4, vcc_lo
	s_delay_alu instid0(VALU_DEP_1) | instskip(NEXT) | instid1(VALU_DEP_1)
	v_dual_add_f32 v0, v0, v1 :: v_dual_sub_f32 v1, v2, v7
	v_mul_f32_e32 v2, 0x3fb8aa3b, v1
	v_cmp_ngt_f32_e32 vcc_lo, 0xc2ce8ed0, v1
	s_delay_alu instid0(VALU_DEP_2) | instskip(SKIP_1) | instid1(VALU_DEP_2)
	v_fma_f32 v4, 0x3fb8aa3b, v1, -v2
	v_rndne_f32_e32 v5, v2
	v_fmac_f32_e32 v4, 0x32a5705f, v1
	s_delay_alu instid0(VALU_DEP_2) | instskip(NEXT) | instid1(VALU_DEP_1)
	v_sub_f32_e32 v2, v2, v5
	v_add_f32_e32 v2, v2, v4
	v_cvt_i32_f32_e32 v4, v5
	s_delay_alu instid0(VALU_DEP_2) | instskip(SKIP_2) | instid1(VALU_DEP_1)
	v_exp_f32_e32 v2, v2
	s_waitcnt_depctr 0xfff
	v_ldexp_f32 v2, v2, v4
	v_cndmask_b32_e32 v2, 0, v2, vcc_lo
	v_cmp_nlt_f32_e32 vcc_lo, 0x42b17218, v1
	s_delay_alu instid0(VALU_DEP_2) | instskip(NEXT) | instid1(VALU_DEP_1)
	v_cndmask_b32_e32 v1, 0x7f800000, v2, vcc_lo
	v_dual_add_f32 v0, v0, v1 :: v_dual_sub_f32 v1, v3, v7
	s_delay_alu instid0(VALU_DEP_1) | instskip(SKIP_1) | instid1(VALU_DEP_2)
	v_mul_f32_e32 v2, 0x3fb8aa3b, v1
	v_cmp_ngt_f32_e32 vcc_lo, 0xc2ce8ed0, v1
	v_fma_f32 v3, 0x3fb8aa3b, v1, -v2
	v_rndne_f32_e32 v4, v2
	s_delay_alu instid0(VALU_DEP_1) | instskip(NEXT) | instid1(VALU_DEP_1)
	v_dual_fmac_f32 v3, 0x32a5705f, v1 :: v_dual_sub_f32 v2, v2, v4
	v_add_f32_e32 v2, v2, v3
	v_cvt_i32_f32_e32 v3, v4
	s_delay_alu instid0(VALU_DEP_2) | instskip(SKIP_2) | instid1(VALU_DEP_1)
	v_exp_f32_e32 v2, v2
	s_waitcnt_depctr 0xfff
	v_ldexp_f32 v2, v2, v3
	v_cndmask_b32_e32 v2, 0, v2, vcc_lo
	v_cmp_nlt_f32_e32 vcc_lo, 0x42b17218, v1
	s_delay_alu instid0(VALU_DEP_2) | instskip(NEXT) | instid1(VALU_DEP_1)
	v_cndmask_b32_e32 v1, 0x7f800000, v2, vcc_lo
	v_add_f32_e32 v3, v0, v1
	scratch_load_b96 v[0:2], off, off offset:116
	s_waitcnt vmcnt(0)
	v_sub_f32_e32 v0, v0, v7
	s_delay_alu instid0(VALU_DEP_1) | instskip(SKIP_1) | instid1(VALU_DEP_2)
	v_dual_sub_f32 v1, v1, v7 :: v_dual_mul_f32 v4, 0x3fb8aa3b, v0
	v_cmp_ngt_f32_e32 vcc_lo, 0xc2ce8ed0, v0
	v_fma_f32 v5, 0x3fb8aa3b, v0, -v4
	v_rndne_f32_e32 v6, v4
	s_delay_alu instid0(VALU_DEP_1) | instskip(NEXT) | instid1(VALU_DEP_1)
	v_dual_fmac_f32 v5, 0x32a5705f, v0 :: v_dual_sub_f32 v4, v4, v6
	v_add_f32_e32 v4, v4, v5
	v_cvt_i32_f32_e32 v5, v6
	s_delay_alu instid0(VALU_DEP_2) | instskip(SKIP_2) | instid1(VALU_DEP_1)
	v_exp_f32_e32 v4, v4
	s_waitcnt_depctr 0xfff
	v_ldexp_f32 v4, v4, v5
	v_cndmask_b32_e32 v4, 0, v4, vcc_lo
	v_cmp_nlt_f32_e32 vcc_lo, 0x42b17218, v0
	s_delay_alu instid0(VALU_DEP_2) | instskip(SKIP_1) | instid1(VALU_DEP_2)
	v_cndmask_b32_e32 v0, 0x7f800000, v4, vcc_lo
	v_cmp_ngt_f32_e32 vcc_lo, 0xc2ce8ed0, v1
	v_dual_add_f32 v0, v3, v0 :: v_dual_mul_f32 v3, 0x3fb8aa3b, v1
	s_delay_alu instid0(VALU_DEP_1) | instskip(SKIP_1) | instid1(VALU_DEP_2)
	v_fma_f32 v4, 0x3fb8aa3b, v1, -v3
	v_rndne_f32_e32 v5, v3
	v_fmac_f32_e32 v4, 0x32a5705f, v1
	s_delay_alu instid0(VALU_DEP_2) | instskip(NEXT) | instid1(VALU_DEP_1)
	v_sub_f32_e32 v3, v3, v5
	v_add_f32_e32 v3, v3, v4
	v_cvt_i32_f32_e32 v4, v5
	s_delay_alu instid0(VALU_DEP_2) | instskip(SKIP_2) | instid1(VALU_DEP_1)
	v_exp_f32_e32 v3, v3
	s_waitcnt_depctr 0xfff
	v_ldexp_f32 v3, v3, v4
	v_cndmask_b32_e32 v3, 0, v3, vcc_lo
	v_cmp_nlt_f32_e32 vcc_lo, 0x42b17218, v1
	s_delay_alu instid0(VALU_DEP_2) | instskip(NEXT) | instid1(VALU_DEP_1)
	v_cndmask_b32_e32 v1, 0x7f800000, v3, vcc_lo
	v_dual_add_f32 v0, v0, v1 :: v_dual_sub_f32 v1, v2, v7
	s_delay_alu instid0(VALU_DEP_1) | instskip(SKIP_1) | instid1(VALU_DEP_2)
	v_mul_f32_e32 v2, 0x3fb8aa3b, v1
	v_cmp_ngt_f32_e32 vcc_lo, 0xc2ce8ed0, v1
	v_fma_f32 v3, 0x3fb8aa3b, v1, -v2
	v_rndne_f32_e32 v4, v2
	s_delay_alu instid0(VALU_DEP_1) | instskip(NEXT) | instid1(VALU_DEP_1)
	v_dual_fmac_f32 v3, 0x32a5705f, v1 :: v_dual_sub_f32 v2, v2, v4
	v_add_f32_e32 v2, v2, v3
	v_cvt_i32_f32_e32 v3, v4
	s_delay_alu instid0(VALU_DEP_2) | instskip(SKIP_2) | instid1(VALU_DEP_1)
	v_exp_f32_e32 v2, v2
	s_waitcnt_depctr 0xfff
	v_ldexp_f32 v2, v2, v3
	v_cndmask_b32_e32 v2, 0, v2, vcc_lo
	v_cmp_nlt_f32_e32 vcc_lo, 0x42b17218, v1
	s_delay_alu instid0(VALU_DEP_2) | instskip(SKIP_1) | instid1(VALU_DEP_2)
	v_cndmask_b32_e32 v1, 0x7f800000, v2, vcc_lo
	v_cmp_eq_u32_e32 vcc_lo, 0, v30
	v_add_f32_e32 v0, v0, v1
	s_delay_alu instid0(VALU_DEP_1) | instskip(NEXT) | instid1(VALU_DEP_1)
	v_mov_b32_dpp v1, v0 quad_perm:[1,0,3,2] row_mask:0xf bank_mask:0xf
	v_add_f32_e32 v0, v0, v1
	s_delay_alu instid0(VALU_DEP_1) | instskip(NEXT) | instid1(VALU_DEP_1)
	v_mov_b32_dpp v1, v0 quad_perm:[2,3,0,1] row_mask:0xf bank_mask:0xf
	v_add_f32_e32 v0, v0, v1
	s_delay_alu instid0(VALU_DEP_1) | instskip(NEXT) | instid1(VALU_DEP_1)
	v_mov_b32_dpp v1, v0 row_half_mirror row_mask:0xf bank_mask:0xf
	v_add_f32_e32 v0, v0, v1
	s_delay_alu instid0(VALU_DEP_1)
	v_mov_b32_dpp v1, v0 row_mirror row_mask:0xf bank_mask:0xf
	s_and_b32 exec_lo, exec_lo, vcc_lo
	s_cbranch_execz .LBB205_24
; %bb.20:
	s_delay_alu instid0(VALU_DEP_1) | instskip(NEXT) | instid1(VALU_DEP_1)
	v_add_f32_e32 v0, v0, v1
	v_add_f32_e32 v0, v31, v0
	s_delay_alu instid0(VALU_DEP_1)
	v_cmp_neq_f32_e32 vcc_lo, 0, v0
	s_and_b32 exec_lo, exec_lo, vcc_lo
	s_cbranch_execz .LBB205_24
; %bb.21:
	s_and_not1_b32 vcc_lo, exec_lo, s3
	s_cbranch_vccnz .LBB205_24
; %bb.22:
	v_div_scale_f32 v2, null, v0, v0, 1.0
	v_div_scale_f32 v4, vcc_lo, 1.0, v0, 1.0
	s_delay_alu instid0(VALU_DEP_2) | instskip(SKIP_2) | instid1(VALU_DEP_1)
	v_rcp_f32_e32 v3, v2
	s_waitcnt_depctr 0xfff
	v_fma_f32 v1, -v2, v3, 1.0
	v_fmac_f32_e32 v3, v1, v3
	v_mul_lo_u32 v1, v29, s7
	s_delay_alu instid0(VALU_DEP_2) | instskip(NEXT) | instid1(VALU_DEP_1)
	v_mul_f32_e32 v5, v4, v3
	v_fma_f32 v6, -v2, v5, v4
	s_delay_alu instid0(VALU_DEP_1) | instskip(NEXT) | instid1(VALU_DEP_1)
	v_fmac_f32_e32 v5, v6, v3
	v_fma_f32 v4, -v2, v5, v4
	v_ashrrev_i32_e32 v2, 31, v1
	s_delay_alu instid0(VALU_DEP_2) | instskip(NEXT) | instid1(VALU_DEP_2)
	v_div_fmas_f32 v5, v4, v3, v5
	v_lshlrev_b64 v[3:4], 2, v[1:2]
	s_delay_alu instid0(VALU_DEP_2) | instskip(NEXT) | instid1(VALU_DEP_2)
	v_div_fixup_f32 v2, v5, v0, 1.0
	v_add_co_u32 v0, vcc_lo, s12, v3
	s_delay_alu instid0(VALU_DEP_3)
	v_add_co_ci_u32_e32 v1, vcc_lo, s13, v4, vcc_lo
.LBB205_23:                             ; =>This Inner Loop Header: Depth=1
	global_load_b32 v3, v[0:1], off
	s_add_i32 s4, s4, -1
	s_delay_alu instid0(SALU_CYCLE_1)
	s_cmp_lg_u32 s4, 0
	s_waitcnt vmcnt(0)
	v_mul_f32_e32 v3, v2, v3
	global_store_b32 v[0:1], v3, off
	v_add_co_u32 v0, vcc_lo, v0, 4
	v_add_co_ci_u32_e32 v1, vcc_lo, 0, v1, vcc_lo
	s_cbranch_scc1 .LBB205_23
.LBB205_24:
	s_endpgm
	.section	.rodata,"a",@progbits
	.p2align	6, 0x0
	.amdhsa_kernel _ZN4vllm3moe17topkGatingSoftmaxIDF16_Li32ELi512ELi2ELi64ELb0ELi8ELNS0_23SharedExpertScoringFuncE1EEEvPKT_PKbPfiPiS9_iiiiii
		.amdhsa_group_segment_fixed_size 0
		.amdhsa_private_segment_fixed_size 144
		.amdhsa_kernarg_size 72
		.amdhsa_user_sgpr_count 15
		.amdhsa_user_sgpr_dispatch_ptr 0
		.amdhsa_user_sgpr_queue_ptr 0
		.amdhsa_user_sgpr_kernarg_segment_ptr 1
		.amdhsa_user_sgpr_dispatch_id 0
		.amdhsa_user_sgpr_private_segment_size 0
		.amdhsa_wavefront_size32 1
		.amdhsa_uses_dynamic_stack 0
		.amdhsa_enable_private_segment 1
		.amdhsa_system_sgpr_workgroup_id_x 1
		.amdhsa_system_sgpr_workgroup_id_y 0
		.amdhsa_system_sgpr_workgroup_id_z 0
		.amdhsa_system_sgpr_workgroup_info 0
		.amdhsa_system_vgpr_workitem_id 1
		.amdhsa_next_free_vgpr 77
		.amdhsa_next_free_sgpr 19
		.amdhsa_reserve_vcc 1
		.amdhsa_float_round_mode_32 0
		.amdhsa_float_round_mode_16_64 0
		.amdhsa_float_denorm_mode_32 3
		.amdhsa_float_denorm_mode_16_64 3
		.amdhsa_dx10_clamp 1
		.amdhsa_ieee_mode 1
		.amdhsa_fp16_overflow 0
		.amdhsa_workgroup_processor_mode 1
		.amdhsa_memory_ordered 1
		.amdhsa_forward_progress 0
		.amdhsa_shared_vgpr_count 0
		.amdhsa_exception_fp_ieee_invalid_op 0
		.amdhsa_exception_fp_denorm_src 0
		.amdhsa_exception_fp_ieee_div_zero 0
		.amdhsa_exception_fp_ieee_overflow 0
		.amdhsa_exception_fp_ieee_underflow 0
		.amdhsa_exception_fp_ieee_inexact 0
		.amdhsa_exception_int_div_zero 0
	.end_amdhsa_kernel
	.section	.text._ZN4vllm3moe17topkGatingSoftmaxIDF16_Li32ELi512ELi2ELi64ELb0ELi8ELNS0_23SharedExpertScoringFuncE1EEEvPKT_PKbPfiPiS9_iiiiii,"axG",@progbits,_ZN4vllm3moe17topkGatingSoftmaxIDF16_Li32ELi512ELi2ELi64ELb0ELi8ELNS0_23SharedExpertScoringFuncE1EEEvPKT_PKbPfiPiS9_iiiiii,comdat
.Lfunc_end205:
	.size	_ZN4vllm3moe17topkGatingSoftmaxIDF16_Li32ELi512ELi2ELi64ELb0ELi8ELNS0_23SharedExpertScoringFuncE1EEEvPKT_PKbPfiPiS9_iiiiii, .Lfunc_end205-_ZN4vllm3moe17topkGatingSoftmaxIDF16_Li32ELi512ELi2ELi64ELb0ELi8ELNS0_23SharedExpertScoringFuncE1EEEvPKT_PKbPfiPiS9_iiiiii
                                        ; -- End function
	.section	.AMDGPU.csdata,"",@progbits
; Kernel info:
; codeLenInByte = 8168
; NumSgprs: 21
; NumVgprs: 77
; ScratchSize: 144
; MemoryBound: 0
; FloatMode: 240
; IeeeMode: 1
; LDSByteSize: 0 bytes/workgroup (compile time only)
; SGPRBlocks: 2
; VGPRBlocks: 9
; NumSGPRsForWavesPerEU: 21
; NumVGPRsForWavesPerEU: 77
; Occupancy: 16
; WaveLimiterHint : 0
; COMPUTE_PGM_RSRC2:SCRATCH_EN: 1
; COMPUTE_PGM_RSRC2:USER_SGPR: 15
; COMPUTE_PGM_RSRC2:TRAP_HANDLER: 0
; COMPUTE_PGM_RSRC2:TGID_X_EN: 1
; COMPUTE_PGM_RSRC2:TGID_Y_EN: 0
; COMPUTE_PGM_RSRC2:TGID_Z_EN: 0
; COMPUTE_PGM_RSRC2:TIDIG_COMP_CNT: 1
	.section	.text._ZN4vllm3moe10moeSoftmaxIDF16_Li256EEEvPKT_PKbPfi,"axG",@progbits,_ZN4vllm3moe10moeSoftmaxIDF16_Li256EEEvPKT_PKbPfi,comdat
	.protected	_ZN4vllm3moe10moeSoftmaxIDF16_Li256EEEvPKT_PKbPfi ; -- Begin function _ZN4vllm3moe10moeSoftmaxIDF16_Li256EEEvPKT_PKbPfi
	.globl	_ZN4vllm3moe10moeSoftmaxIDF16_Li256EEEvPKT_PKbPfi
	.p2align	8
	.type	_ZN4vllm3moe10moeSoftmaxIDF16_Li256EEEvPKT_PKbPfi,@function
_ZN4vllm3moe10moeSoftmaxIDF16_Li256EEEvPKT_PKbPfi: ; @_ZN4vllm3moe10moeSoftmaxIDF16_Li256EEEvPKT_PKbPfi
; %bb.0:
	s_load_b128 s[8:11], s[0:1], 0x0
	s_waitcnt lgkmcnt(0)
	s_cmp_eq_u64 s[10:11], 0
	s_cselect_b32 s2, -1, 0
	s_delay_alu instid0(SALU_CYCLE_1)
	s_and_b32 vcc_lo, exec_lo, s2
	s_cbranch_vccnz .LBB206_2
; %bb.1:
	v_mov_b32_e32 v1, s15
	global_load_u8 v1, v1, s[10:11]
	s_waitcnt vmcnt(0)
	v_and_b32_e32 v1, 1, v1
	s_delay_alu instid0(VALU_DEP_1)
	v_cmp_eq_u32_e32 vcc_lo, 1, v1
	s_xor_b32 s2, vcc_lo, -1
.LBB206_2:
	s_delay_alu instid0(SALU_CYCLE_1)
	s_and_not1_b32 vcc_lo, exec_lo, s2
	s_cbranch_vccnz .LBB206_26
; %bb.3:
	s_clause 0x1
	s_load_b32 s5, s[0:1], 0x18
	s_load_b64 s[6:7], s[0:1], 0x10
	v_mov_b32_e32 v5, 0xff7fffff
	s_waitcnt lgkmcnt(0)
	s_mul_i32 s15, s15, s5
	v_cmp_gt_i32_e64 s0, s5, v0
	v_add_nc_u32_e32 v1, s15, v0
	s_delay_alu instid0(VALU_DEP_1) | instskip(NEXT) | instid1(VALU_DEP_3)
	v_ashrrev_i32_e32 v2, 31, v1
	s_and_saveexec_b32 s2, s0
	s_cbranch_execz .LBB206_7
; %bb.4:
	s_delay_alu instid0(VALU_DEP_1) | instskip(SKIP_2) | instid1(VALU_DEP_2)
	v_lshlrev_b64 v[3:4], 1, v[1:2]
	v_dual_mov_b32 v5, 0xff7fffff :: v_dual_mov_b32 v6, v0
	s_mov_b32 s3, 0
	v_add_co_u32 v3, vcc_lo, s8, v3
	s_delay_alu instid0(VALU_DEP_3)
	v_add_co_ci_u32_e32 v4, vcc_lo, s9, v4, vcc_lo
.LBB206_5:                              ; =>This Inner Loop Header: Depth=1
	global_load_u16 v7, v[3:4], off
	v_dual_max_f32 v5, v5, v5 :: v_dual_add_nc_u32 v6, 0x100, v6
	v_add_co_u32 v3, vcc_lo, 0x200, v3
	v_add_co_ci_u32_e32 v4, vcc_lo, 0, v4, vcc_lo
	s_delay_alu instid0(VALU_DEP_3) | instskip(NEXT) | instid1(VALU_DEP_1)
	v_cmp_le_i32_e64 s1, s5, v6
	s_or_b32 s3, s1, s3
	s_waitcnt vmcnt(0)
	v_cvt_f32_f16_e32 v7, v7
	s_delay_alu instid0(VALU_DEP_1)
	v_max_f32_e32 v5, v7, v5
	s_and_not1_b32 exec_lo, exec_lo, s3
	s_cbranch_execnz .LBB206_5
; %bb.6:
	s_or_b32 exec_lo, exec_lo, s3
.LBB206_7:
	s_delay_alu instid0(SALU_CYCLE_1) | instskip(SKIP_2) | instid1(VALU_DEP_2)
	s_or_b32 exec_lo, exec_lo, s2
	v_mov_b32_dpp v3, v5 quad_perm:[1,0,3,2] row_mask:0xf bank_mask:0xf
	v_lshrrev_b32_e32 v7, 3, v0
	v_cmp_gt_f32_e32 vcc_lo, v5, v3
	v_cndmask_b32_e32 v3, v3, v5, vcc_lo
	v_mbcnt_lo_u32_b32 v5, -1, 0
	s_delay_alu instid0(VALU_DEP_2) | instskip(NEXT) | instid1(VALU_DEP_1)
	v_mov_b32_dpp v4, v3 quad_perm:[2,3,0,1] row_mask:0xf bank_mask:0xf
	v_cmp_gt_f32_e32 vcc_lo, v3, v4
	v_cndmask_b32_e32 v3, v4, v3, vcc_lo
	s_delay_alu instid0(VALU_DEP_1) | instskip(NEXT) | instid1(VALU_DEP_1)
	v_mov_b32_dpp v4, v3 row_ror:4 row_mask:0xf bank_mask:0xf
	v_cmp_gt_f32_e32 vcc_lo, v3, v4
	v_cndmask_b32_e32 v3, v4, v3, vcc_lo
	s_delay_alu instid0(VALU_DEP_1) | instskip(NEXT) | instid1(VALU_DEP_1)
	v_mov_b32_dpp v4, v3 row_ror:8 row_mask:0xf bank_mask:0xf
	v_cmp_gt_f32_e32 vcc_lo, v3, v4
	v_cndmask_b32_e32 v3, v4, v3, vcc_lo
	ds_swizzle_b32 v4, v3 offset:swizzle(BROADCAST,32,15)
	s_waitcnt lgkmcnt(0)
	v_cmp_gt_f32_e32 vcc_lo, v3, v4
	v_dual_cndmask_b32 v3, v4, v3 :: v_dual_mov_b32 v4, 0
	v_cmp_eq_u32_e32 vcc_lo, 0, v5
	ds_bpermute_b32 v3, v4, v3 offset:124
	s_and_saveexec_b32 s1, vcc_lo
	s_cbranch_execz .LBB206_9
; %bb.8:
	v_and_b32_e32 v4, 28, v7
	s_waitcnt lgkmcnt(0)
	ds_store_b32 v4, v3
.LBB206_9:
	s_or_b32 exec_lo, exec_lo, s1
	v_cmp_gt_u32_e64 s1, 32, v0
	v_and_b32_e32 v6, 7, v5
	s_waitcnt lgkmcnt(0)
	s_barrier
	buffer_gl0_inv
	s_and_saveexec_b32 s3, s1
	s_cbranch_execz .LBB206_11
; %bb.10:
	v_lshlrev_b32_e32 v3, 2, v6
	v_cmp_ne_u32_e64 s2, 7, v6
	ds_load_b32 v3, v3
	v_add_co_ci_u32_e64 v4, s2, 0, v5, s2
	v_cmp_gt_u32_e64 s2, 6, v6
	s_delay_alu instid0(VALU_DEP_2) | instskip(NEXT) | instid1(VALU_DEP_2)
	v_lshlrev_b32_e32 v4, 2, v4
	v_cndmask_b32_e64 v8, 0, 1, s2
	s_delay_alu instid0(VALU_DEP_1) | instskip(NEXT) | instid1(VALU_DEP_1)
	v_lshlrev_b32_e32 v8, 1, v8
	v_add_lshl_u32 v8, v8, v5, 2
	s_waitcnt lgkmcnt(0)
	ds_bpermute_b32 v4, v4, v3
	s_waitcnt lgkmcnt(0)
	v_cmp_lt_f32_e64 s2, v3, v4
	s_delay_alu instid0(VALU_DEP_1) | instskip(SKIP_3) | instid1(VALU_DEP_1)
	v_cndmask_b32_e64 v3, v3, v4, s2
	v_cmp_gt_u32_e64 s2, 4, v6
	ds_bpermute_b32 v4, v8, v3
	v_cndmask_b32_e64 v8, 0, 1, s2
	v_lshlrev_b32_e32 v8, 2, v8
	s_delay_alu instid0(VALU_DEP_1) | instskip(SKIP_2) | instid1(VALU_DEP_1)
	v_add_lshl_u32 v8, v8, v5, 2
	s_waitcnt lgkmcnt(0)
	v_cmp_lt_f32_e64 s2, v3, v4
	v_cndmask_b32_e64 v3, v3, v4, s2
	ds_bpermute_b32 v4, v8, v3
	s_waitcnt lgkmcnt(0)
	v_cmp_lt_f32_e64 s2, v3, v4
	s_delay_alu instid0(VALU_DEP_1)
	v_cndmask_b32_e64 v3, v3, v4, s2
.LBB206_11:
	s_or_b32 exec_lo, exec_lo, s3
	v_cmp_eq_u32_e64 s2, 0, v0
	s_delay_alu instid0(VALU_DEP_1)
	s_and_saveexec_b32 s3, s2
	s_cbranch_execz .LBB206_13
; %bb.12:
	v_mov_b32_e32 v4, 0
	ds_store_b32 v4, v3 offset:36
.LBB206_13:
	s_or_b32 exec_lo, exec_lo, s3
	v_mov_b32_e32 v8, 0
	s_waitcnt lgkmcnt(0)
	s_barrier
	buffer_gl0_inv
	s_and_saveexec_b32 s10, s0
	s_cbranch_execz .LBB206_17
; %bb.14:
	v_mov_b32_e32 v8, 0
	v_lshlrev_b64 v[3:4], 1, v[1:2]
	v_mov_b32_e32 v10, v0
	s_mov_b32 s11, 0
	ds_load_b32 v9, v8 offset:36
	v_add_co_u32 v3, s3, s8, v3
	s_delay_alu instid0(VALU_DEP_1)
	v_add_co_ci_u32_e64 v4, s3, s9, v4, s3
	s_set_inst_prefetch_distance 0x1
	.p2align	6
.LBB206_15:                             ; =>This Inner Loop Header: Depth=1
	global_load_u16 v11, v[3:4], off
	v_add_nc_u32_e32 v10, 0x100, v10
	s_delay_alu instid0(VALU_DEP_1) | instskip(NEXT) | instid1(VALU_DEP_1)
	v_cmp_le_i32_e64 s4, s5, v10
	s_or_b32 s11, s4, s11
	s_waitcnt vmcnt(0)
	v_cvt_f32_f16_e32 v11, v11
	s_waitcnt lgkmcnt(0)
	s_delay_alu instid0(VALU_DEP_1) | instskip(NEXT) | instid1(VALU_DEP_1)
	v_sub_f32_e32 v11, v11, v9
	v_mul_f32_e32 v12, 0x3fb8aa3b, v11
	s_delay_alu instid0(VALU_DEP_1) | instskip(SKIP_1) | instid1(VALU_DEP_1)
	v_fma_f32 v13, 0x3fb8aa3b, v11, -v12
	v_rndne_f32_e32 v14, v12
	v_dual_sub_f32 v12, v12, v14 :: v_dual_fmac_f32 v13, 0x32a5705f, v11
	v_cmp_ngt_f32_e64 s3, 0xc2ce8ed0, v11
	s_delay_alu instid0(VALU_DEP_2) | instskip(SKIP_1) | instid1(VALU_DEP_2)
	v_add_f32_e32 v12, v12, v13
	v_cvt_i32_f32_e32 v13, v14
	v_exp_f32_e32 v12, v12
	s_waitcnt_depctr 0xfff
	v_ldexp_f32 v12, v12, v13
	s_delay_alu instid0(VALU_DEP_1) | instskip(SKIP_1) | instid1(VALU_DEP_1)
	v_cndmask_b32_e64 v12, 0, v12, s3
	v_cmp_nlt_f32_e64 s3, 0x42b17218, v11
	v_cndmask_b32_e64 v11, 0x7f800000, v12, s3
	v_add_co_u32 v3, s3, 0x200, v3
	s_delay_alu instid0(VALU_DEP_1) | instskip(NEXT) | instid1(VALU_DEP_3)
	v_add_co_ci_u32_e64 v4, s3, 0, v4, s3
	v_add_f32_e32 v8, v8, v11
	s_and_not1_b32 exec_lo, exec_lo, s11
	s_cbranch_execnz .LBB206_15
; %bb.16:
	s_set_inst_prefetch_distance 0x2
	s_or_b32 exec_lo, exec_lo, s11
.LBB206_17:
	s_delay_alu instid0(SALU_CYCLE_1) | instskip(SKIP_1) | instid1(VALU_DEP_1)
	s_or_b32 exec_lo, exec_lo, s10
	v_mov_b32_dpp v4, v8 quad_perm:[1,0,3,2] row_mask:0xf bank_mask:0xf
	v_dual_mov_b32 v3, 0x7c :: v_dual_add_f32 v4, v8, v4
	s_delay_alu instid0(VALU_DEP_1) | instskip(NEXT) | instid1(VALU_DEP_1)
	v_mov_b32_dpp v8, v4 quad_perm:[2,3,0,1] row_mask:0xf bank_mask:0xf
	v_add_f32_e32 v4, v4, v8
	s_delay_alu instid0(VALU_DEP_1) | instskip(NEXT) | instid1(VALU_DEP_1)
	v_mov_b32_dpp v8, v4 row_ror:4 row_mask:0xf bank_mask:0xf
	v_add_f32_e32 v4, v4, v8
	s_delay_alu instid0(VALU_DEP_1) | instskip(NEXT) | instid1(VALU_DEP_1)
	v_mov_b32_dpp v8, v4 row_ror:8 row_mask:0xf bank_mask:0xf
	v_add_f32_e32 v4, v4, v8
	ds_swizzle_b32 v8, v4 offset:swizzle(BROADCAST,32,15)
	s_waitcnt lgkmcnt(0)
	v_add_f32_e32 v4, v4, v8
	ds_bpermute_b32 v3, v3, v4
	s_and_saveexec_b32 s3, vcc_lo
	s_cbranch_execz .LBB206_19
; %bb.18:
	v_and_b32_e32 v4, 28, v7
	s_waitcnt lgkmcnt(0)
	ds_store_b32 v4, v3
.LBB206_19:
	s_or_b32 exec_lo, exec_lo, s3
	s_waitcnt lgkmcnt(0)
	s_barrier
	buffer_gl0_inv
	s_and_saveexec_b32 s3, s1
	s_cbranch_execz .LBB206_21
; %bb.20:
	v_lshlrev_b32_e32 v3, 2, v6
	v_cmp_ne_u32_e32 vcc_lo, 7, v6
	ds_load_b32 v3, v3
	v_add_co_ci_u32_e32 v4, vcc_lo, 0, v5, vcc_lo
	v_cmp_gt_u32_e32 vcc_lo, 6, v6
	s_delay_alu instid0(VALU_DEP_2) | instskip(SKIP_2) | instid1(VALU_DEP_2)
	v_lshlrev_b32_e32 v4, 2, v4
	v_cndmask_b32_e64 v7, 0, 1, vcc_lo
	v_cmp_gt_u32_e32 vcc_lo, 4, v6
	v_lshlrev_b32_e32 v7, 1, v7
	v_cndmask_b32_e64 v6, 0, 1, vcc_lo
	s_delay_alu instid0(VALU_DEP_2) | instskip(NEXT) | instid1(VALU_DEP_2)
	v_add_lshl_u32 v7, v7, v5, 2
	v_lshlrev_b32_e32 v6, 2, v6
	s_waitcnt lgkmcnt(0)
	ds_bpermute_b32 v4, v4, v3
	s_waitcnt lgkmcnt(0)
	v_add_f32_e32 v3, v3, v4
	ds_bpermute_b32 v4, v7, v3
	s_waitcnt lgkmcnt(0)
	v_add_f32_e32 v3, v3, v4
	v_add_lshl_u32 v4, v6, v5, 2
	ds_bpermute_b32 v4, v4, v3
	s_waitcnt lgkmcnt(0)
	v_add_f32_e32 v3, v3, v4
.LBB206_21:
	s_or_b32 exec_lo, exec_lo, s3
	s_and_saveexec_b32 s1, s2
	s_cbranch_execz .LBB206_23
; %bb.22:
	s_delay_alu instid0(VALU_DEP_1) | instskip(SKIP_1) | instid1(VALU_DEP_2)
	v_div_scale_f32 v4, null, v3, v3, 1.0
	v_div_scale_f32 v7, vcc_lo, 1.0, v3, 1.0
	v_rcp_f32_e32 v5, v4
	s_waitcnt_depctr 0xfff
	v_fma_f32 v6, -v4, v5, 1.0
	s_delay_alu instid0(VALU_DEP_1) | instskip(NEXT) | instid1(VALU_DEP_1)
	v_fmac_f32_e32 v5, v6, v5
	v_mul_f32_e32 v6, v7, v5
	s_delay_alu instid0(VALU_DEP_1) | instskip(NEXT) | instid1(VALU_DEP_1)
	v_fma_f32 v8, -v4, v6, v7
	v_fmac_f32_e32 v6, v8, v5
	s_delay_alu instid0(VALU_DEP_1) | instskip(NEXT) | instid1(VALU_DEP_1)
	v_fma_f32 v4, -v4, v6, v7
	v_div_fmas_f32 v4, v4, v5, v6
	s_delay_alu instid0(VALU_DEP_1)
	v_div_fixup_f32 v3, v4, v3, 1.0
	v_mov_b32_e32 v4, 0
	ds_store_b32 v4, v3 offset:32
.LBB206_23:
	s_or_b32 exec_lo, exec_lo, s1
	s_waitcnt lgkmcnt(0)
	s_barrier
	buffer_gl0_inv
	s_and_saveexec_b32 s1, s0
	s_cbranch_execz .LBB206_26
; %bb.24:
	v_mov_b32_e32 v3, 0
	v_lshlrev_b64 v[5:6], 1, v[1:2]
	v_lshlrev_b64 v[7:8], 2, v[1:2]
	s_mov_b32 s1, 0
	ds_load_b64 v[3:4], v3 offset:32
	v_add_co_u32 v1, vcc_lo, s8, v5
	v_add_co_ci_u32_e32 v2, vcc_lo, s9, v6, vcc_lo
	v_add_co_u32 v5, vcc_lo, s6, v7
	v_add_co_ci_u32_e32 v6, vcc_lo, s7, v8, vcc_lo
	s_set_inst_prefetch_distance 0x1
	.p2align	6
.LBB206_25:                             ; =>This Inner Loop Header: Depth=1
	global_load_u16 v7, v[1:2], off
	v_add_co_u32 v1, vcc_lo, 0x200, v1
	v_add_co_ci_u32_e32 v2, vcc_lo, 0, v2, vcc_lo
	s_waitcnt vmcnt(0)
	v_cvt_f32_f16_e32 v7, v7
	s_waitcnt lgkmcnt(0)
	s_delay_alu instid0(VALU_DEP_1) | instskip(NEXT) | instid1(VALU_DEP_1)
	v_sub_f32_e32 v7, v7, v4
	v_mul_f32_e32 v8, 0x3fb8aa3b, v7
	s_delay_alu instid0(VALU_DEP_1) | instskip(SKIP_1) | instid1(VALU_DEP_1)
	v_fma_f32 v9, 0x3fb8aa3b, v7, -v8
	v_rndne_f32_e32 v10, v8
	v_dual_sub_f32 v8, v8, v10 :: v_dual_fmac_f32 v9, 0x32a5705f, v7
	v_cmp_ngt_f32_e64 s0, 0xc2ce8ed0, v7
	s_delay_alu instid0(VALU_DEP_2) | instskip(SKIP_1) | instid1(VALU_DEP_2)
	v_add_f32_e32 v8, v8, v9
	v_cvt_i32_f32_e32 v9, v10
	v_exp_f32_e32 v8, v8
	s_waitcnt_depctr 0xfff
	v_ldexp_f32 v8, v8, v9
	s_delay_alu instid0(VALU_DEP_1) | instskip(SKIP_1) | instid1(VALU_DEP_1)
	v_cndmask_b32_e64 v8, 0, v8, s0
	v_cmp_nlt_f32_e64 s0, 0x42b17218, v7
	v_cndmask_b32_e64 v7, 0x7f800000, v8, s0
	s_delay_alu instid0(VALU_DEP_1) | instskip(NEXT) | instid1(VALU_DEP_1)
	v_dual_mul_f32 v7, v3, v7 :: v_dual_add_nc_u32 v0, 0x100, v0
	v_cmp_le_i32_e32 vcc_lo, s5, v0
	global_store_b32 v[5:6], v7, off
	v_add_co_u32 v5, s0, 0x400, v5
	s_delay_alu instid0(VALU_DEP_1) | instskip(SKIP_1) | instid1(SALU_CYCLE_1)
	v_add_co_ci_u32_e64 v6, s0, 0, v6, s0
	s_or_b32 s1, vcc_lo, s1
	s_and_not1_b32 exec_lo, exec_lo, s1
	s_cbranch_execnz .LBB206_25
.LBB206_26:
	s_set_inst_prefetch_distance 0x2
	s_nop 0
	s_sendmsg sendmsg(MSG_DEALLOC_VGPRS)
	s_endpgm
	.section	.rodata,"a",@progbits
	.p2align	6, 0x0
	.amdhsa_kernel _ZN4vllm3moe10moeSoftmaxIDF16_Li256EEEvPKT_PKbPfi
		.amdhsa_group_segment_fixed_size 40
		.amdhsa_private_segment_fixed_size 0
		.amdhsa_kernarg_size 28
		.amdhsa_user_sgpr_count 15
		.amdhsa_user_sgpr_dispatch_ptr 0
		.amdhsa_user_sgpr_queue_ptr 0
		.amdhsa_user_sgpr_kernarg_segment_ptr 1
		.amdhsa_user_sgpr_dispatch_id 0
		.amdhsa_user_sgpr_private_segment_size 0
		.amdhsa_wavefront_size32 1
		.amdhsa_uses_dynamic_stack 0
		.amdhsa_enable_private_segment 0
		.amdhsa_system_sgpr_workgroup_id_x 1
		.amdhsa_system_sgpr_workgroup_id_y 0
		.amdhsa_system_sgpr_workgroup_id_z 0
		.amdhsa_system_sgpr_workgroup_info 0
		.amdhsa_system_vgpr_workitem_id 0
		.amdhsa_next_free_vgpr 15
		.amdhsa_next_free_sgpr 16
		.amdhsa_reserve_vcc 1
		.amdhsa_float_round_mode_32 0
		.amdhsa_float_round_mode_16_64 0
		.amdhsa_float_denorm_mode_32 3
		.amdhsa_float_denorm_mode_16_64 3
		.amdhsa_dx10_clamp 1
		.amdhsa_ieee_mode 1
		.amdhsa_fp16_overflow 0
		.amdhsa_workgroup_processor_mode 1
		.amdhsa_memory_ordered 1
		.amdhsa_forward_progress 0
		.amdhsa_shared_vgpr_count 0
		.amdhsa_exception_fp_ieee_invalid_op 0
		.amdhsa_exception_fp_denorm_src 0
		.amdhsa_exception_fp_ieee_div_zero 0
		.amdhsa_exception_fp_ieee_overflow 0
		.amdhsa_exception_fp_ieee_underflow 0
		.amdhsa_exception_fp_ieee_inexact 0
		.amdhsa_exception_int_div_zero 0
	.end_amdhsa_kernel
	.section	.text._ZN4vllm3moe10moeSoftmaxIDF16_Li256EEEvPKT_PKbPfi,"axG",@progbits,_ZN4vllm3moe10moeSoftmaxIDF16_Li256EEEvPKT_PKbPfi,comdat
.Lfunc_end206:
	.size	_ZN4vllm3moe10moeSoftmaxIDF16_Li256EEEvPKT_PKbPfi, .Lfunc_end206-_ZN4vllm3moe10moeSoftmaxIDF16_Li256EEEvPKT_PKbPfi
                                        ; -- End function
	.section	.AMDGPU.csdata,"",@progbits
; Kernel info:
; codeLenInByte = 1720
; NumSgprs: 18
; NumVgprs: 15
; ScratchSize: 0
; MemoryBound: 0
; FloatMode: 240
; IeeeMode: 1
; LDSByteSize: 40 bytes/workgroup (compile time only)
; SGPRBlocks: 2
; VGPRBlocks: 1
; NumSGPRsForWavesPerEU: 18
; NumVGPRsForWavesPerEU: 15
; Occupancy: 16
; WaveLimiterHint : 0
; COMPUTE_PGM_RSRC2:SCRATCH_EN: 0
; COMPUTE_PGM_RSRC2:USER_SGPR: 15
; COMPUTE_PGM_RSRC2:TRAP_HANDLER: 0
; COMPUTE_PGM_RSRC2:TGID_X_EN: 1
; COMPUTE_PGM_RSRC2:TGID_Y_EN: 0
; COMPUTE_PGM_RSRC2:TGID_Z_EN: 0
; COMPUTE_PGM_RSRC2:TIDIG_COMP_CNT: 0
	.section	.text._ZN4vllm3moe24applySharedExpertSigmoidIDF16_Li256EEEvPKT_Pfiiiii,"axG",@progbits,_ZN4vllm3moe24applySharedExpertSigmoidIDF16_Li256EEEvPKT_Pfiiiii,comdat
	.protected	_ZN4vllm3moe24applySharedExpertSigmoidIDF16_Li256EEEvPKT_Pfiiiii ; -- Begin function _ZN4vllm3moe24applySharedExpertSigmoidIDF16_Li256EEEvPKT_Pfiiiii
	.globl	_ZN4vllm3moe24applySharedExpertSigmoidIDF16_Li256EEEvPKT_Pfiiiii
	.p2align	8
	.type	_ZN4vllm3moe24applySharedExpertSigmoidIDF16_Li256EEEvPKT_Pfiiiii,@function
_ZN4vllm3moe24applySharedExpertSigmoidIDF16_Li256EEEvPKT_Pfiiiii: ; @_ZN4vllm3moe24applySharedExpertSigmoidIDF16_Li256EEEvPKT_Pfiiiii
; %bb.0:
	s_load_b128 s[4:7], s[0:1], 0x10
	s_waitcnt lgkmcnt(0)
	s_cmp_ge_i32 s15, s4
	s_cbranch_scc1 .LBB207_4
; %bb.1:
	s_load_b32 s2, s[0:1], 0x20
	s_mov_b32 s3, exec_lo
	v_cmpx_gt_i32_e64 s5, v0
	s_cbranch_execz .LBB207_4
; %bb.2:
	s_load_b128 s[8:11], s[0:1], 0x0
	v_mad_u64_u32 v[1:2], null, s15, s7, v[0:1]
	s_mul_i32 s1, s15, s6
	s_mov_b32 s3, 0x3fb8aa3b
	s_waitcnt lgkmcnt(0)
	s_add_i32 s1, s1, s2
	s_mov_b32 s2, 0
	s_mov_b32 s4, 0x32a5705f
	s_delay_alu instid0(VALU_DEP_1) | instskip(NEXT) | instid1(VALU_DEP_1)
	v_ashrrev_i32_e32 v2, 31, v1
	v_lshlrev_b64 v[1:2], 2, v[1:2]
	s_delay_alu instid0(VALU_DEP_1) | instskip(NEXT) | instid1(VALU_DEP_2)
	v_add_co_u32 v1, vcc_lo, s10, v1
	v_add_co_ci_u32_e32 v2, vcc_lo, s11, v2, vcc_lo
.LBB207_3:                              ; =>This Inner Loop Header: Depth=1
	v_add_nc_u32_e32 v3, s1, v0
	v_add_nc_u32_e32 v0, 0x100, v0
	s_delay_alu instid0(VALU_DEP_2) | instskip(NEXT) | instid1(VALU_DEP_2)
	v_ashrrev_i32_e32 v4, 31, v3
	v_cmp_le_i32_e64 s0, s5, v0
	s_delay_alu instid0(VALU_DEP_2) | instskip(NEXT) | instid1(VALU_DEP_2)
	v_lshlrev_b64 v[3:4], 1, v[3:4]
	s_or_b32 s2, s0, s2
	s_delay_alu instid0(VALU_DEP_1) | instskip(NEXT) | instid1(VALU_DEP_2)
	v_add_co_u32 v3, vcc_lo, s8, v3
	v_add_co_ci_u32_e32 v4, vcc_lo, s9, v4, vcc_lo
	global_load_u16 v3, v[3:4], off
	s_waitcnt vmcnt(0)
	v_cvt_f32_f16_e64 v4, -v3
	s_delay_alu instid0(VALU_DEP_1) | instskip(SKIP_1) | instid1(VALU_DEP_2)
	v_mul_f32_e32 v5, 0x3fb8aa3b, v4
	v_cmp_ngt_f32_e32 vcc_lo, 0xc2ce8ed0, v4
	v_fma_mix_f32 v6, -v3, s3, -v5 op_sel_hi:[1,0,0]
	v_rndne_f32_e32 v7, v5
	s_delay_alu instid0(VALU_DEP_2) | instskip(NEXT) | instid1(VALU_DEP_2)
	v_fma_mix_f32 v3, -v3, s4, v6 op_sel_hi:[1,0,0]
	v_sub_f32_e32 v5, v5, v7
	s_delay_alu instid0(VALU_DEP_1) | instskip(SKIP_1) | instid1(VALU_DEP_2)
	v_add_f32_e32 v3, v5, v3
	v_cvt_i32_f32_e32 v5, v7
	v_exp_f32_e32 v3, v3
	s_waitcnt_depctr 0xfff
	v_ldexp_f32 v3, v3, v5
	s_delay_alu instid0(VALU_DEP_1) | instskip(SKIP_1) | instid1(VALU_DEP_2)
	v_cndmask_b32_e32 v3, 0, v3, vcc_lo
	v_cmp_nlt_f32_e32 vcc_lo, 0x42b17218, v4
	v_cndmask_b32_e32 v3, 0x7f800000, v3, vcc_lo
	s_delay_alu instid0(VALU_DEP_1) | instskip(NEXT) | instid1(VALU_DEP_1)
	v_add_f32_e32 v3, 1.0, v3
	v_div_scale_f32 v4, null, v3, v3, 1.0
	v_div_scale_f32 v6, vcc_lo, 1.0, v3, 1.0
	s_delay_alu instid0(VALU_DEP_2) | instskip(SKIP_2) | instid1(VALU_DEP_1)
	v_rcp_f32_e32 v5, v4
	s_waitcnt_depctr 0xfff
	v_fma_f32 v7, -v4, v5, 1.0
	v_fmac_f32_e32 v5, v7, v5
	s_delay_alu instid0(VALU_DEP_1) | instskip(NEXT) | instid1(VALU_DEP_1)
	v_mul_f32_e32 v7, v6, v5
	v_fma_f32 v8, -v4, v7, v6
	s_delay_alu instid0(VALU_DEP_1) | instskip(NEXT) | instid1(VALU_DEP_1)
	v_fmac_f32_e32 v7, v8, v5
	v_fma_f32 v4, -v4, v7, v6
	s_delay_alu instid0(VALU_DEP_1) | instskip(NEXT) | instid1(VALU_DEP_1)
	v_div_fmas_f32 v4, v4, v5, v7
	v_div_fixup_f32 v3, v4, v3, 1.0
	global_store_b32 v[1:2], v3, off
	v_add_co_u32 v1, vcc_lo, 0x400, v1
	v_add_co_ci_u32_e32 v2, vcc_lo, 0, v2, vcc_lo
	s_and_not1_b32 exec_lo, exec_lo, s2
	s_cbranch_execnz .LBB207_3
.LBB207_4:
	s_nop 0
	s_sendmsg sendmsg(MSG_DEALLOC_VGPRS)
	s_endpgm
	.section	.rodata,"a",@progbits
	.p2align	6, 0x0
	.amdhsa_kernel _ZN4vllm3moe24applySharedExpertSigmoidIDF16_Li256EEEvPKT_Pfiiiii
		.amdhsa_group_segment_fixed_size 0
		.amdhsa_private_segment_fixed_size 0
		.amdhsa_kernarg_size 36
		.amdhsa_user_sgpr_count 15
		.amdhsa_user_sgpr_dispatch_ptr 0
		.amdhsa_user_sgpr_queue_ptr 0
		.amdhsa_user_sgpr_kernarg_segment_ptr 1
		.amdhsa_user_sgpr_dispatch_id 0
		.amdhsa_user_sgpr_private_segment_size 0
		.amdhsa_wavefront_size32 1
		.amdhsa_uses_dynamic_stack 0
		.amdhsa_enable_private_segment 0
		.amdhsa_system_sgpr_workgroup_id_x 1
		.amdhsa_system_sgpr_workgroup_id_y 0
		.amdhsa_system_sgpr_workgroup_id_z 0
		.amdhsa_system_sgpr_workgroup_info 0
		.amdhsa_system_vgpr_workitem_id 0
		.amdhsa_next_free_vgpr 9
		.amdhsa_next_free_sgpr 16
		.amdhsa_reserve_vcc 1
		.amdhsa_float_round_mode_32 0
		.amdhsa_float_round_mode_16_64 0
		.amdhsa_float_denorm_mode_32 3
		.amdhsa_float_denorm_mode_16_64 3
		.amdhsa_dx10_clamp 1
		.amdhsa_ieee_mode 1
		.amdhsa_fp16_overflow 0
		.amdhsa_workgroup_processor_mode 1
		.amdhsa_memory_ordered 1
		.amdhsa_forward_progress 0
		.amdhsa_shared_vgpr_count 0
		.amdhsa_exception_fp_ieee_invalid_op 0
		.amdhsa_exception_fp_denorm_src 0
		.amdhsa_exception_fp_ieee_div_zero 0
		.amdhsa_exception_fp_ieee_overflow 0
		.amdhsa_exception_fp_ieee_underflow 0
		.amdhsa_exception_fp_ieee_inexact 0
		.amdhsa_exception_int_div_zero 0
	.end_amdhsa_kernel
	.section	.text._ZN4vllm3moe24applySharedExpertSigmoidIDF16_Li256EEEvPKT_Pfiiiii,"axG",@progbits,_ZN4vllm3moe24applySharedExpertSigmoidIDF16_Li256EEEvPKT_Pfiiiii,comdat
.Lfunc_end207:
	.size	_ZN4vllm3moe24applySharedExpertSigmoidIDF16_Li256EEEvPKT_Pfiiiii, .Lfunc_end207-_ZN4vllm3moe24applySharedExpertSigmoidIDF16_Li256EEEvPKT_Pfiiiii
                                        ; -- End function
	.section	.AMDGPU.csdata,"",@progbits
; Kernel info:
; codeLenInByte = 448
; NumSgprs: 18
; NumVgprs: 9
; ScratchSize: 0
; MemoryBound: 0
; FloatMode: 240
; IeeeMode: 1
; LDSByteSize: 0 bytes/workgroup (compile time only)
; SGPRBlocks: 2
; VGPRBlocks: 1
; NumSGPRsForWavesPerEU: 18
; NumVGPRsForWavesPerEU: 9
; Occupancy: 16
; WaveLimiterHint : 0
; COMPUTE_PGM_RSRC2:SCRATCH_EN: 0
; COMPUTE_PGM_RSRC2:USER_SGPR: 15
; COMPUTE_PGM_RSRC2:TRAP_HANDLER: 0
; COMPUTE_PGM_RSRC2:TGID_X_EN: 1
; COMPUTE_PGM_RSRC2:TGID_Y_EN: 0
; COMPUTE_PGM_RSRC2:TGID_Z_EN: 0
; COMPUTE_PGM_RSRC2:TIDIG_COMP_CNT: 0
	.section	.text._ZN4vllm3moe17topkGatingSoftmaxItLi1ELi1ELi8ELi2ELb1ELi0ELNS0_23SharedExpertScoringFuncE0EEEvPKT_PKbPfiPiS9_iiiiii,"axG",@progbits,_ZN4vllm3moe17topkGatingSoftmaxItLi1ELi1ELi8ELi2ELb1ELi0ELNS0_23SharedExpertScoringFuncE0EEEvPKT_PKbPfiPiS9_iiiiii,comdat
	.protected	_ZN4vllm3moe17topkGatingSoftmaxItLi1ELi1ELi8ELi2ELb1ELi0ELNS0_23SharedExpertScoringFuncE0EEEvPKT_PKbPfiPiS9_iiiiii ; -- Begin function _ZN4vllm3moe17topkGatingSoftmaxItLi1ELi1ELi8ELi2ELb1ELi0ELNS0_23SharedExpertScoringFuncE0EEEvPKT_PKbPfiPiS9_iiiiii
	.globl	_ZN4vllm3moe17topkGatingSoftmaxItLi1ELi1ELi8ELi2ELb1ELi0ELNS0_23SharedExpertScoringFuncE0EEEvPKT_PKbPfiPiS9_iiiiii
	.p2align	8
	.type	_ZN4vllm3moe17topkGatingSoftmaxItLi1ELi1ELi8ELi2ELb1ELi0ELNS0_23SharedExpertScoringFuncE0EEEvPKT_PKbPfiPiS9_iiiiii,@function
_ZN4vllm3moe17topkGatingSoftmaxItLi1ELi1ELi8ELi2ELb1ELi0ELNS0_23SharedExpertScoringFuncE0EEEvPKT_PKbPfiPiS9_iiiiii: ; @_ZN4vllm3moe17topkGatingSoftmaxItLi1ELi1ELi8ELi2ELb1ELi0ELNS0_23SharedExpertScoringFuncE0EEEvPKT_PKbPfiPiS9_iiiiii
; %bb.0:
	s_load_b32 s14, s[0:1], 0x18
	v_bfe_u32 v1, v0, 10, 10
	v_and_b32_e32 v8, 0x3ff, v0
	s_lshl_b32 s15, s15, 8
	s_mov_b32 s2, exec_lo
	s_delay_alu instid0(VALU_DEP_2) | instskip(NEXT) | instid1(VALU_DEP_1)
	v_lshlrev_b32_e32 v7, 5, v1
	v_add3_u32 v6, v7, v8, s15
	s_waitcnt lgkmcnt(0)
	s_delay_alu instid0(VALU_DEP_1)
	v_cmpx_gt_i32_e64 s14, v6
	s_cbranch_execz .LBB208_13
; %bb.1:
	s_clause 0x1
	s_load_b128 s[8:11], s[0:1], 0x0
	s_load_b64 s[12:13], s[0:1], 0x10
	s_waitcnt lgkmcnt(0)
	s_cmp_eq_u64 s[10:11], 0
	s_cbranch_scc1 .LBB208_3
; %bb.2:
	v_ashrrev_i32_e32 v1, 31, v6
	v_add_co_u32 v0, vcc_lo, s10, v6
	s_delay_alu instid0(VALU_DEP_2) | instskip(SKIP_3) | instid1(VALU_DEP_1)
	v_add_co_ci_u32_e32 v1, vcc_lo, s11, v1, vcc_lo
	global_load_u8 v0, v[0:1], off
	s_waitcnt vmcnt(0)
	v_and_b32_e32 v0, 1, v0
	v_cmp_eq_u32_e32 vcc_lo, 1, v0
	s_xor_b32 s2, vcc_lo, -1
	s_delay_alu instid0(SALU_CYCLE_1)
	s_or_not1_b32 s11, s2, exec_lo
	s_branch .LBB208_4
.LBB208_3:
	s_mov_b32 s11, -1
.LBB208_4:
	s_load_b128 s[4:7], s[0:1], 0x30
	s_waitcnt lgkmcnt(0)
	s_cmp_gt_i32 s4, 0
	s_cselect_b32 s10, -1, 0
	s_cmp_lt_i32 s4, 1
	s_cbranch_scc1 .LBB208_9
; %bb.5:
	s_clause 0x1
	s_load_b64 s[16:17], s[0:1], 0x40
	s_load_b128 s[0:3], s[0:1], 0x20
	v_mul_lo_u32 v2, v6, s4
	s_cmp_lt_i32 s5, 1
	s_waitcnt lgkmcnt(0)
	v_mul_lo_u32 v0, v6, s17
	v_mul_lo_u32 v12, v6, s16
	s_delay_alu instid0(VALU_DEP_2) | instskip(NEXT) | instid1(VALU_DEP_2)
	v_ashrrev_i32_e32 v1, 31, v0
	v_ashrrev_i32_e32 v13, 31, v12
	s_delay_alu instid0(VALU_DEP_2) | instskip(NEXT) | instid1(VALU_DEP_1)
	v_lshlrev_b64 v[0:1], 1, v[0:1]
	v_add_co_u32 v0, vcc_lo, s8, v0
	s_delay_alu instid0(VALU_DEP_2)
	v_add_co_ci_u32_e32 v1, vcc_lo, s9, v1, vcc_lo
	s_cselect_b32 s8, -1, 0
	s_cmp_gt_i32 s6, 0
	s_cselect_b32 s6, -1, 0
	global_load_u16 v0, v[0:1], off
	s_and_b32 s6, s8, s6
	s_sub_i32 s5, 0, s5
	s_and_b32 s6, s11, s6
	s_cmp_eq_u32 s4, 1
	v_cndmask_b32_e64 v10, 1, s5, s6
	s_waitcnt vmcnt(0)
	v_cvt_f32_u32_e32 v11, v0
	v_mul_lo_u32 v0, v6, s7
	s_delay_alu instid0(VALU_DEP_2) | instskip(NEXT) | instid1(VALU_DEP_1)
	v_sub_f32_e32 v9, v11, v11
	v_mul_f32_e32 v1, 0x3fb8aa3b, v9
	s_delay_alu instid0(VALU_DEP_1) | instskip(SKIP_1) | instid1(VALU_DEP_2)
	v_fma_f32 v3, 0x3fb8aa3b, v9, -v1
	v_rndne_f32_e32 v4, v1
	v_fmac_f32_e32 v3, 0x32a5705f, v9
	s_delay_alu instid0(VALU_DEP_2) | instskip(SKIP_1) | instid1(VALU_DEP_2)
	v_sub_f32_e32 v1, v1, v4
	v_cvt_i32_f32_e32 v15, v4
	v_add_f32_e32 v3, v1, v3
	v_ashrrev_i32_e32 v1, 31, v0
	s_delay_alu instid0(VALU_DEP_2) | instskip(NEXT) | instid1(VALU_DEP_1)
	v_exp_f32_e32 v14, v3
	v_lshlrev_b64 v[0:1], 2, v[0:1]
	v_ashrrev_i32_e32 v3, 31, v2
	s_delay_alu instid0(VALU_DEP_1) | instskip(NEXT) | instid1(VALU_DEP_3)
	v_lshlrev_b64 v[4:5], 2, v[2:3]
	v_add_co_u32 v0, vcc_lo, s12, v0
	v_lshlrev_b64 v[2:3], 2, v[12:13]
	v_add_co_ci_u32_e32 v1, vcc_lo, s13, v1, vcc_lo
	s_delay_alu instid0(TRANS32_DEP_1) | instskip(SKIP_1) | instid1(VALU_DEP_2)
	v_ldexp_f32 v12, v14, v15
	v_cmp_ngt_f32_e32 vcc_lo, 0xc2ce8ed0, v9
	v_cndmask_b32_e32 v14, 0, v12, vcc_lo
	v_add_co_u32 v12, vcc_lo, s0, v2
	v_add_co_ci_u32_e32 v13, vcc_lo, s1, v3, vcc_lo
	v_cmp_nlt_f32_e32 vcc_lo, 0x42b17218, v9
	s_delay_alu instid0(VALU_DEP_4)
	v_cndmask_b32_e32 v9, 0x7f800000, v14, vcc_lo
	v_add_co_u32 v14, vcc_lo, s2, v4
	v_add_co_ci_u32_e32 v15, vcc_lo, s3, v5, vcc_lo
	global_store_b32 v[12:13], v10, off
	global_store_b32 v[0:1], v9, off
	;; [unrolled: 1-line block ×3, first 2 shown]
	s_cbranch_scc1 .LBB208_8
; %bb.6:
	v_sub_f32_e32 v11, 0xff800000, v11
	v_add_co_u32 v4, vcc_lo, v4, s2
	v_add_co_ci_u32_e32 v5, vcc_lo, s3, v5, vcc_lo
	s_delay_alu instid0(VALU_DEP_3) | instskip(SKIP_1) | instid1(SALU_CYCLE_1)
	v_mul_f32_e32 v12, 0x3fb8aa3b, v11
	s_add_i32 s15, s15, s14
	v_add3_u32 v7, s15, v8, v7
	s_delay_alu instid0(VALU_DEP_2) | instskip(SKIP_1) | instid1(VALU_DEP_1)
	v_fma_f32 v13, 0x3fb8aa3b, v11, -v12
	v_rndne_f32_e32 v14, v12
	v_dual_sub_f32 v12, v12, v14 :: v_dual_fmac_f32 v13, 0x32a5705f, v11
	s_delay_alu instid0(VALU_DEP_1) | instskip(SKIP_3) | instid1(VALU_DEP_4)
	v_add_f32_e32 v12, v12, v13
	v_add_co_u32 v13, vcc_lo, v2, s0
	v_cvt_i32_f32_e32 v2, v14
	v_add_co_ci_u32_e32 v15, vcc_lo, s1, v3, vcc_lo
	v_exp_f32_e32 v12, v12
	v_add_co_u32 v0, vcc_lo, v0, 4
	v_add_co_ci_u32_e32 v1, vcc_lo, 0, v1, vcc_lo
	s_add_i32 s0, s4, -1
	s_waitcnt_depctr 0xfff
	v_ldexp_f32 v12, v12, v2
	v_add_co_u32 v2, vcc_lo, v4, 4
	v_add_co_ci_u32_e32 v3, vcc_lo, 0, v5, vcc_lo
	v_cmp_ngt_f32_e32 vcc_lo, 0xc2ce8ed0, v11
	s_delay_alu instid0(VALU_DEP_4) | instskip(SKIP_3) | instid1(VALU_DEP_4)
	v_cndmask_b32_e32 v12, 0, v12, vcc_lo
	v_add_co_u32 v4, vcc_lo, v13, 4
	v_add_co_ci_u32_e32 v5, vcc_lo, 0, v15, vcc_lo
	v_cmp_nlt_f32_e32 vcc_lo, 0x42b17218, v11
	v_cndmask_b32_e32 v11, 0x7f800000, v12, vcc_lo
	.p2align	6
.LBB208_7:                              ; =>This Inner Loop Header: Depth=1
	global_store_b32 v[0:1], v11, off
	global_store_b32 v[4:5], v10, off
	;; [unrolled: 1-line block ×3, first 2 shown]
	v_add_co_u32 v2, vcc_lo, v2, 4
	v_add_co_ci_u32_e32 v3, vcc_lo, 0, v3, vcc_lo
	v_add_co_u32 v4, vcc_lo, v4, 4
	v_add_co_ci_u32_e32 v5, vcc_lo, 0, v5, vcc_lo
	v_add_co_u32 v0, vcc_lo, v0, 4
	v_add_f32_e32 v9, v9, v11
	v_add_co_ci_u32_e32 v1, vcc_lo, 0, v1, vcc_lo
	v_add_nc_u32_e32 v7, s14, v7
	s_add_i32 s0, s0, -1
	s_delay_alu instid0(SALU_CYCLE_1)
	s_cmp_eq_u32 s0, 0
	s_cbranch_scc0 .LBB208_7
.LBB208_8:
	v_cmp_neq_f32_e32 vcc_lo, 0, v9
	s_and_b32 exec_lo, exec_lo, vcc_lo
	s_cbranch_execnz .LBB208_10
	s_branch .LBB208_13
.LBB208_9:
	v_mov_b32_e32 v9, 0
	s_delay_alu instid0(VALU_DEP_1)
	v_cmp_neq_f32_e32 vcc_lo, 0, v9
	s_and_b32 exec_lo, exec_lo, vcc_lo
	s_cbranch_execz .LBB208_13
.LBB208_10:
	s_and_not1_b32 vcc_lo, exec_lo, s10
	s_cbranch_vccnz .LBB208_13
; %bb.11:
	v_div_scale_f32 v1, null, v9, v9, 1.0
	v_div_scale_f32 v3, vcc_lo, 1.0, v9, 1.0
	s_delay_alu instid0(VALU_DEP_2) | instskip(SKIP_2) | instid1(VALU_DEP_1)
	v_rcp_f32_e32 v2, v1
	s_waitcnt_depctr 0xfff
	v_fma_f32 v0, -v1, v2, 1.0
	v_fmac_f32_e32 v2, v0, v2
	v_mul_lo_u32 v0, v6, s7
	s_delay_alu instid0(VALU_DEP_2) | instskip(NEXT) | instid1(VALU_DEP_1)
	v_mul_f32_e32 v4, v3, v2
	v_fma_f32 v5, -v1, v4, v3
	s_delay_alu instid0(VALU_DEP_1) | instskip(NEXT) | instid1(VALU_DEP_1)
	v_fmac_f32_e32 v4, v5, v2
	v_fma_f32 v3, -v1, v4, v3
	v_ashrrev_i32_e32 v1, 31, v0
	s_delay_alu instid0(VALU_DEP_2) | instskip(NEXT) | instid1(VALU_DEP_2)
	v_div_fmas_f32 v2, v3, v2, v4
	v_lshlrev_b64 v[0:1], 2, v[0:1]
	s_delay_alu instid0(VALU_DEP_2) | instskip(NEXT) | instid1(VALU_DEP_2)
	v_div_fixup_f32 v2, v2, v9, 1.0
	v_add_co_u32 v0, vcc_lo, s12, v0
	s_delay_alu instid0(VALU_DEP_3)
	v_add_co_ci_u32_e32 v1, vcc_lo, s13, v1, vcc_lo
.LBB208_12:                             ; =>This Inner Loop Header: Depth=1
	global_load_b32 v3, v[0:1], off
	s_add_i32 s4, s4, -1
	s_delay_alu instid0(SALU_CYCLE_1)
	s_cmp_lg_u32 s4, 0
	s_waitcnt vmcnt(0)
	v_mul_f32_e32 v3, v2, v3
	global_store_b32 v[0:1], v3, off
	v_add_co_u32 v0, vcc_lo, v0, 4
	v_add_co_ci_u32_e32 v1, vcc_lo, 0, v1, vcc_lo
	s_cbranch_scc1 .LBB208_12
.LBB208_13:
	s_nop 0
	s_sendmsg sendmsg(MSG_DEALLOC_VGPRS)
	s_endpgm
	.section	.rodata,"a",@progbits
	.p2align	6, 0x0
	.amdhsa_kernel _ZN4vllm3moe17topkGatingSoftmaxItLi1ELi1ELi8ELi2ELb1ELi0ELNS0_23SharedExpertScoringFuncE0EEEvPKT_PKbPfiPiS9_iiiiii
		.amdhsa_group_segment_fixed_size 0
		.amdhsa_private_segment_fixed_size 0
		.amdhsa_kernarg_size 72
		.amdhsa_user_sgpr_count 15
		.amdhsa_user_sgpr_dispatch_ptr 0
		.amdhsa_user_sgpr_queue_ptr 0
		.amdhsa_user_sgpr_kernarg_segment_ptr 1
		.amdhsa_user_sgpr_dispatch_id 0
		.amdhsa_user_sgpr_private_segment_size 0
		.amdhsa_wavefront_size32 1
		.amdhsa_uses_dynamic_stack 0
		.amdhsa_enable_private_segment 0
		.amdhsa_system_sgpr_workgroup_id_x 1
		.amdhsa_system_sgpr_workgroup_id_y 0
		.amdhsa_system_sgpr_workgroup_id_z 0
		.amdhsa_system_sgpr_workgroup_info 0
		.amdhsa_system_vgpr_workitem_id 1
		.amdhsa_next_free_vgpr 16
		.amdhsa_next_free_sgpr 18
		.amdhsa_reserve_vcc 1
		.amdhsa_float_round_mode_32 0
		.amdhsa_float_round_mode_16_64 0
		.amdhsa_float_denorm_mode_32 3
		.amdhsa_float_denorm_mode_16_64 3
		.amdhsa_dx10_clamp 1
		.amdhsa_ieee_mode 1
		.amdhsa_fp16_overflow 0
		.amdhsa_workgroup_processor_mode 1
		.amdhsa_memory_ordered 1
		.amdhsa_forward_progress 0
		.amdhsa_shared_vgpr_count 0
		.amdhsa_exception_fp_ieee_invalid_op 0
		.amdhsa_exception_fp_denorm_src 0
		.amdhsa_exception_fp_ieee_div_zero 0
		.amdhsa_exception_fp_ieee_overflow 0
		.amdhsa_exception_fp_ieee_underflow 0
		.amdhsa_exception_fp_ieee_inexact 0
		.amdhsa_exception_int_div_zero 0
	.end_amdhsa_kernel
	.section	.text._ZN4vllm3moe17topkGatingSoftmaxItLi1ELi1ELi8ELi2ELb1ELi0ELNS0_23SharedExpertScoringFuncE0EEEvPKT_PKbPfiPiS9_iiiiii,"axG",@progbits,_ZN4vllm3moe17topkGatingSoftmaxItLi1ELi1ELi8ELi2ELb1ELi0ELNS0_23SharedExpertScoringFuncE0EEEvPKT_PKbPfiPiS9_iiiiii,comdat
.Lfunc_end208:
	.size	_ZN4vllm3moe17topkGatingSoftmaxItLi1ELi1ELi8ELi2ELb1ELi0ELNS0_23SharedExpertScoringFuncE0EEEvPKT_PKbPfiPiS9_iiiiii, .Lfunc_end208-_ZN4vllm3moe17topkGatingSoftmaxItLi1ELi1ELi8ELi2ELb1ELi0ELNS0_23SharedExpertScoringFuncE0EEEvPKT_PKbPfiPiS9_iiiiii
                                        ; -- End function
	.section	.AMDGPU.csdata,"",@progbits
; Kernel info:
; codeLenInByte = 1064
; NumSgprs: 20
; NumVgprs: 16
; ScratchSize: 0
; MemoryBound: 0
; FloatMode: 240
; IeeeMode: 1
; LDSByteSize: 0 bytes/workgroup (compile time only)
; SGPRBlocks: 2
; VGPRBlocks: 1
; NumSGPRsForWavesPerEU: 20
; NumVGPRsForWavesPerEU: 16
; Occupancy: 16
; WaveLimiterHint : 0
; COMPUTE_PGM_RSRC2:SCRATCH_EN: 0
; COMPUTE_PGM_RSRC2:USER_SGPR: 15
; COMPUTE_PGM_RSRC2:TRAP_HANDLER: 0
; COMPUTE_PGM_RSRC2:TGID_X_EN: 1
; COMPUTE_PGM_RSRC2:TGID_Y_EN: 0
; COMPUTE_PGM_RSRC2:TGID_Z_EN: 0
; COMPUTE_PGM_RSRC2:TIDIG_COMP_CNT: 1
	.section	.text._ZN4vllm3moe17topkGatingSoftmaxItLi1ELi1ELi8ELi2ELb0ELi0ELNS0_23SharedExpertScoringFuncE0EEEvPKT_PKbPfiPiS9_iiiiii,"axG",@progbits,_ZN4vllm3moe17topkGatingSoftmaxItLi1ELi1ELi8ELi2ELb0ELi0ELNS0_23SharedExpertScoringFuncE0EEEvPKT_PKbPfiPiS9_iiiiii,comdat
	.protected	_ZN4vllm3moe17topkGatingSoftmaxItLi1ELi1ELi8ELi2ELb0ELi0ELNS0_23SharedExpertScoringFuncE0EEEvPKT_PKbPfiPiS9_iiiiii ; -- Begin function _ZN4vllm3moe17topkGatingSoftmaxItLi1ELi1ELi8ELi2ELb0ELi0ELNS0_23SharedExpertScoringFuncE0EEEvPKT_PKbPfiPiS9_iiiiii
	.globl	_ZN4vllm3moe17topkGatingSoftmaxItLi1ELi1ELi8ELi2ELb0ELi0ELNS0_23SharedExpertScoringFuncE0EEEvPKT_PKbPfiPiS9_iiiiii
	.p2align	8
	.type	_ZN4vllm3moe17topkGatingSoftmaxItLi1ELi1ELi8ELi2ELb0ELi0ELNS0_23SharedExpertScoringFuncE0EEEvPKT_PKbPfiPiS9_iiiiii,@function
_ZN4vllm3moe17topkGatingSoftmaxItLi1ELi1ELi8ELi2ELb0ELi0ELNS0_23SharedExpertScoringFuncE0EEEvPKT_PKbPfiPiS9_iiiiii: ; @_ZN4vllm3moe17topkGatingSoftmaxItLi1ELi1ELi8ELi2ELb0ELi0ELNS0_23SharedExpertScoringFuncE0EEEvPKT_PKbPfiPiS9_iiiiii
; %bb.0:
	s_load_b32 s10, s[0:1], 0x18
	v_bfe_u32 v1, v0, 10, 10
	v_and_b32_e32 v9, 0x3ff, v0
	s_lshl_b32 s12, s15, 8
	s_mov_b32 s2, exec_lo
	s_delay_alu instid0(VALU_DEP_2) | instskip(NEXT) | instid1(VALU_DEP_1)
	v_lshlrev_b32_e32 v8, 5, v1
	v_add3_u32 v6, v8, v9, s12
	s_waitcnt lgkmcnt(0)
	s_delay_alu instid0(VALU_DEP_1)
	v_cmpx_gt_i32_e64 s10, v6
	s_cbranch_execz .LBB209_14
; %bb.1:
	s_clause 0x1
	s_load_b128 s[4:7], s[0:1], 0x0
	s_load_b64 s[8:9], s[0:1], 0x10
	s_waitcnt lgkmcnt(0)
	s_cmp_eq_u64 s[6:7], 0
	s_cbranch_scc1 .LBB209_3
; %bb.2:
	v_ashrrev_i32_e32 v1, 31, v6
	v_add_co_u32 v0, vcc_lo, s6, v6
	s_delay_alu instid0(VALU_DEP_2) | instskip(SKIP_3) | instid1(VALU_DEP_1)
	v_add_co_ci_u32_e32 v1, vcc_lo, s7, v1, vcc_lo
	global_load_u8 v0, v[0:1], off
	s_waitcnt vmcnt(0)
	v_and_b32_e32 v0, 1, v0
	v_cmp_eq_u32_e32 vcc_lo, 1, v0
	s_xor_b32 s2, vcc_lo, -1
	s_delay_alu instid0(SALU_CYCLE_1)
	s_or_not1_b32 s13, s2, exec_lo
	s_branch .LBB209_4
.LBB209_3:
	s_mov_b32 s13, -1
.LBB209_4:
	s_load_b64 s[2:3], s[0:1], 0x40
	s_waitcnt lgkmcnt(0)
	v_mul_lo_u32 v0, v6, s3
	s_delay_alu instid0(VALU_DEP_1) | instskip(NEXT) | instid1(VALU_DEP_1)
	v_ashrrev_i32_e32 v1, 31, v0
	v_lshlrev_b64 v[0:1], 1, v[0:1]
	s_delay_alu instid0(VALU_DEP_1) | instskip(NEXT) | instid1(VALU_DEP_2)
	v_add_co_u32 v0, vcc_lo, s4, v0
	v_add_co_ci_u32_e32 v1, vcc_lo, s5, v1, vcc_lo
	s_load_b128 s[4:7], s[0:1], 0x30
	global_load_u16 v0, v[0:1], off
	s_waitcnt lgkmcnt(0)
	s_cmp_gt_i32 s4, 0
	s_cselect_b32 s11, -1, 0
	s_cmp_lt_i32 s4, 1
	s_waitcnt vmcnt(0)
	v_cvt_f32_u32_e32 v7, v0
	s_cbranch_scc1 .LBB209_9
; %bb.5:
	s_delay_alu instid0(VALU_DEP_1)
	v_sub_f32_e32 v10, v7, v7
	v_mul_lo_u32 v0, v6, s7
	v_mul_lo_u32 v2, v6, s2
	s_load_b128 s[0:3], s[0:1], 0x20
	v_mul_lo_u32 v4, v6, s4
	v_mul_f32_e32 v1, 0x3fb8aa3b, v10
	s_cmp_lt_i32 s5, 1
	s_cselect_b32 s14, -1, 0
	s_cmp_gt_i32 s6, 0
	s_delay_alu instid0(VALU_DEP_1) | instskip(SKIP_1) | instid1(VALU_DEP_4)
	v_rndne_f32_e32 v11, v1
	v_fma_f32 v3, 0x3fb8aa3b, v10, -v1
	v_ashrrev_i32_e32 v5, 31, v4
	s_cselect_b32 s6, -1, 0
	s_sub_i32 s5, 0, s5
	v_sub_f32_e32 v1, v1, v11
	v_fmac_f32_e32 v3, 0x32a5705f, v10
	v_cvt_i32_f32_e32 v13, v11
	v_lshlrev_b64 v[4:5], 2, v[4:5]
	s_and_b32 s6, s14, s6
	s_delay_alu instid0(VALU_DEP_3)
	v_add_f32_e32 v3, v1, v3
	v_ashrrev_i32_e32 v1, 31, v0
	s_and_b32 s6, s13, s6
	s_cmp_eq_u32 s4, 1
	v_cndmask_b32_e64 v11, 1, s5, s6
	v_exp_f32_e32 v12, v3
	v_lshlrev_b64 v[0:1], 2, v[0:1]
	v_ashrrev_i32_e32 v3, 31, v2
	s_delay_alu instid0(VALU_DEP_1) | instskip(NEXT) | instid1(VALU_DEP_3)
	v_lshlrev_b64 v[2:3], 2, v[2:3]
	v_add_co_u32 v0, vcc_lo, s8, v0
	s_delay_alu instid0(VALU_DEP_4) | instskip(SKIP_3) | instid1(VALU_DEP_2)
	v_add_co_ci_u32_e32 v1, vcc_lo, s9, v1, vcc_lo
	s_waitcnt_depctr 0xfff
	v_ldexp_f32 v12, v12, v13
	v_cmp_ngt_f32_e32 vcc_lo, 0xc2ce8ed0, v10
	v_cndmask_b32_e32 v14, 0, v12, vcc_lo
	s_waitcnt lgkmcnt(0)
	v_add_co_u32 v12, vcc_lo, s0, v2
	v_add_co_ci_u32_e32 v13, vcc_lo, s1, v3, vcc_lo
	v_cmp_nlt_f32_e32 vcc_lo, 0x42b17218, v10
	v_cndmask_b32_e32 v10, 0x7f800000, v14, vcc_lo
	v_add_co_u32 v14, vcc_lo, s2, v4
	v_add_co_ci_u32_e32 v15, vcc_lo, s3, v5, vcc_lo
	global_store_b32 v[12:13], v11, off
	global_store_b32 v[0:1], v10, off
	;; [unrolled: 1-line block ×3, first 2 shown]
	s_cbranch_scc1 .LBB209_8
; %bb.6:
	v_sub_f32_e32 v12, 0xff800000, v7
	v_add_co_u32 v4, vcc_lo, v4, s2
	v_add_co_ci_u32_e32 v5, vcc_lo, s3, v5, vcc_lo
	s_delay_alu instid0(VALU_DEP_3) | instskip(SKIP_1) | instid1(SALU_CYCLE_1)
	v_mul_f32_e32 v13, 0x3fb8aa3b, v12
	s_add_i32 s12, s12, s10
	v_add3_u32 v8, s12, v9, v8
	s_delay_alu instid0(VALU_DEP_2) | instskip(SKIP_1) | instid1(VALU_DEP_1)
	v_fma_f32 v14, 0x3fb8aa3b, v12, -v13
	v_rndne_f32_e32 v15, v13
	v_dual_fmac_f32 v14, 0x32a5705f, v12 :: v_dual_sub_f32 v13, v13, v15
	s_delay_alu instid0(VALU_DEP_1) | instskip(SKIP_3) | instid1(VALU_DEP_4)
	v_add_f32_e32 v13, v13, v14
	v_add_co_u32 v14, vcc_lo, v2, s0
	v_cvt_i32_f32_e32 v2, v15
	v_add_co_ci_u32_e32 v16, vcc_lo, s1, v3, vcc_lo
	v_exp_f32_e32 v13, v13
	v_add_co_u32 v0, vcc_lo, v0, 4
	v_add_co_ci_u32_e32 v1, vcc_lo, 0, v1, vcc_lo
	s_add_i32 s0, s4, -1
	s_waitcnt_depctr 0xfff
	v_ldexp_f32 v13, v13, v2
	v_add_co_u32 v2, vcc_lo, v4, 4
	v_add_co_ci_u32_e32 v3, vcc_lo, 0, v5, vcc_lo
	v_cmp_ngt_f32_e32 vcc_lo, 0xc2ce8ed0, v12
	s_delay_alu instid0(VALU_DEP_4) | instskip(SKIP_3) | instid1(VALU_DEP_4)
	v_cndmask_b32_e32 v13, 0, v13, vcc_lo
	v_add_co_u32 v4, vcc_lo, v14, 4
	v_add_co_ci_u32_e32 v5, vcc_lo, 0, v16, vcc_lo
	v_cmp_nlt_f32_e32 vcc_lo, 0x42b17218, v12
	v_cndmask_b32_e32 v12, 0x7f800000, v13, vcc_lo
	.p2align	6
.LBB209_7:                              ; =>This Inner Loop Header: Depth=1
	global_store_b32 v[0:1], v12, off
	global_store_b32 v[4:5], v11, off
	;; [unrolled: 1-line block ×3, first 2 shown]
	v_add_co_u32 v2, vcc_lo, v2, 4
	v_add_co_ci_u32_e32 v3, vcc_lo, 0, v3, vcc_lo
	v_add_co_u32 v4, vcc_lo, v4, 4
	v_add_co_ci_u32_e32 v5, vcc_lo, 0, v5, vcc_lo
	v_add_co_u32 v0, vcc_lo, v0, 4
	v_add_f32_e32 v10, v10, v12
	v_add_co_ci_u32_e32 v1, vcc_lo, 0, v1, vcc_lo
	v_add_nc_u32_e32 v8, s10, v8
	s_add_i32 s0, s0, -1
	s_delay_alu instid0(SALU_CYCLE_1)
	s_cmp_eq_u32 s0, 0
	s_cbranch_scc0 .LBB209_7
.LBB209_8:
	v_mov_b32_e32 v0, 0xff800000
	s_branch .LBB209_10
.LBB209_9:
	v_mov_b32_e32 v10, 0
	s_delay_alu instid0(VALU_DEP_2)
	v_mov_b32_e32 v0, v7
.LBB209_10:
	s_delay_alu instid0(VALU_DEP_1) | instskip(NEXT) | instid1(VALU_DEP_1)
	v_sub_f32_e32 v0, v0, v7
	v_mul_f32_e32 v1, 0x3fb8aa3b, v0
	s_delay_alu instid0(VALU_DEP_1) | instskip(SKIP_1) | instid1(VALU_DEP_1)
	v_fma_f32 v2, 0x3fb8aa3b, v0, -v1
	v_rndne_f32_e32 v3, v1
	v_dual_fmamk_f32 v2, v0, 0x32a5705f, v2 :: v_dual_sub_f32 v1, v1, v3
	s_delay_alu instid0(VALU_DEP_1) | instskip(SKIP_2) | instid1(VALU_DEP_3)
	v_add_f32_e32 v1, v1, v2
	v_cvt_i32_f32_e32 v2, v3
	v_cmp_ngt_f32_e32 vcc_lo, 0xc2ce8ed0, v0
	v_exp_f32_e32 v1, v1
	s_waitcnt_depctr 0xfff
	v_ldexp_f32 v1, v1, v2
	s_delay_alu instid0(VALU_DEP_1) | instskip(SKIP_1) | instid1(VALU_DEP_2)
	v_cndmask_b32_e32 v1, 0, v1, vcc_lo
	v_cmp_nlt_f32_e32 vcc_lo, 0x42b17218, v0
	v_cndmask_b32_e32 v0, 0x7f800000, v1, vcc_lo
	s_delay_alu instid0(VALU_DEP_1) | instskip(NEXT) | instid1(VALU_DEP_1)
	v_add_f32_e32 v0, v10, v0
	v_cmp_neq_f32_e32 vcc_lo, 0, v0
	s_and_b32 exec_lo, exec_lo, vcc_lo
	s_cbranch_execz .LBB209_14
; %bb.11:
	s_and_not1_b32 vcc_lo, exec_lo, s11
	s_cbranch_vccnz .LBB209_14
; %bb.12:
	v_div_scale_f32 v2, null, v0, v0, 1.0
	v_div_scale_f32 v4, vcc_lo, 1.0, v0, 1.0
	s_delay_alu instid0(VALU_DEP_2) | instskip(SKIP_2) | instid1(VALU_DEP_1)
	v_rcp_f32_e32 v3, v2
	s_waitcnt_depctr 0xfff
	v_fma_f32 v1, -v2, v3, 1.0
	v_fmac_f32_e32 v3, v1, v3
	v_mul_lo_u32 v1, v6, s7
	s_delay_alu instid0(VALU_DEP_2) | instskip(NEXT) | instid1(VALU_DEP_1)
	v_mul_f32_e32 v5, v4, v3
	v_fma_f32 v7, -v2, v5, v4
	s_delay_alu instid0(VALU_DEP_1) | instskip(NEXT) | instid1(VALU_DEP_1)
	v_fmac_f32_e32 v5, v7, v3
	v_fma_f32 v4, -v2, v5, v4
	v_ashrrev_i32_e32 v2, 31, v1
	s_delay_alu instid0(VALU_DEP_2) | instskip(NEXT) | instid1(VALU_DEP_2)
	v_div_fmas_f32 v5, v4, v3, v5
	v_lshlrev_b64 v[3:4], 2, v[1:2]
	s_delay_alu instid0(VALU_DEP_2) | instskip(NEXT) | instid1(VALU_DEP_2)
	v_div_fixup_f32 v2, v5, v0, 1.0
	v_add_co_u32 v0, vcc_lo, s8, v3
	s_delay_alu instid0(VALU_DEP_3)
	v_add_co_ci_u32_e32 v1, vcc_lo, s9, v4, vcc_lo
.LBB209_13:                             ; =>This Inner Loop Header: Depth=1
	global_load_b32 v3, v[0:1], off
	s_add_i32 s4, s4, -1
	s_delay_alu instid0(SALU_CYCLE_1)
	s_cmp_lg_u32 s4, 0
	s_waitcnt vmcnt(0)
	v_mul_f32_e32 v3, v2, v3
	global_store_b32 v[0:1], v3, off
	v_add_co_u32 v0, vcc_lo, v0, 4
	v_add_co_ci_u32_e32 v1, vcc_lo, 0, v1, vcc_lo
	s_cbranch_scc1 .LBB209_13
.LBB209_14:
	s_nop 0
	s_sendmsg sendmsg(MSG_DEALLOC_VGPRS)
	s_endpgm
	.section	.rodata,"a",@progbits
	.p2align	6, 0x0
	.amdhsa_kernel _ZN4vllm3moe17topkGatingSoftmaxItLi1ELi1ELi8ELi2ELb0ELi0ELNS0_23SharedExpertScoringFuncE0EEEvPKT_PKbPfiPiS9_iiiiii
		.amdhsa_group_segment_fixed_size 0
		.amdhsa_private_segment_fixed_size 0
		.amdhsa_kernarg_size 72
		.amdhsa_user_sgpr_count 15
		.amdhsa_user_sgpr_dispatch_ptr 0
		.amdhsa_user_sgpr_queue_ptr 0
		.amdhsa_user_sgpr_kernarg_segment_ptr 1
		.amdhsa_user_sgpr_dispatch_id 0
		.amdhsa_user_sgpr_private_segment_size 0
		.amdhsa_wavefront_size32 1
		.amdhsa_uses_dynamic_stack 0
		.amdhsa_enable_private_segment 0
		.amdhsa_system_sgpr_workgroup_id_x 1
		.amdhsa_system_sgpr_workgroup_id_y 0
		.amdhsa_system_sgpr_workgroup_id_z 0
		.amdhsa_system_sgpr_workgroup_info 0
		.amdhsa_system_vgpr_workitem_id 1
		.amdhsa_next_free_vgpr 17
		.amdhsa_next_free_sgpr 16
		.amdhsa_reserve_vcc 1
		.amdhsa_float_round_mode_32 0
		.amdhsa_float_round_mode_16_64 0
		.amdhsa_float_denorm_mode_32 3
		.amdhsa_float_denorm_mode_16_64 3
		.amdhsa_dx10_clamp 1
		.amdhsa_ieee_mode 1
		.amdhsa_fp16_overflow 0
		.amdhsa_workgroup_processor_mode 1
		.amdhsa_memory_ordered 1
		.amdhsa_forward_progress 0
		.amdhsa_shared_vgpr_count 0
		.amdhsa_exception_fp_ieee_invalid_op 0
		.amdhsa_exception_fp_denorm_src 0
		.amdhsa_exception_fp_ieee_div_zero 0
		.amdhsa_exception_fp_ieee_overflow 0
		.amdhsa_exception_fp_ieee_underflow 0
		.amdhsa_exception_fp_ieee_inexact 0
		.amdhsa_exception_int_div_zero 0
	.end_amdhsa_kernel
	.section	.text._ZN4vllm3moe17topkGatingSoftmaxItLi1ELi1ELi8ELi2ELb0ELi0ELNS0_23SharedExpertScoringFuncE0EEEvPKT_PKbPfiPiS9_iiiiii,"axG",@progbits,_ZN4vllm3moe17topkGatingSoftmaxItLi1ELi1ELi8ELi2ELb0ELi0ELNS0_23SharedExpertScoringFuncE0EEEvPKT_PKbPfiPiS9_iiiiii,comdat
.Lfunc_end209:
	.size	_ZN4vllm3moe17topkGatingSoftmaxItLi1ELi1ELi8ELi2ELb0ELi0ELNS0_23SharedExpertScoringFuncE0EEEvPKT_PKbPfiPiS9_iiiiii, .Lfunc_end209-_ZN4vllm3moe17topkGatingSoftmaxItLi1ELi1ELi8ELi2ELb0ELi0ELNS0_23SharedExpertScoringFuncE0EEEvPKT_PKbPfiPiS9_iiiiii
                                        ; -- End function
	.section	.AMDGPU.csdata,"",@progbits
; Kernel info:
; codeLenInByte = 1172
; NumSgprs: 18
; NumVgprs: 17
; ScratchSize: 0
; MemoryBound: 0
; FloatMode: 240
; IeeeMode: 1
; LDSByteSize: 0 bytes/workgroup (compile time only)
; SGPRBlocks: 2
; VGPRBlocks: 2
; NumSGPRsForWavesPerEU: 18
; NumVGPRsForWavesPerEU: 17
; Occupancy: 16
; WaveLimiterHint : 0
; COMPUTE_PGM_RSRC2:SCRATCH_EN: 0
; COMPUTE_PGM_RSRC2:USER_SGPR: 15
; COMPUTE_PGM_RSRC2:TRAP_HANDLER: 0
; COMPUTE_PGM_RSRC2:TGID_X_EN: 1
; COMPUTE_PGM_RSRC2:TGID_Y_EN: 0
; COMPUTE_PGM_RSRC2:TGID_Z_EN: 0
; COMPUTE_PGM_RSRC2:TIDIG_COMP_CNT: 1
	.section	.text._ZN4vllm3moe17topkGatingSoftmaxItLi1ELi1ELi8ELi2ELb1ELi1ELNS0_23SharedExpertScoringFuncE1EEEvPKT_PKbPfiPiS9_iiiiii,"axG",@progbits,_ZN4vllm3moe17topkGatingSoftmaxItLi1ELi1ELi8ELi2ELb1ELi1ELNS0_23SharedExpertScoringFuncE1EEEvPKT_PKbPfiPiS9_iiiiii,comdat
	.protected	_ZN4vllm3moe17topkGatingSoftmaxItLi1ELi1ELi8ELi2ELb1ELi1ELNS0_23SharedExpertScoringFuncE1EEEvPKT_PKbPfiPiS9_iiiiii ; -- Begin function _ZN4vllm3moe17topkGatingSoftmaxItLi1ELi1ELi8ELi2ELb1ELi1ELNS0_23SharedExpertScoringFuncE1EEEvPKT_PKbPfiPiS9_iiiiii
	.globl	_ZN4vllm3moe17topkGatingSoftmaxItLi1ELi1ELi8ELi2ELb1ELi1ELNS0_23SharedExpertScoringFuncE1EEEvPKT_PKbPfiPiS9_iiiiii
	.p2align	8
	.type	_ZN4vllm3moe17topkGatingSoftmaxItLi1ELi1ELi8ELi2ELb1ELi1ELNS0_23SharedExpertScoringFuncE1EEEvPKT_PKbPfiPiS9_iiiiii,@function
_ZN4vllm3moe17topkGatingSoftmaxItLi1ELi1ELi8ELi2ELb1ELi1ELNS0_23SharedExpertScoringFuncE1EEEvPKT_PKbPfiPiS9_iiiiii: ; @_ZN4vllm3moe17topkGatingSoftmaxItLi1ELi1ELi8ELi2ELb1ELi1ELNS0_23SharedExpertScoringFuncE1EEEvPKT_PKbPfiPiS9_iiiiii
; %bb.0:
	s_load_b32 s12, s[0:1], 0x18
	v_bfe_u32 v1, v0, 10, 10
	v_and_b32_e32 v8, 0x3ff, v0
	s_lshl_b32 s13, s15, 8
	s_mov_b32 s2, exec_lo
	s_delay_alu instid0(VALU_DEP_2) | instskip(NEXT) | instid1(VALU_DEP_1)
	v_lshlrev_b32_e32 v7, 5, v1
	v_add3_u32 v9, v7, v8, s13
	s_waitcnt lgkmcnt(0)
	s_delay_alu instid0(VALU_DEP_1)
	v_cmpx_gt_i32_e64 s12, v9
	s_cbranch_execz .LBB210_12
; %bb.1:
	s_clause 0x1
	s_load_b128 s[4:7], s[0:1], 0x0
	s_load_b64 s[8:9], s[0:1], 0x10
	s_waitcnt lgkmcnt(0)
	s_cmp_eq_u64 s[6:7], 0
	s_cbranch_scc1 .LBB210_3
; %bb.2:
	v_ashrrev_i32_e32 v1, 31, v9
	v_add_co_u32 v0, vcc_lo, s6, v9
	s_delay_alu instid0(VALU_DEP_2) | instskip(SKIP_3) | instid1(VALU_DEP_1)
	v_add_co_ci_u32_e32 v1, vcc_lo, s7, v1, vcc_lo
	global_load_u8 v0, v[0:1], off
	s_waitcnt vmcnt(0)
	v_and_b32_e32 v0, 1, v0
	v_cmp_eq_u32_e32 vcc_lo, 1, v0
	s_xor_b32 s2, vcc_lo, -1
	s_delay_alu instid0(SALU_CYCLE_1)
	s_or_not1_b32 s14, s2, exec_lo
	s_branch .LBB210_4
.LBB210_3:
	s_mov_b32 s14, -1
.LBB210_4:
	s_load_b64 s[10:11], s[0:1], 0x40
	s_waitcnt lgkmcnt(0)
	v_mul_lo_u32 v0, v9, s11
	s_delay_alu instid0(VALU_DEP_1) | instskip(NEXT) | instid1(VALU_DEP_1)
	v_ashrrev_i32_e32 v1, 31, v0
	v_lshlrev_b64 v[0:1], 1, v[0:1]
	s_delay_alu instid0(VALU_DEP_1) | instskip(NEXT) | instid1(VALU_DEP_2)
	v_add_co_u32 v0, vcc_lo, s4, v0
	v_add_co_ci_u32_e32 v1, vcc_lo, s5, v1, vcc_lo
	s_load_b128 s[4:7], s[0:1], 0x30
	global_load_b32 v1, v[0:1], off
	s_waitcnt lgkmcnt(0)
	s_cmp_gt_i32 s4, 0
	s_waitcnt vmcnt(0)
	v_lshrrev_b32_e32 v0, 16, v1
	s_delay_alu instid0(VALU_DEP_1) | instskip(NEXT) | instid1(VALU_DEP_1)
	v_cvt_f32_u32_e32 v0, v0
	v_mul_f32_e32 v2, 0xbfb8aa3b, v0
	v_cmp_nlt_f32_e32 vcc_lo, 0x42ce8ed0, v0
	s_delay_alu instid0(VALU_DEP_2) | instskip(SKIP_1) | instid1(VALU_DEP_1)
	v_fma_f32 v3, 0xbfb8aa3b, v0, -v2
	v_rndne_f32_e32 v4, v2
	v_dual_fmamk_f32 v3, v0, 0xb2a5705f, v3 :: v_dual_sub_f32 v2, v2, v4
	s_delay_alu instid0(VALU_DEP_1) | instskip(SKIP_1) | instid1(VALU_DEP_2)
	v_add_f32_e32 v2, v2, v3
	v_cvt_i32_f32_e32 v3, v4
	v_exp_f32_e32 v2, v2
	s_waitcnt_depctr 0xfff
	v_ldexp_f32 v2, v2, v3
	s_delay_alu instid0(VALU_DEP_1) | instskip(SKIP_1) | instid1(VALU_DEP_2)
	v_cndmask_b32_e32 v2, 0, v2, vcc_lo
	v_cmp_ngt_f32_e32 vcc_lo, 0xc2b17218, v0
	v_cndmask_b32_e32 v0, 0x7f800000, v2, vcc_lo
	s_delay_alu instid0(VALU_DEP_1) | instskip(NEXT) | instid1(VALU_DEP_1)
	v_add_f32_e32 v4, 1.0, v0
	v_div_scale_f32 v5, null, v4, v4, 1.0
	v_div_scale_f32 v10, vcc_lo, 1.0, v4, 1.0
	s_delay_alu instid0(VALU_DEP_2) | instskip(SKIP_2) | instid1(VALU_DEP_1)
	v_rcp_f32_e32 v6, v5
	s_waitcnt_depctr 0xfff
	v_fma_f32 v0, -v5, v6, 1.0
	v_fmac_f32_e32 v6, v0, v6
	v_mul_lo_u32 v0, v9, s7
	s_cselect_b32 s7, -1, 0
	s_cmp_lt_i32 s4, 1
	s_delay_alu instid0(VALU_DEP_1) | instskip(NEXT) | instid1(VALU_DEP_1)
	v_dual_mul_f32 v11, v10, v6 :: v_dual_add_nc_u32 v2, s4, v0
	v_fma_f32 v3, -v5, v11, v10
	s_delay_alu instid0(VALU_DEP_1) | instskip(NEXT) | instid1(VALU_DEP_3)
	v_fmac_f32_e32 v11, v3, v6
	v_ashrrev_i32_e32 v3, 31, v2
	s_delay_alu instid0(VALU_DEP_2) | instskip(NEXT) | instid1(VALU_DEP_2)
	v_fma_f32 v5, -v5, v11, v10
	v_lshlrev_b64 v[2:3], 2, v[2:3]
	v_mov_b32_e32 v10, 0
	s_delay_alu instid0(VALU_DEP_3) | instskip(NEXT) | instid1(VALU_DEP_3)
	v_div_fmas_f32 v5, v5, v6, v11
	v_add_co_u32 v2, vcc_lo, s8, v2
	s_delay_alu instid0(VALU_DEP_4) | instskip(NEXT) | instid1(VALU_DEP_3)
	v_add_co_ci_u32_e32 v3, vcc_lo, s9, v3, vcc_lo
	v_div_fixup_f32 v4, v5, v4, 1.0
	global_store_b32 v[2:3], v4, off
	s_cbranch_scc1 .LBB210_8
; %bb.5:
	v_and_b32_e32 v1, 0xffff, v1
	s_load_b128 s[0:3], s[0:1], 0x20
	v_mul_lo_u32 v2, v9, s10
	s_cmp_lt_i32 s5, 1
	s_cselect_b32 s10, -1, 0
	v_cvt_f32_u32_e32 v12, v1
	s_cmp_gt_i32 s6, 0
	s_cselect_b32 s6, -1, 0
	s_sub_i32 s5, 0, s5
	s_delay_alu instid0(VALU_DEP_1) | instskip(SKIP_1) | instid1(SALU_CYCLE_1)
	v_sub_f32_e32 v10, v12, v12
	s_and_b32 s6, s10, s6
	s_and_b32 s6, s14, s6
	s_cmp_eq_u32 s4, 1
	s_delay_alu instid0(VALU_DEP_1) | instskip(SKIP_1) | instid1(VALU_DEP_2)
	v_mul_f32_e32 v1, 0x3fb8aa3b, v10
	v_cndmask_b32_e64 v11, 1, s5, s6
	v_fma_f32 v3, 0x3fb8aa3b, v10, -v1
	v_rndne_f32_e32 v4, v1
	s_delay_alu instid0(VALU_DEP_2) | instskip(NEXT) | instid1(VALU_DEP_2)
	v_fmac_f32_e32 v3, 0x32a5705f, v10
	v_sub_f32_e32 v5, v1, v4
	v_ashrrev_i32_e32 v1, 31, v0
	s_delay_alu instid0(VALU_DEP_2) | instskip(NEXT) | instid1(VALU_DEP_2)
	v_add_f32_e32 v3, v5, v3
	v_lshlrev_b64 v[13:14], 2, v[0:1]
	v_cvt_i32_f32_e32 v1, v4
	v_mul_lo_u32 v5, v9, s4
	s_delay_alu instid0(VALU_DEP_4) | instskip(SKIP_1) | instid1(VALU_DEP_2)
	v_exp_f32_e32 v15, v3
	v_ashrrev_i32_e32 v3, 31, v2
	v_ashrrev_i32_e32 v6, 31, v5
	s_delay_alu instid0(VALU_DEP_2)
	v_lshlrev_b64 v[3:4], 2, v[2:3]
	s_waitcnt_depctr 0xfff
	v_ldexp_f32 v15, v15, v1
	v_add_co_u32 v1, vcc_lo, s8, v13
	v_add_co_ci_u32_e32 v2, vcc_lo, s9, v14, vcc_lo
	v_cmp_ngt_f32_e32 vcc_lo, 0xc2ce8ed0, v10
	v_lshlrev_b64 v[5:6], 2, v[5:6]
	v_cndmask_b32_e32 v15, 0, v15, vcc_lo
	s_waitcnt lgkmcnt(0)
	v_add_co_u32 v13, vcc_lo, s0, v3
	v_add_co_ci_u32_e32 v14, vcc_lo, s1, v4, vcc_lo
	v_cmp_nlt_f32_e32 vcc_lo, 0x42b17218, v10
	v_cndmask_b32_e32 v10, 0x7f800000, v15, vcc_lo
	v_add_co_u32 v15, vcc_lo, s2, v5
	v_add_co_ci_u32_e32 v16, vcc_lo, s3, v6, vcc_lo
	global_store_b32 v[13:14], v11, off
	global_store_b32 v[1:2], v10, off
	;; [unrolled: 1-line block ×3, first 2 shown]
	s_cbranch_scc1 .LBB210_8
; %bb.6:
	v_sub_f32_e32 v9, 0xff800000, v12
	v_add_co_u32 v5, vcc_lo, v5, s2
	v_add_co_ci_u32_e32 v6, vcc_lo, s3, v6, vcc_lo
	s_delay_alu instid0(VALU_DEP_3) | instskip(SKIP_1) | instid1(SALU_CYCLE_1)
	v_mul_f32_e32 v12, 0x3fb8aa3b, v9
	s_add_i32 s13, s13, s12
	v_add3_u32 v7, s13, v8, v7
	s_delay_alu instid0(VALU_DEP_2) | instskip(SKIP_1) | instid1(VALU_DEP_1)
	v_fma_f32 v13, 0x3fb8aa3b, v9, -v12
	v_rndne_f32_e32 v14, v12
	v_dual_sub_f32 v12, v12, v14 :: v_dual_fmac_f32 v13, 0x32a5705f, v9
	s_delay_alu instid0(VALU_DEP_1) | instskip(SKIP_3) | instid1(VALU_DEP_4)
	v_add_f32_e32 v12, v12, v13
	v_add_co_u32 v13, vcc_lo, v3, s0
	v_cvt_i32_f32_e32 v3, v14
	v_add_co_ci_u32_e32 v15, vcc_lo, s1, v4, vcc_lo
	v_exp_f32_e32 v12, v12
	v_add_co_u32 v1, vcc_lo, v1, 4
	v_add_co_ci_u32_e32 v2, vcc_lo, 0, v2, vcc_lo
	s_add_i32 s0, s4, -1
	s_waitcnt_depctr 0xfff
	v_ldexp_f32 v12, v12, v3
	v_add_co_u32 v3, vcc_lo, v5, 4
	v_add_co_ci_u32_e32 v4, vcc_lo, 0, v6, vcc_lo
	v_cmp_ngt_f32_e32 vcc_lo, 0xc2ce8ed0, v9
	s_delay_alu instid0(VALU_DEP_4) | instskip(SKIP_3) | instid1(VALU_DEP_4)
	v_cndmask_b32_e32 v12, 0, v12, vcc_lo
	v_add_co_u32 v5, vcc_lo, v13, 4
	v_add_co_ci_u32_e32 v6, vcc_lo, 0, v15, vcc_lo
	v_cmp_nlt_f32_e32 vcc_lo, 0x42b17218, v9
	v_cndmask_b32_e32 v9, 0x7f800000, v12, vcc_lo
	.p2align	6
.LBB210_7:                              ; =>This Inner Loop Header: Depth=1
	global_store_b32 v[1:2], v9, off
	global_store_b32 v[5:6], v11, off
	;; [unrolled: 1-line block ×3, first 2 shown]
	v_add_co_u32 v3, vcc_lo, v3, 4
	v_add_co_ci_u32_e32 v4, vcc_lo, 0, v4, vcc_lo
	v_add_co_u32 v5, vcc_lo, v5, 4
	v_add_co_ci_u32_e32 v6, vcc_lo, 0, v6, vcc_lo
	v_add_co_u32 v1, vcc_lo, v1, 4
	v_dual_add_f32 v10, v10, v9 :: v_dual_add_nc_u32 v7, s12, v7
	v_add_co_ci_u32_e32 v2, vcc_lo, 0, v2, vcc_lo
	s_add_i32 s0, s0, -1
	s_delay_alu instid0(SALU_CYCLE_1)
	s_cmp_eq_u32 s0, 0
	s_cbranch_scc0 .LBB210_7
.LBB210_8:
	v_cmp_neq_f32_e32 vcc_lo, 0, v10
	s_and_b32 exec_lo, exec_lo, vcc_lo
	s_cbranch_execz .LBB210_12
; %bb.9:
	s_and_not1_b32 vcc_lo, exec_lo, s7
	s_cbranch_vccnz .LBB210_12
; %bb.10:
	v_div_scale_f32 v1, null, v10, v10, 1.0
	v_div_scale_f32 v4, vcc_lo, 1.0, v10, 1.0
	s_delay_alu instid0(VALU_DEP_2) | instskip(SKIP_2) | instid1(VALU_DEP_1)
	v_rcp_f32_e32 v2, v1
	s_waitcnt_depctr 0xfff
	v_fma_f32 v3, -v1, v2, 1.0
	v_fmac_f32_e32 v2, v3, v2
	s_delay_alu instid0(VALU_DEP_1) | instskip(NEXT) | instid1(VALU_DEP_1)
	v_mul_f32_e32 v3, v4, v2
	v_fma_f32 v5, -v1, v3, v4
	s_delay_alu instid0(VALU_DEP_1) | instskip(NEXT) | instid1(VALU_DEP_1)
	v_fmac_f32_e32 v3, v5, v2
	v_fma_f32 v4, -v1, v3, v4
	v_ashrrev_i32_e32 v1, 31, v0
	s_delay_alu instid0(VALU_DEP_2) | instskip(NEXT) | instid1(VALU_DEP_2)
	v_div_fmas_f32 v2, v4, v2, v3
	v_lshlrev_b64 v[0:1], 2, v[0:1]
	s_delay_alu instid0(VALU_DEP_2) | instskip(NEXT) | instid1(VALU_DEP_2)
	v_div_fixup_f32 v2, v2, v10, 1.0
	v_add_co_u32 v0, vcc_lo, s8, v0
	s_delay_alu instid0(VALU_DEP_3)
	v_add_co_ci_u32_e32 v1, vcc_lo, s9, v1, vcc_lo
.LBB210_11:                             ; =>This Inner Loop Header: Depth=1
	global_load_b32 v3, v[0:1], off
	s_add_i32 s4, s4, -1
	s_delay_alu instid0(SALU_CYCLE_1)
	s_cmp_lg_u32 s4, 0
	s_waitcnt vmcnt(0)
	v_mul_f32_e32 v3, v2, v3
	global_store_b32 v[0:1], v3, off
	v_add_co_u32 v0, vcc_lo, v0, 4
	v_add_co_ci_u32_e32 v1, vcc_lo, 0, v1, vcc_lo
	s_cbranch_scc1 .LBB210_11
.LBB210_12:
	s_nop 0
	s_sendmsg sendmsg(MSG_DEALLOC_VGPRS)
	s_endpgm
	.section	.rodata,"a",@progbits
	.p2align	6, 0x0
	.amdhsa_kernel _ZN4vllm3moe17topkGatingSoftmaxItLi1ELi1ELi8ELi2ELb1ELi1ELNS0_23SharedExpertScoringFuncE1EEEvPKT_PKbPfiPiS9_iiiiii
		.amdhsa_group_segment_fixed_size 0
		.amdhsa_private_segment_fixed_size 0
		.amdhsa_kernarg_size 72
		.amdhsa_user_sgpr_count 15
		.amdhsa_user_sgpr_dispatch_ptr 0
		.amdhsa_user_sgpr_queue_ptr 0
		.amdhsa_user_sgpr_kernarg_segment_ptr 1
		.amdhsa_user_sgpr_dispatch_id 0
		.amdhsa_user_sgpr_private_segment_size 0
		.amdhsa_wavefront_size32 1
		.amdhsa_uses_dynamic_stack 0
		.amdhsa_enable_private_segment 0
		.amdhsa_system_sgpr_workgroup_id_x 1
		.amdhsa_system_sgpr_workgroup_id_y 0
		.amdhsa_system_sgpr_workgroup_id_z 0
		.amdhsa_system_sgpr_workgroup_info 0
		.amdhsa_system_vgpr_workitem_id 1
		.amdhsa_next_free_vgpr 17
		.amdhsa_next_free_sgpr 16
		.amdhsa_reserve_vcc 1
		.amdhsa_float_round_mode_32 0
		.amdhsa_float_round_mode_16_64 0
		.amdhsa_float_denorm_mode_32 3
		.amdhsa_float_denorm_mode_16_64 3
		.amdhsa_dx10_clamp 1
		.amdhsa_ieee_mode 1
		.amdhsa_fp16_overflow 0
		.amdhsa_workgroup_processor_mode 1
		.amdhsa_memory_ordered 1
		.amdhsa_forward_progress 0
		.amdhsa_shared_vgpr_count 0
		.amdhsa_exception_fp_ieee_invalid_op 0
		.amdhsa_exception_fp_denorm_src 0
		.amdhsa_exception_fp_ieee_div_zero 0
		.amdhsa_exception_fp_ieee_overflow 0
		.amdhsa_exception_fp_ieee_underflow 0
		.amdhsa_exception_fp_ieee_inexact 0
		.amdhsa_exception_int_div_zero 0
	.end_amdhsa_kernel
	.section	.text._ZN4vllm3moe17topkGatingSoftmaxItLi1ELi1ELi8ELi2ELb1ELi1ELNS0_23SharedExpertScoringFuncE1EEEvPKT_PKbPfiPiS9_iiiiii,"axG",@progbits,_ZN4vllm3moe17topkGatingSoftmaxItLi1ELi1ELi8ELi2ELb1ELi1ELNS0_23SharedExpertScoringFuncE1EEEvPKT_PKbPfiPiS9_iiiiii,comdat
.Lfunc_end210:
	.size	_ZN4vllm3moe17topkGatingSoftmaxItLi1ELi1ELi8ELi2ELb1ELi1ELNS0_23SharedExpertScoringFuncE1EEEvPKT_PKbPfiPiS9_iiiiii, .Lfunc_end210-_ZN4vllm3moe17topkGatingSoftmaxItLi1ELi1ELi8ELi2ELb1ELi1ELNS0_23SharedExpertScoringFuncE1EEEvPKT_PKbPfiPiS9_iiiiii
                                        ; -- End function
	.section	.AMDGPU.csdata,"",@progbits
; Kernel info:
; codeLenInByte = 1296
; NumSgprs: 18
; NumVgprs: 17
; ScratchSize: 0
; MemoryBound: 0
; FloatMode: 240
; IeeeMode: 1
; LDSByteSize: 0 bytes/workgroup (compile time only)
; SGPRBlocks: 2
; VGPRBlocks: 2
; NumSGPRsForWavesPerEU: 18
; NumVGPRsForWavesPerEU: 17
; Occupancy: 16
; WaveLimiterHint : 0
; COMPUTE_PGM_RSRC2:SCRATCH_EN: 0
; COMPUTE_PGM_RSRC2:USER_SGPR: 15
; COMPUTE_PGM_RSRC2:TRAP_HANDLER: 0
; COMPUTE_PGM_RSRC2:TGID_X_EN: 1
; COMPUTE_PGM_RSRC2:TGID_Y_EN: 0
; COMPUTE_PGM_RSRC2:TGID_Z_EN: 0
; COMPUTE_PGM_RSRC2:TIDIG_COMP_CNT: 1
	.section	.text._ZN4vllm3moe17topkGatingSoftmaxItLi1ELi1ELi8ELi2ELb0ELi1ELNS0_23SharedExpertScoringFuncE1EEEvPKT_PKbPfiPiS9_iiiiii,"axG",@progbits,_ZN4vllm3moe17topkGatingSoftmaxItLi1ELi1ELi8ELi2ELb0ELi1ELNS0_23SharedExpertScoringFuncE1EEEvPKT_PKbPfiPiS9_iiiiii,comdat
	.protected	_ZN4vllm3moe17topkGatingSoftmaxItLi1ELi1ELi8ELi2ELb0ELi1ELNS0_23SharedExpertScoringFuncE1EEEvPKT_PKbPfiPiS9_iiiiii ; -- Begin function _ZN4vllm3moe17topkGatingSoftmaxItLi1ELi1ELi8ELi2ELb0ELi1ELNS0_23SharedExpertScoringFuncE1EEEvPKT_PKbPfiPiS9_iiiiii
	.globl	_ZN4vllm3moe17topkGatingSoftmaxItLi1ELi1ELi8ELi2ELb0ELi1ELNS0_23SharedExpertScoringFuncE1EEEvPKT_PKbPfiPiS9_iiiiii
	.p2align	8
	.type	_ZN4vllm3moe17topkGatingSoftmaxItLi1ELi1ELi8ELi2ELb0ELi1ELNS0_23SharedExpertScoringFuncE1EEEvPKT_PKbPfiPiS9_iiiiii,@function
_ZN4vllm3moe17topkGatingSoftmaxItLi1ELi1ELi8ELi2ELb0ELi1ELNS0_23SharedExpertScoringFuncE1EEEvPKT_PKbPfiPiS9_iiiiii: ; @_ZN4vllm3moe17topkGatingSoftmaxItLi1ELi1ELi8ELi2ELb0ELi1ELNS0_23SharedExpertScoringFuncE1EEEvPKT_PKbPfiPiS9_iiiiii
; %bb.0:
	s_load_b32 s12, s[0:1], 0x18
	v_bfe_u32 v1, v0, 10, 10
	v_and_b32_e32 v8, 0x3ff, v0
	s_lshl_b32 s13, s15, 8
	s_mov_b32 s2, exec_lo
	s_delay_alu instid0(VALU_DEP_2) | instskip(NEXT) | instid1(VALU_DEP_1)
	v_lshlrev_b32_e32 v7, 5, v1
	v_add3_u32 v10, v7, v8, s13
	s_waitcnt lgkmcnt(0)
	s_delay_alu instid0(VALU_DEP_1)
	v_cmpx_gt_i32_e64 s12, v10
	s_cbranch_execz .LBB211_13
; %bb.1:
	s_clause 0x1
	s_load_b128 s[4:7], s[0:1], 0x0
	s_load_b64 s[8:9], s[0:1], 0x10
	s_waitcnt lgkmcnt(0)
	s_cmp_eq_u64 s[6:7], 0
	s_cbranch_scc1 .LBB211_3
; %bb.2:
	v_ashrrev_i32_e32 v1, 31, v10
	v_add_co_u32 v0, vcc_lo, s6, v10
	s_delay_alu instid0(VALU_DEP_2) | instskip(SKIP_3) | instid1(VALU_DEP_1)
	v_add_co_ci_u32_e32 v1, vcc_lo, s7, v1, vcc_lo
	global_load_u8 v0, v[0:1], off
	s_waitcnt vmcnt(0)
	v_and_b32_e32 v0, 1, v0
	v_cmp_eq_u32_e32 vcc_lo, 1, v0
	s_xor_b32 s2, vcc_lo, -1
	s_delay_alu instid0(SALU_CYCLE_1)
	s_or_not1_b32 s14, s2, exec_lo
	s_branch .LBB211_4
.LBB211_3:
	s_mov_b32 s14, -1
.LBB211_4:
	s_load_b64 s[10:11], s[0:1], 0x40
	s_waitcnt lgkmcnt(0)
	v_mul_lo_u32 v0, v10, s11
	s_delay_alu instid0(VALU_DEP_1) | instskip(NEXT) | instid1(VALU_DEP_1)
	v_ashrrev_i32_e32 v1, 31, v0
	v_lshlrev_b64 v[0:1], 1, v[0:1]
	s_delay_alu instid0(VALU_DEP_1) | instskip(NEXT) | instid1(VALU_DEP_2)
	v_add_co_u32 v0, vcc_lo, s4, v0
	v_add_co_ci_u32_e32 v1, vcc_lo, s5, v1, vcc_lo
	s_load_b128 s[4:7], s[0:1], 0x30
	global_load_b32 v3, v[0:1], off
	s_waitcnt lgkmcnt(0)
	s_cmp_gt_i32 s4, 0
	s_waitcnt vmcnt(0)
	v_lshrrev_b32_e32 v0, 16, v3
	v_and_b32_e32 v3, 0xffff, v3
	s_delay_alu instid0(VALU_DEP_2) | instskip(NEXT) | instid1(VALU_DEP_1)
	v_cvt_f32_u32_e32 v0, v0
	v_mul_f32_e32 v1, 0xbfb8aa3b, v0
	v_cmp_nlt_f32_e32 vcc_lo, 0x42ce8ed0, v0
	s_delay_alu instid0(VALU_DEP_2) | instskip(SKIP_1) | instid1(VALU_DEP_1)
	v_fma_f32 v2, 0xbfb8aa3b, v0, -v1
	v_rndne_f32_e32 v4, v1
	v_dual_fmamk_f32 v2, v0, 0xb2a5705f, v2 :: v_dual_sub_f32 v1, v1, v4
	s_delay_alu instid0(VALU_DEP_1) | instskip(SKIP_1) | instid1(VALU_DEP_2)
	v_add_f32_e32 v1, v1, v2
	v_cvt_i32_f32_e32 v2, v4
	v_exp_f32_e32 v1, v1
	s_waitcnt_depctr 0xfff
	v_ldexp_f32 v1, v1, v2
	s_delay_alu instid0(VALU_DEP_1) | instskip(SKIP_1) | instid1(VALU_DEP_2)
	v_cndmask_b32_e32 v1, 0, v1, vcc_lo
	v_cmp_ngt_f32_e32 vcc_lo, 0xc2b17218, v0
	v_cndmask_b32_e32 v0, 0x7f800000, v1, vcc_lo
	s_delay_alu instid0(VALU_DEP_1) | instskip(NEXT) | instid1(VALU_DEP_1)
	v_add_f32_e32 v5, 1.0, v0
	v_div_scale_f32 v4, null, v5, v5, 1.0
	v_div_scale_f32 v9, vcc_lo, 1.0, v5, 1.0
	s_delay_alu instid0(VALU_DEP_2) | instskip(SKIP_2) | instid1(VALU_DEP_1)
	v_rcp_f32_e32 v6, v4
	s_waitcnt_depctr 0xfff
	v_fma_f32 v0, -v4, v6, 1.0
	v_fmac_f32_e32 v6, v0, v6
	v_mul_lo_u32 v0, v10, s7
	s_cselect_b32 s7, -1, 0
	s_cmp_lt_i32 s4, 1
	s_delay_alu instid0(VALU_DEP_2) | instskip(NEXT) | instid1(VALU_DEP_2)
	v_mul_f32_e32 v11, v9, v6
	v_add_nc_u32_e32 v1, s4, v0
	s_delay_alu instid0(VALU_DEP_2) | instskip(NEXT) | instid1(VALU_DEP_1)
	v_fma_f32 v2, -v4, v11, v9
	v_fmac_f32_e32 v11, v2, v6
	s_delay_alu instid0(VALU_DEP_3) | instskip(NEXT) | instid1(VALU_DEP_2)
	v_ashrrev_i32_e32 v2, 31, v1
	v_fma_f32 v4, -v4, v11, v9
	s_delay_alu instid0(VALU_DEP_2) | instskip(SKIP_1) | instid1(VALU_DEP_3)
	v_lshlrev_b64 v[1:2], 2, v[1:2]
	v_cvt_f32_u32_e32 v9, v3
	v_div_fmas_f32 v6, v4, v6, v11
	v_mov_b32_e32 v11, 0
	s_delay_alu instid0(VALU_DEP_4) | instskip(SKIP_1) | instid1(VALU_DEP_4)
	v_add_co_u32 v3, vcc_lo, s8, v1
	v_add_co_ci_u32_e32 v4, vcc_lo, s9, v2, vcc_lo
	v_div_fixup_f32 v2, v6, v5, 1.0
	v_mov_b32_e32 v1, v9
	global_store_b32 v[3:4], v2, off
	s_cbranch_scc1 .LBB211_9
; %bb.5:
	v_sub_f32_e32 v11, v9, v9
	s_load_b128 s[0:3], s[0:1], 0x20
	v_mul_lo_u32 v2, v10, s10
	s_cmp_lt_i32 s5, 1
	s_cselect_b32 s10, -1, 0
	v_mul_f32_e32 v1, 0x3fb8aa3b, v11
	s_cmp_gt_i32 s6, 0
	s_cselect_b32 s6, -1, 0
	s_sub_i32 s5, 0, s5
	s_delay_alu instid0(VALU_DEP_1) | instskip(SKIP_2) | instid1(SALU_CYCLE_1)
	v_rndne_f32_e32 v4, v1
	v_fma_f32 v3, 0x3fb8aa3b, v11, -v1
	s_and_b32 s6, s10, s6
	s_and_b32 s6, s14, s6
	s_delay_alu instid0(VALU_DEP_2) | instskip(NEXT) | instid1(VALU_DEP_2)
	v_sub_f32_e32 v5, v1, v4
	v_fmac_f32_e32 v3, 0x32a5705f, v11
	v_ashrrev_i32_e32 v1, 31, v0
	v_cndmask_b32_e64 v12, 1, s5, s6
	s_cmp_eq_u32 s4, 1
	s_delay_alu instid0(VALU_DEP_3) | instskip(NEXT) | instid1(VALU_DEP_3)
	v_add_f32_e32 v3, v5, v3
	v_lshlrev_b64 v[13:14], 2, v[0:1]
	v_cvt_i32_f32_e32 v1, v4
	v_mul_lo_u32 v5, v10, s4
	s_delay_alu instid0(VALU_DEP_4) | instskip(SKIP_1) | instid1(VALU_DEP_2)
	v_exp_f32_e32 v15, v3
	v_ashrrev_i32_e32 v3, 31, v2
	v_ashrrev_i32_e32 v6, 31, v5
	s_delay_alu instid0(VALU_DEP_2)
	v_lshlrev_b64 v[3:4], 2, v[2:3]
	s_waitcnt_depctr 0xfff
	v_ldexp_f32 v15, v15, v1
	v_add_co_u32 v1, vcc_lo, s8, v13
	v_add_co_ci_u32_e32 v2, vcc_lo, s9, v14, vcc_lo
	v_cmp_ngt_f32_e32 vcc_lo, 0xc2ce8ed0, v11
	v_lshlrev_b64 v[5:6], 2, v[5:6]
	v_cndmask_b32_e32 v15, 0, v15, vcc_lo
	s_waitcnt lgkmcnt(0)
	v_add_co_u32 v13, vcc_lo, s0, v3
	v_add_co_ci_u32_e32 v14, vcc_lo, s1, v4, vcc_lo
	v_cmp_nlt_f32_e32 vcc_lo, 0x42b17218, v11
	v_cndmask_b32_e32 v11, 0x7f800000, v15, vcc_lo
	v_add_co_u32 v15, vcc_lo, s2, v5
	v_add_co_ci_u32_e32 v16, vcc_lo, s3, v6, vcc_lo
	global_store_b32 v[13:14], v12, off
	global_store_b32 v[1:2], v11, off
	;; [unrolled: 1-line block ×3, first 2 shown]
	s_cbranch_scc1 .LBB211_8
; %bb.6:
	v_sub_f32_e32 v10, 0xff800000, v9
	v_add_co_u32 v5, vcc_lo, v5, s2
	v_add_co_ci_u32_e32 v6, vcc_lo, s3, v6, vcc_lo
	s_delay_alu instid0(VALU_DEP_3) | instskip(SKIP_1) | instid1(SALU_CYCLE_1)
	v_mul_f32_e32 v13, 0x3fb8aa3b, v10
	s_add_i32 s13, s13, s12
	v_add3_u32 v7, s13, v8, v7
	s_delay_alu instid0(VALU_DEP_2) | instskip(SKIP_1) | instid1(VALU_DEP_1)
	v_fma_f32 v14, 0x3fb8aa3b, v10, -v13
	v_rndne_f32_e32 v15, v13
	v_dual_sub_f32 v13, v13, v15 :: v_dual_fmac_f32 v14, 0x32a5705f, v10
	s_delay_alu instid0(VALU_DEP_1) | instskip(SKIP_3) | instid1(VALU_DEP_4)
	v_add_f32_e32 v13, v13, v14
	v_add_co_u32 v14, vcc_lo, v3, s0
	v_cvt_i32_f32_e32 v3, v15
	v_add_co_ci_u32_e32 v16, vcc_lo, s1, v4, vcc_lo
	v_exp_f32_e32 v13, v13
	v_add_co_u32 v1, vcc_lo, v1, 4
	v_add_co_ci_u32_e32 v2, vcc_lo, 0, v2, vcc_lo
	s_add_i32 s0, s4, -1
	s_waitcnt_depctr 0xfff
	v_ldexp_f32 v13, v13, v3
	v_add_co_u32 v3, vcc_lo, v5, 4
	v_add_co_ci_u32_e32 v4, vcc_lo, 0, v6, vcc_lo
	v_cmp_ngt_f32_e32 vcc_lo, 0xc2ce8ed0, v10
	s_delay_alu instid0(VALU_DEP_4) | instskip(SKIP_3) | instid1(VALU_DEP_4)
	v_cndmask_b32_e32 v13, 0, v13, vcc_lo
	v_add_co_u32 v5, vcc_lo, v14, 4
	v_add_co_ci_u32_e32 v6, vcc_lo, 0, v16, vcc_lo
	v_cmp_nlt_f32_e32 vcc_lo, 0x42b17218, v10
	v_cndmask_b32_e32 v10, 0x7f800000, v13, vcc_lo
	.p2align	6
.LBB211_7:                              ; =>This Inner Loop Header: Depth=1
	global_store_b32 v[1:2], v10, off
	global_store_b32 v[5:6], v12, off
	;; [unrolled: 1-line block ×3, first 2 shown]
	v_add_co_u32 v3, vcc_lo, v3, 4
	v_add_co_ci_u32_e32 v4, vcc_lo, 0, v4, vcc_lo
	v_add_co_u32 v5, vcc_lo, v5, 4
	v_add_co_ci_u32_e32 v6, vcc_lo, 0, v6, vcc_lo
	v_add_co_u32 v1, vcc_lo, v1, 4
	v_add_f32_e32 v11, v11, v10
	v_add_co_ci_u32_e32 v2, vcc_lo, 0, v2, vcc_lo
	v_add_nc_u32_e32 v7, s12, v7
	s_add_i32 s0, s0, -1
	s_delay_alu instid0(SALU_CYCLE_1)
	s_cmp_eq_u32 s0, 0
	s_cbranch_scc0 .LBB211_7
.LBB211_8:
	v_mov_b32_e32 v1, 0xff800000
.LBB211_9:
	s_delay_alu instid0(VALU_DEP_1) | instskip(NEXT) | instid1(VALU_DEP_1)
	v_sub_f32_e32 v1, v1, v9
	v_mul_f32_e32 v2, 0x3fb8aa3b, v1
	s_delay_alu instid0(VALU_DEP_1) | instskip(SKIP_1) | instid1(VALU_DEP_1)
	v_fma_f32 v3, 0x3fb8aa3b, v1, -v2
	v_rndne_f32_e32 v4, v2
	v_sub_f32_e32 v2, v2, v4
	v_cmp_ngt_f32_e32 vcc_lo, 0xc2ce8ed0, v1
	s_delay_alu instid0(VALU_DEP_4) | instskip(NEXT) | instid1(VALU_DEP_1)
	v_fmamk_f32 v3, v1, 0x32a5705f, v3
	v_add_f32_e32 v2, v2, v3
	v_cvt_i32_f32_e32 v3, v4
	s_delay_alu instid0(VALU_DEP_2) | instskip(SKIP_2) | instid1(VALU_DEP_1)
	v_exp_f32_e32 v2, v2
	s_waitcnt_depctr 0xfff
	v_ldexp_f32 v2, v2, v3
	v_cndmask_b32_e32 v2, 0, v2, vcc_lo
	v_cmp_nlt_f32_e32 vcc_lo, 0x42b17218, v1
	s_delay_alu instid0(VALU_DEP_2) | instskip(NEXT) | instid1(VALU_DEP_1)
	v_cndmask_b32_e32 v1, 0x7f800000, v2, vcc_lo
	v_add_f32_e32 v2, v11, v1
	s_delay_alu instid0(VALU_DEP_1)
	v_cmp_neq_f32_e32 vcc_lo, 0, v2
	s_and_b32 exec_lo, exec_lo, vcc_lo
	s_cbranch_execz .LBB211_13
; %bb.10:
	s_and_not1_b32 vcc_lo, exec_lo, s7
	s_cbranch_vccnz .LBB211_13
; %bb.11:
	v_div_scale_f32 v1, null, v2, v2, 1.0
	v_div_scale_f32 v5, vcc_lo, 1.0, v2, 1.0
	s_delay_alu instid0(VALU_DEP_2) | instskip(SKIP_2) | instid1(VALU_DEP_1)
	v_rcp_f32_e32 v3, v1
	s_waitcnt_depctr 0xfff
	v_fma_f32 v4, -v1, v3, 1.0
	v_fmac_f32_e32 v3, v4, v3
	s_delay_alu instid0(VALU_DEP_1) | instskip(NEXT) | instid1(VALU_DEP_1)
	v_mul_f32_e32 v4, v5, v3
	v_fma_f32 v6, -v1, v4, v5
	s_delay_alu instid0(VALU_DEP_1) | instskip(NEXT) | instid1(VALU_DEP_1)
	v_fmac_f32_e32 v4, v6, v3
	v_fma_f32 v5, -v1, v4, v5
	v_ashrrev_i32_e32 v1, 31, v0
	s_delay_alu instid0(VALU_DEP_2) | instskip(NEXT) | instid1(VALU_DEP_2)
	v_div_fmas_f32 v3, v5, v3, v4
	v_lshlrev_b64 v[0:1], 2, v[0:1]
	s_delay_alu instid0(VALU_DEP_2) | instskip(NEXT) | instid1(VALU_DEP_2)
	v_div_fixup_f32 v2, v3, v2, 1.0
	v_add_co_u32 v0, vcc_lo, s8, v0
	s_delay_alu instid0(VALU_DEP_3)
	v_add_co_ci_u32_e32 v1, vcc_lo, s9, v1, vcc_lo
.LBB211_12:                             ; =>This Inner Loop Header: Depth=1
	global_load_b32 v3, v[0:1], off
	s_add_i32 s4, s4, -1
	s_delay_alu instid0(SALU_CYCLE_1)
	s_cmp_lg_u32 s4, 0
	s_waitcnt vmcnt(0)
	v_mul_f32_e32 v3, v2, v3
	global_store_b32 v[0:1], v3, off
	v_add_co_u32 v0, vcc_lo, v0, 4
	v_add_co_ci_u32_e32 v1, vcc_lo, 0, v1, vcc_lo
	s_cbranch_scc1 .LBB211_12
.LBB211_13:
	s_nop 0
	s_sendmsg sendmsg(MSG_DEALLOC_VGPRS)
	s_endpgm
	.section	.rodata,"a",@progbits
	.p2align	6, 0x0
	.amdhsa_kernel _ZN4vllm3moe17topkGatingSoftmaxItLi1ELi1ELi8ELi2ELb0ELi1ELNS0_23SharedExpertScoringFuncE1EEEvPKT_PKbPfiPiS9_iiiiii
		.amdhsa_group_segment_fixed_size 0
		.amdhsa_private_segment_fixed_size 0
		.amdhsa_kernarg_size 72
		.amdhsa_user_sgpr_count 15
		.amdhsa_user_sgpr_dispatch_ptr 0
		.amdhsa_user_sgpr_queue_ptr 0
		.amdhsa_user_sgpr_kernarg_segment_ptr 1
		.amdhsa_user_sgpr_dispatch_id 0
		.amdhsa_user_sgpr_private_segment_size 0
		.amdhsa_wavefront_size32 1
		.amdhsa_uses_dynamic_stack 0
		.amdhsa_enable_private_segment 0
		.amdhsa_system_sgpr_workgroup_id_x 1
		.amdhsa_system_sgpr_workgroup_id_y 0
		.amdhsa_system_sgpr_workgroup_id_z 0
		.amdhsa_system_sgpr_workgroup_info 0
		.amdhsa_system_vgpr_workitem_id 1
		.amdhsa_next_free_vgpr 17
		.amdhsa_next_free_sgpr 16
		.amdhsa_reserve_vcc 1
		.amdhsa_float_round_mode_32 0
		.amdhsa_float_round_mode_16_64 0
		.amdhsa_float_denorm_mode_32 3
		.amdhsa_float_denorm_mode_16_64 3
		.amdhsa_dx10_clamp 1
		.amdhsa_ieee_mode 1
		.amdhsa_fp16_overflow 0
		.amdhsa_workgroup_processor_mode 1
		.amdhsa_memory_ordered 1
		.amdhsa_forward_progress 0
		.amdhsa_shared_vgpr_count 0
		.amdhsa_exception_fp_ieee_invalid_op 0
		.amdhsa_exception_fp_denorm_src 0
		.amdhsa_exception_fp_ieee_div_zero 0
		.amdhsa_exception_fp_ieee_overflow 0
		.amdhsa_exception_fp_ieee_underflow 0
		.amdhsa_exception_fp_ieee_inexact 0
		.amdhsa_exception_int_div_zero 0
	.end_amdhsa_kernel
	.section	.text._ZN4vllm3moe17topkGatingSoftmaxItLi1ELi1ELi8ELi2ELb0ELi1ELNS0_23SharedExpertScoringFuncE1EEEvPKT_PKbPfiPiS9_iiiiii,"axG",@progbits,_ZN4vllm3moe17topkGatingSoftmaxItLi1ELi1ELi8ELi2ELb0ELi1ELNS0_23SharedExpertScoringFuncE1EEEvPKT_PKbPfiPiS9_iiiiii,comdat
.Lfunc_end211:
	.size	_ZN4vllm3moe17topkGatingSoftmaxItLi1ELi1ELi8ELi2ELb0ELi1ELNS0_23SharedExpertScoringFuncE1EEEvPKT_PKbPfiPiS9_iiiiii, .Lfunc_end211-_ZN4vllm3moe17topkGatingSoftmaxItLi1ELi1ELi8ELi2ELb0ELi1ELNS0_23SharedExpertScoringFuncE1EEEvPKT_PKbPfiPiS9_iiiiii
                                        ; -- End function
	.section	.AMDGPU.csdata,"",@progbits
; Kernel info:
; codeLenInByte = 1424
; NumSgprs: 18
; NumVgprs: 17
; ScratchSize: 0
; MemoryBound: 0
; FloatMode: 240
; IeeeMode: 1
; LDSByteSize: 0 bytes/workgroup (compile time only)
; SGPRBlocks: 2
; VGPRBlocks: 2
; NumSGPRsForWavesPerEU: 18
; NumVGPRsForWavesPerEU: 17
; Occupancy: 16
; WaveLimiterHint : 0
; COMPUTE_PGM_RSRC2:SCRATCH_EN: 0
; COMPUTE_PGM_RSRC2:USER_SGPR: 15
; COMPUTE_PGM_RSRC2:TRAP_HANDLER: 0
; COMPUTE_PGM_RSRC2:TGID_X_EN: 1
; COMPUTE_PGM_RSRC2:TGID_Y_EN: 0
; COMPUTE_PGM_RSRC2:TGID_Z_EN: 0
; COMPUTE_PGM_RSRC2:TIDIG_COMP_CNT: 1
	.section	.text._ZN4vllm3moe17topkGatingSoftmaxItLi1ELi1ELi8ELi2ELb1ELi2ELNS0_23SharedExpertScoringFuncE1EEEvPKT_PKbPfiPiS9_iiiiii,"axG",@progbits,_ZN4vllm3moe17topkGatingSoftmaxItLi1ELi1ELi8ELi2ELb1ELi2ELNS0_23SharedExpertScoringFuncE1EEEvPKT_PKbPfiPiS9_iiiiii,comdat
	.protected	_ZN4vllm3moe17topkGatingSoftmaxItLi1ELi1ELi8ELi2ELb1ELi2ELNS0_23SharedExpertScoringFuncE1EEEvPKT_PKbPfiPiS9_iiiiii ; -- Begin function _ZN4vllm3moe17topkGatingSoftmaxItLi1ELi1ELi8ELi2ELb1ELi2ELNS0_23SharedExpertScoringFuncE1EEEvPKT_PKbPfiPiS9_iiiiii
	.globl	_ZN4vllm3moe17topkGatingSoftmaxItLi1ELi1ELi8ELi2ELb1ELi2ELNS0_23SharedExpertScoringFuncE1EEEvPKT_PKbPfiPiS9_iiiiii
	.p2align	8
	.type	_ZN4vllm3moe17topkGatingSoftmaxItLi1ELi1ELi8ELi2ELb1ELi2ELNS0_23SharedExpertScoringFuncE1EEEvPKT_PKbPfiPiS9_iiiiii,@function
_ZN4vllm3moe17topkGatingSoftmaxItLi1ELi1ELi8ELi2ELb1ELi2ELNS0_23SharedExpertScoringFuncE1EEEvPKT_PKbPfiPiS9_iiiiii: ; @_ZN4vllm3moe17topkGatingSoftmaxItLi1ELi1ELi8ELi2ELb1ELi2ELNS0_23SharedExpertScoringFuncE1EEEvPKT_PKbPfiPiS9_iiiiii
; %bb.0:
	s_load_b32 s12, s[0:1], 0x18
	v_bfe_u32 v1, v0, 10, 10
	v_and_b32_e32 v8, 0x3ff, v0
	s_lshl_b32 s13, s15, 8
	s_mov_b32 s2, exec_lo
	s_delay_alu instid0(VALU_DEP_2) | instskip(NEXT) | instid1(VALU_DEP_1)
	v_lshlrev_b32_e32 v7, 5, v1
	v_add3_u32 v9, v7, v8, s13
	s_waitcnt lgkmcnt(0)
	s_delay_alu instid0(VALU_DEP_1)
	v_cmpx_gt_i32_e64 s12, v9
	s_cbranch_execz .LBB212_12
; %bb.1:
	s_clause 0x1
	s_load_b128 s[4:7], s[0:1], 0x0
	s_load_b64 s[8:9], s[0:1], 0x10
	s_waitcnt lgkmcnt(0)
	s_cmp_eq_u64 s[6:7], 0
	s_cbranch_scc1 .LBB212_3
; %bb.2:
	v_ashrrev_i32_e32 v1, 31, v9
	v_add_co_u32 v0, vcc_lo, s6, v9
	s_delay_alu instid0(VALU_DEP_2) | instskip(SKIP_3) | instid1(VALU_DEP_1)
	v_add_co_ci_u32_e32 v1, vcc_lo, s7, v1, vcc_lo
	global_load_u8 v0, v[0:1], off
	s_waitcnt vmcnt(0)
	v_and_b32_e32 v0, 1, v0
	v_cmp_eq_u32_e32 vcc_lo, 1, v0
	s_xor_b32 s2, vcc_lo, -1
	s_delay_alu instid0(SALU_CYCLE_1)
	s_or_not1_b32 s14, s2, exec_lo
	s_branch .LBB212_4
.LBB212_3:
	s_mov_b32 s14, -1
.LBB212_4:
	s_load_b64 s[10:11], s[0:1], 0x40
	s_waitcnt lgkmcnt(0)
	v_mul_lo_u32 v0, v9, s11
	s_delay_alu instid0(VALU_DEP_1) | instskip(NEXT) | instid1(VALU_DEP_1)
	v_ashrrev_i32_e32 v1, 31, v0
	v_lshlrev_b64 v[0:1], 1, v[0:1]
	s_delay_alu instid0(VALU_DEP_1) | instskip(NEXT) | instid1(VALU_DEP_2)
	v_add_co_u32 v2, vcc_lo, s4, v0
	v_add_co_ci_u32_e32 v3, vcc_lo, s5, v1, vcc_lo
	s_load_b128 s[4:7], s[0:1], 0x30
	s_clause 0x1
	global_load_b32 v1, v[2:3], off
	global_load_u16 v0, v[2:3], off offset:4
	s_waitcnt lgkmcnt(0)
	s_cmp_gt_i32 s4, 0
	s_waitcnt vmcnt(1)
	v_lshrrev_b32_e32 v2, 16, v1
	s_delay_alu instid0(VALU_DEP_1) | instskip(NEXT) | instid1(VALU_DEP_1)
	v_cvt_f32_u32_e32 v2, v2
	v_mul_f32_e32 v3, 0xbfb8aa3b, v2
	v_cmp_nlt_f32_e32 vcc_lo, 0x42ce8ed0, v2
	s_delay_alu instid0(VALU_DEP_2) | instskip(SKIP_3) | instid1(VALU_DEP_3)
	v_rndne_f32_e32 v6, v3
	s_waitcnt vmcnt(0)
	v_and_b32_e32 v0, 0xffff, v0
	v_fma_f32 v5, 0xbfb8aa3b, v2, -v3
	v_sub_f32_e32 v3, v3, v6
	s_delay_alu instid0(VALU_DEP_3) | instskip(NEXT) | instid1(VALU_DEP_1)
	v_cvt_f32_u32_e32 v0, v0
	v_mul_f32_e32 v4, 0xbfb8aa3b, v0
	s_delay_alu instid0(VALU_DEP_1) | instskip(SKIP_1) | instid1(VALU_DEP_2)
	v_fma_f32 v10, 0xbfb8aa3b, v0, -v4
	v_rndne_f32_e32 v11, v4
	v_dual_fmac_f32 v5, 0xb2a5705f, v2 :: v_dual_fmac_f32 v10, 0xb2a5705f, v0
	s_delay_alu instid0(VALU_DEP_1) | instskip(SKIP_2) | instid1(VALU_DEP_3)
	v_dual_sub_f32 v4, v4, v11 :: v_dual_add_f32 v3, v3, v5
	v_cvt_i32_f32_e32 v5, v6
	v_cvt_i32_f32_e32 v6, v11
	v_exp_f32_e32 v3, v3
	s_waitcnt_depctr 0xfff
	v_ldexp_f32 v3, v3, v5
	s_delay_alu instid0(VALU_DEP_1) | instskip(NEXT) | instid1(VALU_DEP_1)
	v_dual_add_f32 v4, v4, v10 :: v_dual_cndmask_b32 v3, 0, v3
	v_exp_f32_e32 v4, v4
	v_cmp_nlt_f32_e32 vcc_lo, 0x42ce8ed0, v0
	s_waitcnt_depctr 0xfff
	v_ldexp_f32 v4, v4, v6
	s_delay_alu instid0(VALU_DEP_1) | instskip(SKIP_3) | instid1(VALU_DEP_4)
	v_cndmask_b32_e32 v4, 0, v4, vcc_lo
	v_cmp_ngt_f32_e32 vcc_lo, 0xc2b17218, v2
	v_cndmask_b32_e32 v2, 0x7f800000, v3, vcc_lo
	v_cmp_ngt_f32_e32 vcc_lo, 0xc2b17218, v0
	v_cndmask_b32_e32 v0, 0x7f800000, v4, vcc_lo
	s_delay_alu instid0(VALU_DEP_1) | instskip(NEXT) | instid1(VALU_DEP_1)
	v_dual_add_f32 v5, 1.0, v0 :: v_dual_add_f32 v4, 1.0, v2
	v_div_scale_f32 v10, null, v5, v5, 1.0
	s_delay_alu instid0(VALU_DEP_2) | instskip(SKIP_1) | instid1(VALU_DEP_3)
	v_div_scale_f32 v6, null, v4, v4, 1.0
	v_div_scale_f32 v13, vcc_lo, 1.0, v4, 1.0
	v_rcp_f32_e32 v12, v10
	s_delay_alu instid0(VALU_DEP_2) | instskip(SKIP_4) | instid1(VALU_DEP_1)
	v_rcp_f32_e32 v11, v6
	v_div_scale_f32 v14, s2, 1.0, v5, 1.0
	s_waitcnt_depctr 0xfff
	v_fma_f32 v2, -v10, v12, 1.0
	v_fma_f32 v0, -v6, v11, 1.0
	v_dual_fmac_f32 v12, v2, v12 :: v_dual_fmac_f32 v11, v0, v11
	v_mul_lo_u32 v0, v9, s7
	s_cselect_b32 s7, -1, 0
	s_cmp_lt_i32 s4, 1
	s_delay_alu instid0(VALU_DEP_2) | instskip(NEXT) | instid1(VALU_DEP_1)
	v_dual_mul_f32 v16, v14, v12 :: v_dual_mul_f32 v15, v13, v11
	v_fma_f32 v17, -v10, v16, v14
	s_delay_alu instid0(VALU_DEP_2) | instskip(NEXT) | instid1(VALU_DEP_4)
	v_fma_f32 v3, -v6, v15, v13
	v_add_nc_u32_e32 v2, s4, v0
	s_delay_alu instid0(VALU_DEP_2) | instskip(NEXT) | instid1(VALU_DEP_2)
	v_dual_fmac_f32 v16, v17, v12 :: v_dual_fmac_f32 v15, v3, v11
	v_ashrrev_i32_e32 v3, 31, v2
	s_delay_alu instid0(VALU_DEP_2) | instskip(NEXT) | instid1(VALU_DEP_3)
	v_fma_f32 v10, -v10, v16, v14
	v_fma_f32 v6, -v6, v15, v13
	s_delay_alu instid0(VALU_DEP_3) | instskip(NEXT) | instid1(VALU_DEP_2)
	v_lshlrev_b64 v[2:3], 2, v[2:3]
	v_div_fmas_f32 v6, v6, v11, v15
	s_mov_b32 vcc_lo, s2
	v_div_fmas_f32 v10, v10, v12, v16
	s_delay_alu instid0(VALU_DEP_3) | instskip(NEXT) | instid1(VALU_DEP_4)
	v_add_co_u32 v2, vcc_lo, s8, v2
	v_add_co_ci_u32_e32 v3, vcc_lo, s9, v3, vcc_lo
	v_div_fixup_f32 v4, v6, v4, 1.0
	s_delay_alu instid0(VALU_DEP_4)
	v_div_fixup_f32 v5, v10, v5, 1.0
	v_mov_b32_e32 v10, 0
	global_store_b64 v[2:3], v[4:5], off
	s_cbranch_scc1 .LBB212_8
; %bb.5:
	v_and_b32_e32 v1, 0xffff, v1
	s_load_b128 s[0:3], s[0:1], 0x20
	v_mul_lo_u32 v2, v9, s10
	s_cmp_lt_i32 s5, 1
	s_cselect_b32 s10, -1, 0
	v_cvt_f32_u32_e32 v12, v1
	s_cmp_gt_i32 s6, 0
	s_cselect_b32 s6, -1, 0
	s_sub_i32 s5, 0, s5
	s_delay_alu instid0(VALU_DEP_1) | instskip(SKIP_1) | instid1(SALU_CYCLE_1)
	v_sub_f32_e32 v10, v12, v12
	s_and_b32 s6, s10, s6
	s_and_b32 s6, s14, s6
	s_cmp_eq_u32 s4, 1
	s_delay_alu instid0(VALU_DEP_1) | instskip(SKIP_1) | instid1(VALU_DEP_2)
	v_mul_f32_e32 v1, 0x3fb8aa3b, v10
	v_cndmask_b32_e64 v11, 1, s5, s6
	v_fma_f32 v3, 0x3fb8aa3b, v10, -v1
	v_rndne_f32_e32 v4, v1
	s_delay_alu instid0(VALU_DEP_2) | instskip(NEXT) | instid1(VALU_DEP_2)
	v_fmac_f32_e32 v3, 0x32a5705f, v10
	v_sub_f32_e32 v5, v1, v4
	v_ashrrev_i32_e32 v1, 31, v0
	s_delay_alu instid0(VALU_DEP_2) | instskip(NEXT) | instid1(VALU_DEP_2)
	v_add_f32_e32 v3, v5, v3
	v_lshlrev_b64 v[13:14], 2, v[0:1]
	v_cvt_i32_f32_e32 v1, v4
	v_mul_lo_u32 v5, v9, s4
	s_delay_alu instid0(VALU_DEP_4) | instskip(SKIP_1) | instid1(VALU_DEP_2)
	v_exp_f32_e32 v15, v3
	v_ashrrev_i32_e32 v3, 31, v2
	v_ashrrev_i32_e32 v6, 31, v5
	s_delay_alu instid0(VALU_DEP_2)
	v_lshlrev_b64 v[3:4], 2, v[2:3]
	s_waitcnt_depctr 0xfff
	v_ldexp_f32 v15, v15, v1
	v_add_co_u32 v1, vcc_lo, s8, v13
	v_add_co_ci_u32_e32 v2, vcc_lo, s9, v14, vcc_lo
	v_cmp_ngt_f32_e32 vcc_lo, 0xc2ce8ed0, v10
	v_lshlrev_b64 v[5:6], 2, v[5:6]
	v_cndmask_b32_e32 v15, 0, v15, vcc_lo
	s_waitcnt lgkmcnt(0)
	v_add_co_u32 v13, vcc_lo, s0, v3
	v_add_co_ci_u32_e32 v14, vcc_lo, s1, v4, vcc_lo
	v_cmp_nlt_f32_e32 vcc_lo, 0x42b17218, v10
	v_cndmask_b32_e32 v10, 0x7f800000, v15, vcc_lo
	v_add_co_u32 v15, vcc_lo, s2, v5
	v_add_co_ci_u32_e32 v16, vcc_lo, s3, v6, vcc_lo
	global_store_b32 v[13:14], v11, off
	global_store_b32 v[1:2], v10, off
	;; [unrolled: 1-line block ×3, first 2 shown]
	s_cbranch_scc1 .LBB212_8
; %bb.6:
	v_sub_f32_e32 v9, 0xff800000, v12
	v_add_co_u32 v5, vcc_lo, v5, s2
	v_add_co_ci_u32_e32 v6, vcc_lo, s3, v6, vcc_lo
	s_delay_alu instid0(VALU_DEP_3) | instskip(SKIP_1) | instid1(SALU_CYCLE_1)
	v_mul_f32_e32 v12, 0x3fb8aa3b, v9
	s_add_i32 s13, s13, s12
	v_add3_u32 v7, s13, v8, v7
	s_delay_alu instid0(VALU_DEP_2) | instskip(SKIP_1) | instid1(VALU_DEP_1)
	v_fma_f32 v13, 0x3fb8aa3b, v9, -v12
	v_rndne_f32_e32 v14, v12
	v_dual_sub_f32 v12, v12, v14 :: v_dual_fmac_f32 v13, 0x32a5705f, v9
	s_delay_alu instid0(VALU_DEP_1) | instskip(SKIP_3) | instid1(VALU_DEP_4)
	v_add_f32_e32 v12, v12, v13
	v_add_co_u32 v13, vcc_lo, v3, s0
	v_cvt_i32_f32_e32 v3, v14
	v_add_co_ci_u32_e32 v15, vcc_lo, s1, v4, vcc_lo
	v_exp_f32_e32 v12, v12
	v_add_co_u32 v1, vcc_lo, v1, 4
	v_add_co_ci_u32_e32 v2, vcc_lo, 0, v2, vcc_lo
	s_add_i32 s0, s4, -1
	s_waitcnt_depctr 0xfff
	v_ldexp_f32 v12, v12, v3
	v_add_co_u32 v3, vcc_lo, v5, 4
	v_add_co_ci_u32_e32 v4, vcc_lo, 0, v6, vcc_lo
	v_cmp_ngt_f32_e32 vcc_lo, 0xc2ce8ed0, v9
	s_delay_alu instid0(VALU_DEP_4) | instskip(SKIP_3) | instid1(VALU_DEP_4)
	v_cndmask_b32_e32 v12, 0, v12, vcc_lo
	v_add_co_u32 v5, vcc_lo, v13, 4
	v_add_co_ci_u32_e32 v6, vcc_lo, 0, v15, vcc_lo
	v_cmp_nlt_f32_e32 vcc_lo, 0x42b17218, v9
	v_cndmask_b32_e32 v9, 0x7f800000, v12, vcc_lo
	.p2align	6
.LBB212_7:                              ; =>This Inner Loop Header: Depth=1
	global_store_b32 v[1:2], v9, off
	global_store_b32 v[5:6], v11, off
	;; [unrolled: 1-line block ×3, first 2 shown]
	v_add_co_u32 v3, vcc_lo, v3, 4
	v_add_co_ci_u32_e32 v4, vcc_lo, 0, v4, vcc_lo
	v_add_co_u32 v5, vcc_lo, v5, 4
	v_add_co_ci_u32_e32 v6, vcc_lo, 0, v6, vcc_lo
	v_add_co_u32 v1, vcc_lo, v1, 4
	v_dual_add_f32 v10, v10, v9 :: v_dual_add_nc_u32 v7, s12, v7
	v_add_co_ci_u32_e32 v2, vcc_lo, 0, v2, vcc_lo
	s_add_i32 s0, s0, -1
	s_delay_alu instid0(SALU_CYCLE_1)
	s_cmp_eq_u32 s0, 0
	s_cbranch_scc0 .LBB212_7
.LBB212_8:
	v_cmp_neq_f32_e32 vcc_lo, 0, v10
	s_and_b32 exec_lo, exec_lo, vcc_lo
	s_cbranch_execz .LBB212_12
; %bb.9:
	s_and_not1_b32 vcc_lo, exec_lo, s7
	s_cbranch_vccnz .LBB212_12
; %bb.10:
	v_div_scale_f32 v1, null, v10, v10, 1.0
	v_div_scale_f32 v4, vcc_lo, 1.0, v10, 1.0
	s_delay_alu instid0(VALU_DEP_2) | instskip(SKIP_2) | instid1(VALU_DEP_1)
	v_rcp_f32_e32 v2, v1
	s_waitcnt_depctr 0xfff
	v_fma_f32 v3, -v1, v2, 1.0
	v_fmac_f32_e32 v2, v3, v2
	s_delay_alu instid0(VALU_DEP_1) | instskip(NEXT) | instid1(VALU_DEP_1)
	v_mul_f32_e32 v3, v4, v2
	v_fma_f32 v5, -v1, v3, v4
	s_delay_alu instid0(VALU_DEP_1) | instskip(NEXT) | instid1(VALU_DEP_1)
	v_fmac_f32_e32 v3, v5, v2
	v_fma_f32 v4, -v1, v3, v4
	v_ashrrev_i32_e32 v1, 31, v0
	s_delay_alu instid0(VALU_DEP_2) | instskip(NEXT) | instid1(VALU_DEP_2)
	v_div_fmas_f32 v2, v4, v2, v3
	v_lshlrev_b64 v[0:1], 2, v[0:1]
	s_delay_alu instid0(VALU_DEP_2) | instskip(NEXT) | instid1(VALU_DEP_2)
	v_div_fixup_f32 v2, v2, v10, 1.0
	v_add_co_u32 v0, vcc_lo, s8, v0
	s_delay_alu instid0(VALU_DEP_3)
	v_add_co_ci_u32_e32 v1, vcc_lo, s9, v1, vcc_lo
.LBB212_11:                             ; =>This Inner Loop Header: Depth=1
	global_load_b32 v3, v[0:1], off
	s_add_i32 s4, s4, -1
	s_delay_alu instid0(SALU_CYCLE_1)
	s_cmp_lg_u32 s4, 0
	s_waitcnt vmcnt(0)
	v_mul_f32_e32 v3, v2, v3
	global_store_b32 v[0:1], v3, off
	v_add_co_u32 v0, vcc_lo, v0, 4
	v_add_co_ci_u32_e32 v1, vcc_lo, 0, v1, vcc_lo
	s_cbranch_scc1 .LBB212_11
.LBB212_12:
	s_nop 0
	s_sendmsg sendmsg(MSG_DEALLOC_VGPRS)
	s_endpgm
	.section	.rodata,"a",@progbits
	.p2align	6, 0x0
	.amdhsa_kernel _ZN4vllm3moe17topkGatingSoftmaxItLi1ELi1ELi8ELi2ELb1ELi2ELNS0_23SharedExpertScoringFuncE1EEEvPKT_PKbPfiPiS9_iiiiii
		.amdhsa_group_segment_fixed_size 0
		.amdhsa_private_segment_fixed_size 0
		.amdhsa_kernarg_size 72
		.amdhsa_user_sgpr_count 15
		.amdhsa_user_sgpr_dispatch_ptr 0
		.amdhsa_user_sgpr_queue_ptr 0
		.amdhsa_user_sgpr_kernarg_segment_ptr 1
		.amdhsa_user_sgpr_dispatch_id 0
		.amdhsa_user_sgpr_private_segment_size 0
		.amdhsa_wavefront_size32 1
		.amdhsa_uses_dynamic_stack 0
		.amdhsa_enable_private_segment 0
		.amdhsa_system_sgpr_workgroup_id_x 1
		.amdhsa_system_sgpr_workgroup_id_y 0
		.amdhsa_system_sgpr_workgroup_id_z 0
		.amdhsa_system_sgpr_workgroup_info 0
		.amdhsa_system_vgpr_workitem_id 1
		.amdhsa_next_free_vgpr 18
		.amdhsa_next_free_sgpr 16
		.amdhsa_reserve_vcc 1
		.amdhsa_float_round_mode_32 0
		.amdhsa_float_round_mode_16_64 0
		.amdhsa_float_denorm_mode_32 3
		.amdhsa_float_denorm_mode_16_64 3
		.amdhsa_dx10_clamp 1
		.amdhsa_ieee_mode 1
		.amdhsa_fp16_overflow 0
		.amdhsa_workgroup_processor_mode 1
		.amdhsa_memory_ordered 1
		.amdhsa_forward_progress 0
		.amdhsa_shared_vgpr_count 0
		.amdhsa_exception_fp_ieee_invalid_op 0
		.amdhsa_exception_fp_denorm_src 0
		.amdhsa_exception_fp_ieee_div_zero 0
		.amdhsa_exception_fp_ieee_overflow 0
		.amdhsa_exception_fp_ieee_underflow 0
		.amdhsa_exception_fp_ieee_inexact 0
		.amdhsa_exception_int_div_zero 0
	.end_amdhsa_kernel
	.section	.text._ZN4vllm3moe17topkGatingSoftmaxItLi1ELi1ELi8ELi2ELb1ELi2ELNS0_23SharedExpertScoringFuncE1EEEvPKT_PKbPfiPiS9_iiiiii,"axG",@progbits,_ZN4vllm3moe17topkGatingSoftmaxItLi1ELi1ELi8ELi2ELb1ELi2ELNS0_23SharedExpertScoringFuncE1EEEvPKT_PKbPfiPiS9_iiiiii,comdat
.Lfunc_end212:
	.size	_ZN4vllm3moe17topkGatingSoftmaxItLi1ELi1ELi8ELi2ELb1ELi2ELNS0_23SharedExpertScoringFuncE1EEEvPKT_PKbPfiPiS9_iiiiii, .Lfunc_end212-_ZN4vllm3moe17topkGatingSoftmaxItLi1ELi1ELi8ELi2ELb1ELi2ELNS0_23SharedExpertScoringFuncE1EEEvPKT_PKbPfiPiS9_iiiiii
                                        ; -- End function
	.section	.AMDGPU.csdata,"",@progbits
; Kernel info:
; codeLenInByte = 1512
; NumSgprs: 18
; NumVgprs: 18
; ScratchSize: 0
; MemoryBound: 0
; FloatMode: 240
; IeeeMode: 1
; LDSByteSize: 0 bytes/workgroup (compile time only)
; SGPRBlocks: 2
; VGPRBlocks: 2
; NumSGPRsForWavesPerEU: 18
; NumVGPRsForWavesPerEU: 18
; Occupancy: 16
; WaveLimiterHint : 0
; COMPUTE_PGM_RSRC2:SCRATCH_EN: 0
; COMPUTE_PGM_RSRC2:USER_SGPR: 15
; COMPUTE_PGM_RSRC2:TRAP_HANDLER: 0
; COMPUTE_PGM_RSRC2:TGID_X_EN: 1
; COMPUTE_PGM_RSRC2:TGID_Y_EN: 0
; COMPUTE_PGM_RSRC2:TGID_Z_EN: 0
; COMPUTE_PGM_RSRC2:TIDIG_COMP_CNT: 1
	.section	.text._ZN4vllm3moe17topkGatingSoftmaxItLi1ELi1ELi8ELi2ELb0ELi2ELNS0_23SharedExpertScoringFuncE1EEEvPKT_PKbPfiPiS9_iiiiii,"axG",@progbits,_ZN4vllm3moe17topkGatingSoftmaxItLi1ELi1ELi8ELi2ELb0ELi2ELNS0_23SharedExpertScoringFuncE1EEEvPKT_PKbPfiPiS9_iiiiii,comdat
	.protected	_ZN4vllm3moe17topkGatingSoftmaxItLi1ELi1ELi8ELi2ELb0ELi2ELNS0_23SharedExpertScoringFuncE1EEEvPKT_PKbPfiPiS9_iiiiii ; -- Begin function _ZN4vllm3moe17topkGatingSoftmaxItLi1ELi1ELi8ELi2ELb0ELi2ELNS0_23SharedExpertScoringFuncE1EEEvPKT_PKbPfiPiS9_iiiiii
	.globl	_ZN4vllm3moe17topkGatingSoftmaxItLi1ELi1ELi8ELi2ELb0ELi2ELNS0_23SharedExpertScoringFuncE1EEEvPKT_PKbPfiPiS9_iiiiii
	.p2align	8
	.type	_ZN4vllm3moe17topkGatingSoftmaxItLi1ELi1ELi8ELi2ELb0ELi2ELNS0_23SharedExpertScoringFuncE1EEEvPKT_PKbPfiPiS9_iiiiii,@function
_ZN4vllm3moe17topkGatingSoftmaxItLi1ELi1ELi8ELi2ELb0ELi2ELNS0_23SharedExpertScoringFuncE1EEEvPKT_PKbPfiPiS9_iiiiii: ; @_ZN4vllm3moe17topkGatingSoftmaxItLi1ELi1ELi8ELi2ELb0ELi2ELNS0_23SharedExpertScoringFuncE1EEEvPKT_PKbPfiPiS9_iiiiii
; %bb.0:
	s_load_b32 s12, s[0:1], 0x18
	v_bfe_u32 v1, v0, 10, 10
	v_and_b32_e32 v8, 0x3ff, v0
	s_lshl_b32 s13, s15, 8
	s_mov_b32 s2, exec_lo
	s_delay_alu instid0(VALU_DEP_2) | instskip(NEXT) | instid1(VALU_DEP_1)
	v_lshlrev_b32_e32 v7, 5, v1
	v_add3_u32 v9, v7, v8, s13
	s_waitcnt lgkmcnt(0)
	s_delay_alu instid0(VALU_DEP_1)
	v_cmpx_gt_i32_e64 s12, v9
	s_cbranch_execz .LBB213_13
; %bb.1:
	s_clause 0x1
	s_load_b128 s[4:7], s[0:1], 0x0
	s_load_b64 s[8:9], s[0:1], 0x10
	s_waitcnt lgkmcnt(0)
	s_cmp_eq_u64 s[6:7], 0
	s_cbranch_scc1 .LBB213_3
; %bb.2:
	v_ashrrev_i32_e32 v1, 31, v9
	v_add_co_u32 v0, vcc_lo, s6, v9
	s_delay_alu instid0(VALU_DEP_2) | instskip(SKIP_3) | instid1(VALU_DEP_1)
	v_add_co_ci_u32_e32 v1, vcc_lo, s7, v1, vcc_lo
	global_load_u8 v0, v[0:1], off
	s_waitcnt vmcnt(0)
	v_and_b32_e32 v0, 1, v0
	v_cmp_eq_u32_e32 vcc_lo, 1, v0
	s_xor_b32 s2, vcc_lo, -1
	s_delay_alu instid0(SALU_CYCLE_1)
	s_or_not1_b32 s14, s2, exec_lo
	s_branch .LBB213_4
.LBB213_3:
	s_mov_b32 s14, -1
.LBB213_4:
	s_load_b64 s[10:11], s[0:1], 0x40
	s_waitcnt lgkmcnt(0)
	v_mul_lo_u32 v0, v9, s11
	s_delay_alu instid0(VALU_DEP_1) | instskip(NEXT) | instid1(VALU_DEP_1)
	v_ashrrev_i32_e32 v1, 31, v0
	v_lshlrev_b64 v[0:1], 1, v[0:1]
	s_delay_alu instid0(VALU_DEP_1) | instskip(NEXT) | instid1(VALU_DEP_2)
	v_add_co_u32 v0, vcc_lo, s4, v0
	v_add_co_ci_u32_e32 v1, vcc_lo, s5, v1, vcc_lo
	s_load_b128 s[4:7], s[0:1], 0x30
	s_clause 0x1
	global_load_b32 v3, v[0:1], off
	global_load_u16 v0, v[0:1], off offset:4
	s_waitcnt lgkmcnt(0)
	s_cmp_gt_i32 s4, 0
	s_waitcnt vmcnt(1)
	v_lshrrev_b32_e32 v1, 16, v3
	s_waitcnt vmcnt(0)
	v_cvt_f32_u32_e32 v0, v0
	v_and_b32_e32 v3, 0xffff, v3
	s_delay_alu instid0(VALU_DEP_3) | instskip(NEXT) | instid1(VALU_DEP_3)
	v_cvt_f32_u32_e32 v1, v1
	v_mul_f32_e32 v4, 0xbfb8aa3b, v0
	s_delay_alu instid0(VALU_DEP_2) | instskip(NEXT) | instid1(VALU_DEP_2)
	v_mul_f32_e32 v2, 0xbfb8aa3b, v1
	v_fma_f32 v10, 0xbfb8aa3b, v0, -v4
	v_rndne_f32_e32 v11, v4
	v_cmp_nlt_f32_e32 vcc_lo, 0x42ce8ed0, v1
	s_delay_alu instid0(VALU_DEP_4) | instskip(SKIP_1) | instid1(VALU_DEP_2)
	v_fma_f32 v5, 0xbfb8aa3b, v1, -v2
	v_rndne_f32_e32 v6, v2
	v_dual_fmac_f32 v10, 0xb2a5705f, v0 :: v_dual_fmac_f32 v5, 0xb2a5705f, v1
	s_delay_alu instid0(VALU_DEP_2) | instskip(NEXT) | instid1(VALU_DEP_1)
	v_sub_f32_e32 v2, v2, v6
	v_add_f32_e32 v2, v2, v5
	v_cvt_i32_f32_e32 v5, v6
	v_cvt_i32_f32_e32 v6, v11
	s_delay_alu instid0(VALU_DEP_3) | instskip(SKIP_2) | instid1(VALU_DEP_1)
	v_exp_f32_e32 v2, v2
	s_waitcnt_depctr 0xfff
	v_ldexp_f32 v2, v2, v5
	v_cndmask_b32_e32 v2, 0, v2, vcc_lo
	v_sub_f32_e32 v4, v4, v11
	v_cmp_nlt_f32_e32 vcc_lo, 0x42ce8ed0, v0
	s_delay_alu instid0(VALU_DEP_2) | instskip(NEXT) | instid1(VALU_DEP_1)
	v_add_f32_e32 v4, v4, v10
	v_exp_f32_e32 v4, v4
	s_waitcnt_depctr 0xfff
	v_ldexp_f32 v4, v4, v6
	s_delay_alu instid0(VALU_DEP_1) | instskip(SKIP_3) | instid1(VALU_DEP_2)
	v_cndmask_b32_e32 v4, 0, v4, vcc_lo
	v_cmp_ngt_f32_e32 vcc_lo, 0xc2b17218, v1
	v_cndmask_b32_e32 v1, 0x7f800000, v2, vcc_lo
	v_cmp_ngt_f32_e32 vcc_lo, 0xc2b17218, v0
	v_dual_add_f32 v5, 1.0, v1 :: v_dual_cndmask_b32 v0, 0x7f800000, v4
	s_delay_alu instid0(VALU_DEP_1) | instskip(NEXT) | instid1(VALU_DEP_2)
	v_div_scale_f32 v4, null, v5, v5, 1.0
	v_add_f32_e32 v6, 1.0, v0
	v_div_scale_f32 v10, vcc_lo, 1.0, v5, 1.0
	s_delay_alu instid0(VALU_DEP_3) | instskip(SKIP_1) | instid1(VALU_DEP_3)
	v_rcp_f32_e32 v12, v4
	v_mul_lo_u32 v0, v9, s7
	v_div_scale_f32 v11, null, v6, v6, 1.0
	v_div_scale_f32 v14, s2, 1.0, v6, 1.0
	s_cselect_b32 s7, -1, 0
	s_delay_alu instid0(VALU_DEP_2) | instskip(SKIP_3) | instid1(VALU_DEP_1)
	v_rcp_f32_e32 v13, v11
	s_cmp_lt_i32 s4, 1
	s_waitcnt_depctr 0xfff
	v_fma_f32 v1, -v4, v12, 1.0
	v_fmac_f32_e32 v12, v1, v12
	v_add_nc_u32_e32 v1, s4, v0
	v_fma_f32 v2, -v11, v13, 1.0
	s_delay_alu instid0(VALU_DEP_3) | instskip(NEXT) | instid1(VALU_DEP_2)
	v_mul_f32_e32 v15, v10, v12
	v_fmac_f32_e32 v13, v2, v13
	s_delay_alu instid0(VALU_DEP_4) | instskip(NEXT) | instid1(VALU_DEP_3)
	v_ashrrev_i32_e32 v2, 31, v1
	v_fma_f32 v17, -v4, v15, v10
	s_delay_alu instid0(VALU_DEP_3) | instskip(NEXT) | instid1(VALU_DEP_3)
	v_mul_f32_e32 v16, v14, v13
	v_lshlrev_b64 v[1:2], 2, v[1:2]
	s_delay_alu instid0(VALU_DEP_3) | instskip(NEXT) | instid1(VALU_DEP_3)
	v_fmac_f32_e32 v15, v17, v12
	v_fma_f32 v18, -v11, v16, v14
	s_delay_alu instid0(VALU_DEP_2) | instskip(SKIP_1) | instid1(VALU_DEP_3)
	v_fma_f32 v4, -v4, v15, v10
	v_cvt_f32_u32_e32 v10, v3
	v_fmac_f32_e32 v16, v18, v13
	s_delay_alu instid0(VALU_DEP_1) | instskip(NEXT) | instid1(VALU_DEP_4)
	v_fma_f32 v3, -v11, v16, v14
	v_div_fmas_f32 v11, v4, v12, v15
	s_mov_b32 vcc_lo, s2
	s_delay_alu instid0(VALU_DEP_2)
	v_div_fmas_f32 v12, v3, v13, v16
	v_add_co_u32 v3, vcc_lo, s8, v1
	v_mov_b32_e32 v1, v10
	v_add_co_ci_u32_e32 v4, vcc_lo, s9, v2, vcc_lo
	v_div_fixup_f32 v5, v11, v5, 1.0
	v_div_fixup_f32 v6, v12, v6, 1.0
	v_mov_b32_e32 v11, 0
	global_store_b64 v[3:4], v[5:6], off
	s_cbranch_scc1 .LBB213_9
; %bb.5:
	v_sub_f32_e32 v11, v10, v10
	s_load_b128 s[0:3], s[0:1], 0x20
	v_mul_lo_u32 v2, v9, s10
	s_cmp_lt_i32 s5, 1
	s_cselect_b32 s10, -1, 0
	v_mul_f32_e32 v1, 0x3fb8aa3b, v11
	s_cmp_gt_i32 s6, 0
	s_cselect_b32 s6, -1, 0
	s_sub_i32 s5, 0, s5
	s_delay_alu instid0(VALU_DEP_1) | instskip(SKIP_2) | instid1(SALU_CYCLE_1)
	v_rndne_f32_e32 v4, v1
	v_fma_f32 v3, 0x3fb8aa3b, v11, -v1
	s_and_b32 s6, s10, s6
	s_and_b32 s6, s14, s6
	s_delay_alu instid0(VALU_DEP_2) | instskip(NEXT) | instid1(VALU_DEP_2)
	v_sub_f32_e32 v5, v1, v4
	v_fmac_f32_e32 v3, 0x32a5705f, v11
	v_ashrrev_i32_e32 v1, 31, v0
	v_cndmask_b32_e64 v12, 1, s5, s6
	s_cmp_eq_u32 s4, 1
	s_delay_alu instid0(VALU_DEP_3) | instskip(NEXT) | instid1(VALU_DEP_3)
	v_add_f32_e32 v3, v5, v3
	v_lshlrev_b64 v[13:14], 2, v[0:1]
	v_cvt_i32_f32_e32 v1, v4
	v_mul_lo_u32 v5, v9, s4
	s_delay_alu instid0(VALU_DEP_4) | instskip(SKIP_1) | instid1(VALU_DEP_2)
	v_exp_f32_e32 v15, v3
	v_ashrrev_i32_e32 v3, 31, v2
	v_ashrrev_i32_e32 v6, 31, v5
	s_delay_alu instid0(VALU_DEP_2)
	v_lshlrev_b64 v[3:4], 2, v[2:3]
	s_waitcnt_depctr 0xfff
	v_ldexp_f32 v15, v15, v1
	v_add_co_u32 v1, vcc_lo, s8, v13
	v_add_co_ci_u32_e32 v2, vcc_lo, s9, v14, vcc_lo
	v_cmp_ngt_f32_e32 vcc_lo, 0xc2ce8ed0, v11
	v_lshlrev_b64 v[5:6], 2, v[5:6]
	v_cndmask_b32_e32 v15, 0, v15, vcc_lo
	s_waitcnt lgkmcnt(0)
	v_add_co_u32 v13, vcc_lo, s0, v3
	v_add_co_ci_u32_e32 v14, vcc_lo, s1, v4, vcc_lo
	v_cmp_nlt_f32_e32 vcc_lo, 0x42b17218, v11
	v_cndmask_b32_e32 v11, 0x7f800000, v15, vcc_lo
	v_add_co_u32 v15, vcc_lo, s2, v5
	v_add_co_ci_u32_e32 v16, vcc_lo, s3, v6, vcc_lo
	global_store_b32 v[13:14], v12, off
	global_store_b32 v[1:2], v11, off
	;; [unrolled: 1-line block ×3, first 2 shown]
	s_cbranch_scc1 .LBB213_8
; %bb.6:
	v_sub_f32_e32 v9, 0xff800000, v10
	v_add_co_u32 v5, vcc_lo, v5, s2
	v_add_co_ci_u32_e32 v6, vcc_lo, s3, v6, vcc_lo
	s_delay_alu instid0(VALU_DEP_3) | instskip(SKIP_1) | instid1(SALU_CYCLE_1)
	v_mul_f32_e32 v13, 0x3fb8aa3b, v9
	s_add_i32 s13, s13, s12
	v_add3_u32 v7, s13, v8, v7
	s_delay_alu instid0(VALU_DEP_2) | instskip(SKIP_1) | instid1(VALU_DEP_1)
	v_fma_f32 v14, 0x3fb8aa3b, v9, -v13
	v_rndne_f32_e32 v15, v13
	v_dual_fmac_f32 v14, 0x32a5705f, v9 :: v_dual_sub_f32 v13, v13, v15
	s_delay_alu instid0(VALU_DEP_1) | instskip(SKIP_3) | instid1(VALU_DEP_4)
	v_add_f32_e32 v13, v13, v14
	v_add_co_u32 v14, vcc_lo, v3, s0
	v_cvt_i32_f32_e32 v3, v15
	v_add_co_ci_u32_e32 v16, vcc_lo, s1, v4, vcc_lo
	v_exp_f32_e32 v13, v13
	v_add_co_u32 v1, vcc_lo, v1, 4
	v_add_co_ci_u32_e32 v2, vcc_lo, 0, v2, vcc_lo
	s_add_i32 s0, s4, -1
	s_waitcnt_depctr 0xfff
	v_ldexp_f32 v13, v13, v3
	v_add_co_u32 v3, vcc_lo, v5, 4
	v_add_co_ci_u32_e32 v4, vcc_lo, 0, v6, vcc_lo
	v_cmp_ngt_f32_e32 vcc_lo, 0xc2ce8ed0, v9
	s_delay_alu instid0(VALU_DEP_4) | instskip(SKIP_3) | instid1(VALU_DEP_4)
	v_cndmask_b32_e32 v13, 0, v13, vcc_lo
	v_add_co_u32 v5, vcc_lo, v14, 4
	v_add_co_ci_u32_e32 v6, vcc_lo, 0, v16, vcc_lo
	v_cmp_nlt_f32_e32 vcc_lo, 0x42b17218, v9
	v_cndmask_b32_e32 v9, 0x7f800000, v13, vcc_lo
	.p2align	6
.LBB213_7:                              ; =>This Inner Loop Header: Depth=1
	global_store_b32 v[1:2], v9, off
	global_store_b32 v[5:6], v12, off
	;; [unrolled: 1-line block ×3, first 2 shown]
	v_add_co_u32 v3, vcc_lo, v3, 4
	v_add_co_ci_u32_e32 v4, vcc_lo, 0, v4, vcc_lo
	v_add_co_u32 v5, vcc_lo, v5, 4
	v_add_co_ci_u32_e32 v6, vcc_lo, 0, v6, vcc_lo
	v_add_co_u32 v1, vcc_lo, v1, 4
	v_add_f32_e32 v11, v11, v9
	v_add_co_ci_u32_e32 v2, vcc_lo, 0, v2, vcc_lo
	v_add_nc_u32_e32 v7, s12, v7
	s_add_i32 s0, s0, -1
	s_delay_alu instid0(SALU_CYCLE_1)
	s_cmp_eq_u32 s0, 0
	s_cbranch_scc0 .LBB213_7
.LBB213_8:
	v_mov_b32_e32 v1, 0xff800000
.LBB213_9:
	s_delay_alu instid0(VALU_DEP_1) | instskip(NEXT) | instid1(VALU_DEP_1)
	v_sub_f32_e32 v1, v1, v10
	v_mul_f32_e32 v2, 0x3fb8aa3b, v1
	s_delay_alu instid0(VALU_DEP_1) | instskip(SKIP_1) | instid1(VALU_DEP_1)
	v_fma_f32 v3, 0x3fb8aa3b, v1, -v2
	v_rndne_f32_e32 v4, v2
	v_sub_f32_e32 v2, v2, v4
	v_cmp_ngt_f32_e32 vcc_lo, 0xc2ce8ed0, v1
	s_delay_alu instid0(VALU_DEP_4) | instskip(NEXT) | instid1(VALU_DEP_1)
	v_fmamk_f32 v3, v1, 0x32a5705f, v3
	v_add_f32_e32 v2, v2, v3
	v_cvt_i32_f32_e32 v3, v4
	s_delay_alu instid0(VALU_DEP_2) | instskip(SKIP_2) | instid1(VALU_DEP_1)
	v_exp_f32_e32 v2, v2
	s_waitcnt_depctr 0xfff
	v_ldexp_f32 v2, v2, v3
	v_cndmask_b32_e32 v2, 0, v2, vcc_lo
	v_cmp_nlt_f32_e32 vcc_lo, 0x42b17218, v1
	s_delay_alu instid0(VALU_DEP_2) | instskip(NEXT) | instid1(VALU_DEP_1)
	v_cndmask_b32_e32 v1, 0x7f800000, v2, vcc_lo
	v_add_f32_e32 v2, v11, v1
	s_delay_alu instid0(VALU_DEP_1)
	v_cmp_neq_f32_e32 vcc_lo, 0, v2
	s_and_b32 exec_lo, exec_lo, vcc_lo
	s_cbranch_execz .LBB213_13
; %bb.10:
	s_and_not1_b32 vcc_lo, exec_lo, s7
	s_cbranch_vccnz .LBB213_13
; %bb.11:
	v_div_scale_f32 v1, null, v2, v2, 1.0
	v_div_scale_f32 v5, vcc_lo, 1.0, v2, 1.0
	s_delay_alu instid0(VALU_DEP_2) | instskip(SKIP_2) | instid1(VALU_DEP_1)
	v_rcp_f32_e32 v3, v1
	s_waitcnt_depctr 0xfff
	v_fma_f32 v4, -v1, v3, 1.0
	v_fmac_f32_e32 v3, v4, v3
	s_delay_alu instid0(VALU_DEP_1) | instskip(NEXT) | instid1(VALU_DEP_1)
	v_mul_f32_e32 v4, v5, v3
	v_fma_f32 v6, -v1, v4, v5
	s_delay_alu instid0(VALU_DEP_1) | instskip(NEXT) | instid1(VALU_DEP_1)
	v_fmac_f32_e32 v4, v6, v3
	v_fma_f32 v5, -v1, v4, v5
	v_ashrrev_i32_e32 v1, 31, v0
	s_delay_alu instid0(VALU_DEP_2) | instskip(NEXT) | instid1(VALU_DEP_2)
	v_div_fmas_f32 v3, v5, v3, v4
	v_lshlrev_b64 v[0:1], 2, v[0:1]
	s_delay_alu instid0(VALU_DEP_2) | instskip(NEXT) | instid1(VALU_DEP_2)
	v_div_fixup_f32 v2, v3, v2, 1.0
	v_add_co_u32 v0, vcc_lo, s8, v0
	s_delay_alu instid0(VALU_DEP_3)
	v_add_co_ci_u32_e32 v1, vcc_lo, s9, v1, vcc_lo
.LBB213_12:                             ; =>This Inner Loop Header: Depth=1
	global_load_b32 v3, v[0:1], off
	s_add_i32 s4, s4, -1
	s_delay_alu instid0(SALU_CYCLE_1)
	s_cmp_lg_u32 s4, 0
	s_waitcnt vmcnt(0)
	v_mul_f32_e32 v3, v2, v3
	global_store_b32 v[0:1], v3, off
	v_add_co_u32 v0, vcc_lo, v0, 4
	v_add_co_ci_u32_e32 v1, vcc_lo, 0, v1, vcc_lo
	s_cbranch_scc1 .LBB213_12
.LBB213_13:
	s_nop 0
	s_sendmsg sendmsg(MSG_DEALLOC_VGPRS)
	s_endpgm
	.section	.rodata,"a",@progbits
	.p2align	6, 0x0
	.amdhsa_kernel _ZN4vllm3moe17topkGatingSoftmaxItLi1ELi1ELi8ELi2ELb0ELi2ELNS0_23SharedExpertScoringFuncE1EEEvPKT_PKbPfiPiS9_iiiiii
		.amdhsa_group_segment_fixed_size 0
		.amdhsa_private_segment_fixed_size 0
		.amdhsa_kernarg_size 72
		.amdhsa_user_sgpr_count 15
		.amdhsa_user_sgpr_dispatch_ptr 0
		.amdhsa_user_sgpr_queue_ptr 0
		.amdhsa_user_sgpr_kernarg_segment_ptr 1
		.amdhsa_user_sgpr_dispatch_id 0
		.amdhsa_user_sgpr_private_segment_size 0
		.amdhsa_wavefront_size32 1
		.amdhsa_uses_dynamic_stack 0
		.amdhsa_enable_private_segment 0
		.amdhsa_system_sgpr_workgroup_id_x 1
		.amdhsa_system_sgpr_workgroup_id_y 0
		.amdhsa_system_sgpr_workgroup_id_z 0
		.amdhsa_system_sgpr_workgroup_info 0
		.amdhsa_system_vgpr_workitem_id 1
		.amdhsa_next_free_vgpr 19
		.amdhsa_next_free_sgpr 16
		.amdhsa_reserve_vcc 1
		.amdhsa_float_round_mode_32 0
		.amdhsa_float_round_mode_16_64 0
		.amdhsa_float_denorm_mode_32 3
		.amdhsa_float_denorm_mode_16_64 3
		.amdhsa_dx10_clamp 1
		.amdhsa_ieee_mode 1
		.amdhsa_fp16_overflow 0
		.amdhsa_workgroup_processor_mode 1
		.amdhsa_memory_ordered 1
		.amdhsa_forward_progress 0
		.amdhsa_shared_vgpr_count 0
		.amdhsa_exception_fp_ieee_invalid_op 0
		.amdhsa_exception_fp_denorm_src 0
		.amdhsa_exception_fp_ieee_div_zero 0
		.amdhsa_exception_fp_ieee_overflow 0
		.amdhsa_exception_fp_ieee_underflow 0
		.amdhsa_exception_fp_ieee_inexact 0
		.amdhsa_exception_int_div_zero 0
	.end_amdhsa_kernel
	.section	.text._ZN4vllm3moe17topkGatingSoftmaxItLi1ELi1ELi8ELi2ELb0ELi2ELNS0_23SharedExpertScoringFuncE1EEEvPKT_PKbPfiPiS9_iiiiii,"axG",@progbits,_ZN4vllm3moe17topkGatingSoftmaxItLi1ELi1ELi8ELi2ELb0ELi2ELNS0_23SharedExpertScoringFuncE1EEEvPKT_PKbPfiPiS9_iiiiii,comdat
.Lfunc_end213:
	.size	_ZN4vllm3moe17topkGatingSoftmaxItLi1ELi1ELi8ELi2ELb0ELi2ELNS0_23SharedExpertScoringFuncE1EEEvPKT_PKbPfiPiS9_iiiiii, .Lfunc_end213-_ZN4vllm3moe17topkGatingSoftmaxItLi1ELi1ELi8ELi2ELb0ELi2ELNS0_23SharedExpertScoringFuncE1EEEvPKT_PKbPfiPiS9_iiiiii
                                        ; -- End function
	.section	.AMDGPU.csdata,"",@progbits
; Kernel info:
; codeLenInByte = 1632
; NumSgprs: 18
; NumVgprs: 19
; ScratchSize: 0
; MemoryBound: 0
; FloatMode: 240
; IeeeMode: 1
; LDSByteSize: 0 bytes/workgroup (compile time only)
; SGPRBlocks: 2
; VGPRBlocks: 2
; NumSGPRsForWavesPerEU: 18
; NumVGPRsForWavesPerEU: 19
; Occupancy: 16
; WaveLimiterHint : 0
; COMPUTE_PGM_RSRC2:SCRATCH_EN: 0
; COMPUTE_PGM_RSRC2:USER_SGPR: 15
; COMPUTE_PGM_RSRC2:TRAP_HANDLER: 0
; COMPUTE_PGM_RSRC2:TGID_X_EN: 1
; COMPUTE_PGM_RSRC2:TGID_Y_EN: 0
; COMPUTE_PGM_RSRC2:TGID_Z_EN: 0
; COMPUTE_PGM_RSRC2:TIDIG_COMP_CNT: 1
	.section	.text._ZN4vllm3moe17topkGatingSoftmaxItLi1ELi1ELi8ELi2ELb1ELi4ELNS0_23SharedExpertScoringFuncE1EEEvPKT_PKbPfiPiS9_iiiiii,"axG",@progbits,_ZN4vllm3moe17topkGatingSoftmaxItLi1ELi1ELi8ELi2ELb1ELi4ELNS0_23SharedExpertScoringFuncE1EEEvPKT_PKbPfiPiS9_iiiiii,comdat
	.protected	_ZN4vllm3moe17topkGatingSoftmaxItLi1ELi1ELi8ELi2ELb1ELi4ELNS0_23SharedExpertScoringFuncE1EEEvPKT_PKbPfiPiS9_iiiiii ; -- Begin function _ZN4vllm3moe17topkGatingSoftmaxItLi1ELi1ELi8ELi2ELb1ELi4ELNS0_23SharedExpertScoringFuncE1EEEvPKT_PKbPfiPiS9_iiiiii
	.globl	_ZN4vllm3moe17topkGatingSoftmaxItLi1ELi1ELi8ELi2ELb1ELi4ELNS0_23SharedExpertScoringFuncE1EEEvPKT_PKbPfiPiS9_iiiiii
	.p2align	8
	.type	_ZN4vllm3moe17topkGatingSoftmaxItLi1ELi1ELi8ELi2ELb1ELi4ELNS0_23SharedExpertScoringFuncE1EEEvPKT_PKbPfiPiS9_iiiiii,@function
_ZN4vllm3moe17topkGatingSoftmaxItLi1ELi1ELi8ELi2ELb1ELi4ELNS0_23SharedExpertScoringFuncE1EEEvPKT_PKbPfiPiS9_iiiiii: ; @_ZN4vllm3moe17topkGatingSoftmaxItLi1ELi1ELi8ELi2ELb1ELi4ELNS0_23SharedExpertScoringFuncE1EEEvPKT_PKbPfiPiS9_iiiiii
; %bb.0:
	s_load_b32 s14, s[0:1], 0x18
	v_bfe_u32 v1, v0, 10, 10
	v_and_b32_e32 v8, 0x3ff, v0
	s_lshl_b32 s15, s15, 8
	s_mov_b32 s2, exec_lo
	s_delay_alu instid0(VALU_DEP_2) | instskip(NEXT) | instid1(VALU_DEP_1)
	v_lshlrev_b32_e32 v7, 5, v1
	v_add3_u32 v9, v7, v8, s15
	s_waitcnt lgkmcnt(0)
	s_delay_alu instid0(VALU_DEP_1)
	v_cmpx_gt_i32_e64 s14, v9
	s_cbranch_execz .LBB214_12
; %bb.1:
	s_clause 0x1
	s_load_b128 s[4:7], s[0:1], 0x0
	s_load_b64 s[12:13], s[0:1], 0x10
	s_waitcnt lgkmcnt(0)
	s_cmp_eq_u64 s[6:7], 0
	s_cbranch_scc1 .LBB214_3
; %bb.2:
	v_ashrrev_i32_e32 v1, 31, v9
	v_add_co_u32 v0, vcc_lo, s6, v9
	s_delay_alu instid0(VALU_DEP_2) | instskip(SKIP_3) | instid1(VALU_DEP_1)
	v_add_co_ci_u32_e32 v1, vcc_lo, s7, v1, vcc_lo
	global_load_u8 v0, v[0:1], off
	s_waitcnt vmcnt(0)
	v_and_b32_e32 v0, 1, v0
	v_cmp_eq_u32_e32 vcc_lo, 1, v0
	s_xor_b32 s2, vcc_lo, -1
	s_delay_alu instid0(SALU_CYCLE_1)
	s_or_not1_b32 s16, s2, exec_lo
	s_branch .LBB214_4
.LBB214_3:
	s_mov_b32 s16, -1
.LBB214_4:
	s_clause 0x1
	s_load_b64 s[6:7], s[0:1], 0x40
	s_load_b128 s[8:11], s[0:1], 0x30
	s_waitcnt lgkmcnt(0)
	v_mul_lo_u32 v0, v9, s7
	s_cmp_gt_i32 s8, 0
	s_delay_alu instid0(VALU_DEP_1) | instskip(NEXT) | instid1(VALU_DEP_1)
	v_ashrrev_i32_e32 v1, 31, v0
	v_lshlrev_b64 v[0:1], 1, v[0:1]
	s_delay_alu instid0(VALU_DEP_1) | instskip(NEXT) | instid1(VALU_DEP_2)
	v_add_co_u32 v3, vcc_lo, s4, v0
	v_add_co_ci_u32_e32 v4, vcc_lo, s5, v1, vcc_lo
	s_clause 0x1
	global_load_b64 v[1:2], v[3:4], off
	global_load_u16 v0, v[3:4], off offset:8
	s_waitcnt vmcnt(1)
	v_lshrrev_b32_e32 v3, 16, v1
	s_waitcnt vmcnt(0)
	v_and_b32_e32 v0, 0xffff, v0
	s_delay_alu instid0(VALU_DEP_2) | instskip(NEXT) | instid1(VALU_DEP_2)
	v_cvt_f32_u32_e32 v3, v3
	v_cvt_f32_u32_e32 v0, v0
	s_delay_alu instid0(VALU_DEP_2) | instskip(SKIP_1) | instid1(VALU_DEP_3)
	v_mul_f32_e32 v5, 0xbfb8aa3b, v3
	v_cmp_nlt_f32_e32 vcc_lo, 0x42ce8ed0, v3
	v_mul_f32_e32 v11, 0xbfb8aa3b, v0
	s_delay_alu instid0(VALU_DEP_3)
	v_rndne_f32_e32 v13, v5
	v_and_b32_e32 v4, 0xffff, v2
	v_lshrrev_b32_e32 v2, 16, v2
	v_fma_f32 v12, 0xbfb8aa3b, v3, -v5
	v_fma_f32 v18, 0xbfb8aa3b, v0, -v11
	v_sub_f32_e32 v5, v5, v13
	v_cvt_f32_u32_e32 v4, v4
	v_cvt_f32_u32_e32 v2, v2
	v_rndne_f32_e32 v19, v11
	v_fmac_f32_e32 v18, 0xb2a5705f, v0
	s_delay_alu instid0(VALU_DEP_4) | instskip(NEXT) | instid1(VALU_DEP_3)
	v_mul_f32_e32 v6, 0xbfb8aa3b, v4
	v_dual_mul_f32 v10, 0xbfb8aa3b, v2 :: v_dual_sub_f32 v11, v11, v19
	v_fmac_f32_e32 v12, 0xb2a5705f, v3
	s_delay_alu instid0(VALU_DEP_3) | instskip(SKIP_1) | instid1(VALU_DEP_4)
	v_rndne_f32_e32 v15, v6
	v_fma_f32 v14, 0xbfb8aa3b, v4, -v6
	v_add_f32_e32 v11, v11, v18
	s_delay_alu instid0(VALU_DEP_4)
	v_add_f32_e32 v5, v5, v12
	v_cvt_i32_f32_e32 v12, v13
	v_sub_f32_e32 v6, v6, v15
	v_fma_f32 v16, 0xbfb8aa3b, v2, -v10
	v_rndne_f32_e32 v17, v10
	v_cvt_i32_f32_e32 v13, v15
	v_cvt_i32_f32_e32 v15, v19
	v_exp_f32_e32 v5, v5
	v_exp_f32_e32 v11, v11
	v_sub_f32_e32 v10, v10, v17
	s_waitcnt_depctr 0xfff
	v_ldexp_f32 v5, v5, v12
	v_fmac_f32_e32 v14, 0xb2a5705f, v4
	v_ldexp_f32 v11, v11, v15
	s_delay_alu instid0(VALU_DEP_3) | instskip(NEXT) | instid1(VALU_DEP_3)
	v_dual_fmac_f32 v16, 0xb2a5705f, v2 :: v_dual_cndmask_b32 v5, 0, v5
	v_add_f32_e32 v6, v6, v14
	v_cvt_i32_f32_e32 v14, v17
	s_delay_alu instid0(VALU_DEP_3) | instskip(SKIP_1) | instid1(VALU_DEP_4)
	v_add_f32_e32 v10, v10, v16
	v_cmp_nlt_f32_e32 vcc_lo, 0x42ce8ed0, v4
	v_exp_f32_e32 v6, v6
	s_delay_alu instid0(VALU_DEP_2) | instskip(SKIP_3) | instid1(VALU_DEP_2)
	v_exp_f32_e32 v10, v10
	s_waitcnt_depctr 0xfff
	v_ldexp_f32 v6, v6, v13
	v_ldexp_f32 v10, v10, v14
	v_cndmask_b32_e32 v6, 0, v6, vcc_lo
	v_cmp_nlt_f32_e32 vcc_lo, 0x42ce8ed0, v2
	s_delay_alu instid0(VALU_DEP_3)
	v_cndmask_b32_e32 v10, 0, v10, vcc_lo
	v_cmp_nlt_f32_e32 vcc_lo, 0x42ce8ed0, v0
	v_cndmask_b32_e32 v11, 0, v11, vcc_lo
	v_cmp_ngt_f32_e32 vcc_lo, 0xc2b17218, v3
	v_cndmask_b32_e32 v3, 0x7f800000, v5, vcc_lo
	v_cmp_ngt_f32_e32 vcc_lo, 0xc2b17218, v4
	s_delay_alu instid0(VALU_DEP_2) | instskip(SKIP_1) | instid1(VALU_DEP_2)
	v_dual_add_f32 v5, 1.0, v3 :: v_dual_cndmask_b32 v4, 0x7f800000, v6
	v_cmp_ngt_f32_e32 vcc_lo, 0xc2b17218, v2
	v_add_f32_e32 v4, 1.0, v4
	v_cndmask_b32_e32 v2, 0x7f800000, v10, vcc_lo
	v_cmp_ngt_f32_e32 vcc_lo, 0xc2b17218, v0
	s_delay_alu instid0(VALU_DEP_3) | instskip(SKIP_1) | instid1(VALU_DEP_4)
	v_div_scale_f32 v12, null, v4, v4, 1.0
	v_cndmask_b32_e32 v0, 0x7f800000, v11, vcc_lo
	v_add_f32_e32 v6, 1.0, v2
	v_div_scale_f32 v11, null, v5, v5, 1.0
	s_delay_alu instid0(VALU_DEP_4) | instskip(NEXT) | instid1(VALU_DEP_3)
	v_rcp_f32_e32 v16, v12
	v_add_f32_e32 v10, 1.0, v0
	s_delay_alu instid0(VALU_DEP_3) | instskip(NEXT) | instid1(VALU_DEP_3)
	v_div_scale_f32 v13, null, v6, v6, 1.0
	v_rcp_f32_e32 v15, v11
	v_div_scale_f32 v19, vcc_lo, 1.0, v5, 1.0
	s_delay_alu instid0(VALU_DEP_3) | instskip(NEXT) | instid1(VALU_DEP_3)
	v_div_scale_f32 v14, null, v10, v10, 1.0
	v_rcp_f32_e32 v17, v13
	s_delay_alu instid0(TRANS32_DEP_3) | instskip(SKIP_1) | instid1(VALU_DEP_3)
	v_fma_f32 v3, -v12, v16, 1.0
	v_div_scale_f32 v20, s2, 1.0, v4, 1.0
	v_rcp_f32_e32 v18, v14
	s_delay_alu instid0(TRANS32_DEP_3) | instskip(NEXT) | instid1(VALU_DEP_3)
	v_fma_f32 v2, -v11, v15, 1.0
	v_fmac_f32_e32 v16, v3, v16
	v_div_scale_f32 v21, s3, 1.0, v6, 1.0
	v_div_scale_f32 v24, s4, 1.0, v10, 1.0
	s_delay_alu instid0(TRANS32_DEP_2) | instskip(SKIP_2) | instid1(TRANS32_DEP_1)
	v_fma_f32 v22, -v13, v17, 1.0
	v_fmac_f32_e32 v15, v2, v15
	v_mul_lo_u32 v0, v9, s11
	v_fma_f32 v23, -v14, v18, 1.0
	s_delay_alu instid0(VALU_DEP_3) | instskip(NEXT) | instid1(VALU_DEP_2)
	v_dual_fmac_f32 v17, v22, v17 :: v_dual_mul_f32 v22, v19, v15
	v_dual_fmac_f32 v18, v23, v18 :: v_dual_mul_f32 v23, v20, v16
	s_delay_alu instid0(VALU_DEP_2) | instskip(NEXT) | instid1(VALU_DEP_3)
	v_mul_f32_e32 v25, v21, v17
	v_fma_f32 v27, -v11, v22, v19
	v_add_nc_u32_e32 v2, s8, v0
	s_delay_alu instid0(VALU_DEP_4)
	v_mul_f32_e32 v26, v24, v18
	v_fma_f32 v28, -v12, v23, v20
	v_fma_f32 v29, -v13, v25, v21
	v_fmac_f32_e32 v22, v27, v15
	v_ashrrev_i32_e32 v3, 31, v2
	v_fma_f32 v30, -v14, v26, v24
	v_fmac_f32_e32 v23, v28, v16
	v_fmac_f32_e32 v25, v29, v17
	v_fma_f32 v11, -v11, v22, v19
	v_lshlrev_b64 v[2:3], 2, v[2:3]
	v_fmac_f32_e32 v26, v30, v18
	v_fma_f32 v12, -v12, v23, v20
	v_fma_f32 v13, -v13, v25, v21
	v_div_fmas_f32 v15, v11, v15, v22
	s_mov_b32 vcc_lo, s2
	v_fma_f32 v14, -v14, v26, v24
	v_div_fmas_f32 v16, v12, v16, v23
	s_mov_b32 vcc_lo, s3
	v_div_fmas_f32 v13, v13, v17, v25
	s_mov_b32 vcc_lo, s4
	s_cselect_b32 s4, -1, 0
	v_div_fmas_f32 v14, v14, v18, v26
	v_add_co_u32 v11, vcc_lo, s12, v2
	v_add_co_ci_u32_e32 v12, vcc_lo, s13, v3, vcc_lo
	v_div_fixup_f32 v2, v15, v5, 1.0
	v_div_fixup_f32 v3, v16, v4, 1.0
	;; [unrolled: 1-line block ×4, first 2 shown]
	v_mov_b32_e32 v10, 0
	s_cmp_lt_i32 s8, 1
	global_store_b128 v[11:12], v[2:5], off
	s_cbranch_scc1 .LBB214_8
; %bb.5:
	v_bfi_b32 v1, 0xffff, v1, v1
	s_load_b128 s[0:3], s[0:1], 0x20
	v_mul_lo_u32 v2, v9, s6
	s_cmp_lt_i32 s9, 1
	s_cselect_b32 s5, -1, 0
	v_and_b32_e32 v1, 0xffff, v1
	s_cmp_gt_i32 s10, 0
	s_cselect_b32 s6, -1, 0
	s_sub_i32 s7, 0, s9
	s_delay_alu instid0(VALU_DEP_1) | instskip(SKIP_1) | instid1(SALU_CYCLE_1)
	v_cvt_f32_u32_e32 v12, v1
	s_and_b32 s5, s5, s6
	s_and_b32 s5, s16, s5
	s_cmp_eq_u32 s8, 1
	s_delay_alu instid0(VALU_DEP_1) | instskip(SKIP_1) | instid1(VALU_DEP_2)
	v_sub_f32_e32 v10, v12, v12
	v_cndmask_b32_e64 v11, 1, s7, s5
	v_mul_f32_e32 v1, 0x3fb8aa3b, v10
	s_delay_alu instid0(VALU_DEP_1) | instskip(SKIP_1) | instid1(VALU_DEP_2)
	v_fma_f32 v3, 0x3fb8aa3b, v10, -v1
	v_rndne_f32_e32 v4, v1
	v_fmac_f32_e32 v3, 0x32a5705f, v10
	s_delay_alu instid0(VALU_DEP_2) | instskip(SKIP_1) | instid1(VALU_DEP_2)
	v_sub_f32_e32 v5, v1, v4
	v_ashrrev_i32_e32 v1, 31, v0
	v_add_f32_e32 v3, v5, v3
	s_delay_alu instid0(VALU_DEP_2) | instskip(SKIP_2) | instid1(VALU_DEP_4)
	v_lshlrev_b64 v[13:14], 2, v[0:1]
	v_cvt_i32_f32_e32 v1, v4
	v_mul_lo_u32 v5, v9, s8
	v_exp_f32_e32 v15, v3
	v_ashrrev_i32_e32 v3, 31, v2
	s_delay_alu instid0(VALU_DEP_2) | instskip(NEXT) | instid1(VALU_DEP_2)
	v_ashrrev_i32_e32 v6, 31, v5
	v_lshlrev_b64 v[3:4], 2, v[2:3]
	s_waitcnt_depctr 0xfff
	v_ldexp_f32 v15, v15, v1
	v_add_co_u32 v1, vcc_lo, s12, v13
	v_add_co_ci_u32_e32 v2, vcc_lo, s13, v14, vcc_lo
	v_cmp_ngt_f32_e32 vcc_lo, 0xc2ce8ed0, v10
	v_lshlrev_b64 v[5:6], 2, v[5:6]
	v_cndmask_b32_e32 v15, 0, v15, vcc_lo
	s_waitcnt lgkmcnt(0)
	v_add_co_u32 v13, vcc_lo, s0, v3
	v_add_co_ci_u32_e32 v14, vcc_lo, s1, v4, vcc_lo
	v_cmp_nlt_f32_e32 vcc_lo, 0x42b17218, v10
	v_cndmask_b32_e32 v10, 0x7f800000, v15, vcc_lo
	v_add_co_u32 v15, vcc_lo, s2, v5
	v_add_co_ci_u32_e32 v16, vcc_lo, s3, v6, vcc_lo
	global_store_b32 v[13:14], v11, off
	global_store_b32 v[1:2], v10, off
	;; [unrolled: 1-line block ×3, first 2 shown]
	s_cbranch_scc1 .LBB214_8
; %bb.6:
	v_sub_f32_e32 v9, 0xff800000, v12
	v_add_co_u32 v5, vcc_lo, v5, s2
	v_add_co_ci_u32_e32 v6, vcc_lo, s3, v6, vcc_lo
	s_delay_alu instid0(VALU_DEP_3) | instskip(SKIP_1) | instid1(SALU_CYCLE_1)
	v_mul_f32_e32 v12, 0x3fb8aa3b, v9
	s_add_i32 s15, s15, s14
	v_add3_u32 v7, s15, v8, v7
	s_delay_alu instid0(VALU_DEP_2) | instskip(SKIP_1) | instid1(VALU_DEP_1)
	v_fma_f32 v13, 0x3fb8aa3b, v9, -v12
	v_rndne_f32_e32 v14, v12
	v_dual_sub_f32 v12, v12, v14 :: v_dual_fmac_f32 v13, 0x32a5705f, v9
	s_delay_alu instid0(VALU_DEP_1) | instskip(SKIP_3) | instid1(VALU_DEP_4)
	v_add_f32_e32 v12, v12, v13
	v_add_co_u32 v13, vcc_lo, v3, s0
	v_cvt_i32_f32_e32 v3, v14
	v_add_co_ci_u32_e32 v15, vcc_lo, s1, v4, vcc_lo
	v_exp_f32_e32 v12, v12
	v_add_co_u32 v1, vcc_lo, v1, 4
	v_add_co_ci_u32_e32 v2, vcc_lo, 0, v2, vcc_lo
	s_add_i32 s0, s8, -1
	s_waitcnt_depctr 0xfff
	v_ldexp_f32 v12, v12, v3
	v_add_co_u32 v3, vcc_lo, v5, 4
	v_add_co_ci_u32_e32 v4, vcc_lo, 0, v6, vcc_lo
	v_cmp_ngt_f32_e32 vcc_lo, 0xc2ce8ed0, v9
	s_delay_alu instid0(VALU_DEP_4) | instskip(SKIP_3) | instid1(VALU_DEP_4)
	v_cndmask_b32_e32 v12, 0, v12, vcc_lo
	v_add_co_u32 v5, vcc_lo, v13, 4
	v_add_co_ci_u32_e32 v6, vcc_lo, 0, v15, vcc_lo
	v_cmp_nlt_f32_e32 vcc_lo, 0x42b17218, v9
	v_cndmask_b32_e32 v9, 0x7f800000, v12, vcc_lo
	.p2align	6
.LBB214_7:                              ; =>This Inner Loop Header: Depth=1
	global_store_b32 v[1:2], v9, off
	global_store_b32 v[5:6], v11, off
	;; [unrolled: 1-line block ×3, first 2 shown]
	v_add_co_u32 v3, vcc_lo, v3, 4
	v_add_co_ci_u32_e32 v4, vcc_lo, 0, v4, vcc_lo
	v_add_co_u32 v5, vcc_lo, v5, 4
	v_add_co_ci_u32_e32 v6, vcc_lo, 0, v6, vcc_lo
	v_add_co_u32 v1, vcc_lo, v1, 4
	v_dual_add_f32 v10, v10, v9 :: v_dual_add_nc_u32 v7, s14, v7
	v_add_co_ci_u32_e32 v2, vcc_lo, 0, v2, vcc_lo
	s_add_i32 s0, s0, -1
	s_delay_alu instid0(SALU_CYCLE_1)
	s_cmp_eq_u32 s0, 0
	s_cbranch_scc0 .LBB214_7
.LBB214_8:
	v_cmp_neq_f32_e32 vcc_lo, 0, v10
	s_and_b32 exec_lo, exec_lo, vcc_lo
	s_cbranch_execz .LBB214_12
; %bb.9:
	s_and_not1_b32 vcc_lo, exec_lo, s4
	s_cbranch_vccnz .LBB214_12
; %bb.10:
	v_div_scale_f32 v1, null, v10, v10, 1.0
	v_div_scale_f32 v4, vcc_lo, 1.0, v10, 1.0
	s_delay_alu instid0(VALU_DEP_2) | instskip(SKIP_2) | instid1(VALU_DEP_1)
	v_rcp_f32_e32 v2, v1
	s_waitcnt_depctr 0xfff
	v_fma_f32 v3, -v1, v2, 1.0
	v_fmac_f32_e32 v2, v3, v2
	s_delay_alu instid0(VALU_DEP_1) | instskip(NEXT) | instid1(VALU_DEP_1)
	v_mul_f32_e32 v3, v4, v2
	v_fma_f32 v5, -v1, v3, v4
	s_delay_alu instid0(VALU_DEP_1) | instskip(NEXT) | instid1(VALU_DEP_1)
	v_fmac_f32_e32 v3, v5, v2
	v_fma_f32 v4, -v1, v3, v4
	v_ashrrev_i32_e32 v1, 31, v0
	s_delay_alu instid0(VALU_DEP_2) | instskip(NEXT) | instid1(VALU_DEP_2)
	v_div_fmas_f32 v2, v4, v2, v3
	v_lshlrev_b64 v[0:1], 2, v[0:1]
	s_delay_alu instid0(VALU_DEP_2) | instskip(NEXT) | instid1(VALU_DEP_2)
	v_div_fixup_f32 v2, v2, v10, 1.0
	v_add_co_u32 v0, vcc_lo, s12, v0
	s_delay_alu instid0(VALU_DEP_3)
	v_add_co_ci_u32_e32 v1, vcc_lo, s13, v1, vcc_lo
.LBB214_11:                             ; =>This Inner Loop Header: Depth=1
	global_load_b32 v3, v[0:1], off
	s_add_i32 s8, s8, -1
	s_delay_alu instid0(SALU_CYCLE_1)
	s_cmp_lg_u32 s8, 0
	s_waitcnt vmcnt(0)
	v_mul_f32_e32 v3, v2, v3
	global_store_b32 v[0:1], v3, off
	v_add_co_u32 v0, vcc_lo, v0, 4
	v_add_co_ci_u32_e32 v1, vcc_lo, 0, v1, vcc_lo
	s_cbranch_scc1 .LBB214_11
.LBB214_12:
	s_nop 0
	s_sendmsg sendmsg(MSG_DEALLOC_VGPRS)
	s_endpgm
	.section	.rodata,"a",@progbits
	.p2align	6, 0x0
	.amdhsa_kernel _ZN4vllm3moe17topkGatingSoftmaxItLi1ELi1ELi8ELi2ELb1ELi4ELNS0_23SharedExpertScoringFuncE1EEEvPKT_PKbPfiPiS9_iiiiii
		.amdhsa_group_segment_fixed_size 0
		.amdhsa_private_segment_fixed_size 0
		.amdhsa_kernarg_size 72
		.amdhsa_user_sgpr_count 15
		.amdhsa_user_sgpr_dispatch_ptr 0
		.amdhsa_user_sgpr_queue_ptr 0
		.amdhsa_user_sgpr_kernarg_segment_ptr 1
		.amdhsa_user_sgpr_dispatch_id 0
		.amdhsa_user_sgpr_private_segment_size 0
		.amdhsa_wavefront_size32 1
		.amdhsa_uses_dynamic_stack 0
		.amdhsa_enable_private_segment 0
		.amdhsa_system_sgpr_workgroup_id_x 1
		.amdhsa_system_sgpr_workgroup_id_y 0
		.amdhsa_system_sgpr_workgroup_id_z 0
		.amdhsa_system_sgpr_workgroup_info 0
		.amdhsa_system_vgpr_workitem_id 1
		.amdhsa_next_free_vgpr 31
		.amdhsa_next_free_sgpr 17
		.amdhsa_reserve_vcc 1
		.amdhsa_float_round_mode_32 0
		.amdhsa_float_round_mode_16_64 0
		.amdhsa_float_denorm_mode_32 3
		.amdhsa_float_denorm_mode_16_64 3
		.amdhsa_dx10_clamp 1
		.amdhsa_ieee_mode 1
		.amdhsa_fp16_overflow 0
		.amdhsa_workgroup_processor_mode 1
		.amdhsa_memory_ordered 1
		.amdhsa_forward_progress 0
		.amdhsa_shared_vgpr_count 0
		.amdhsa_exception_fp_ieee_invalid_op 0
		.amdhsa_exception_fp_denorm_src 0
		.amdhsa_exception_fp_ieee_div_zero 0
		.amdhsa_exception_fp_ieee_overflow 0
		.amdhsa_exception_fp_ieee_underflow 0
		.amdhsa_exception_fp_ieee_inexact 0
		.amdhsa_exception_int_div_zero 0
	.end_amdhsa_kernel
	.section	.text._ZN4vllm3moe17topkGatingSoftmaxItLi1ELi1ELi8ELi2ELb1ELi4ELNS0_23SharedExpertScoringFuncE1EEEvPKT_PKbPfiPiS9_iiiiii,"axG",@progbits,_ZN4vllm3moe17topkGatingSoftmaxItLi1ELi1ELi8ELi2ELb1ELi4ELNS0_23SharedExpertScoringFuncE1EEEvPKT_PKbPfiPiS9_iiiiii,comdat
.Lfunc_end214:
	.size	_ZN4vllm3moe17topkGatingSoftmaxItLi1ELi1ELi8ELi2ELb1ELi4ELNS0_23SharedExpertScoringFuncE1EEEvPKT_PKbPfiPiS9_iiiiii, .Lfunc_end214-_ZN4vllm3moe17topkGatingSoftmaxItLi1ELi1ELi8ELi2ELb1ELi4ELNS0_23SharedExpertScoringFuncE1EEEvPKT_PKbPfiPiS9_iiiiii
                                        ; -- End function
	.section	.AMDGPU.csdata,"",@progbits
; Kernel info:
; codeLenInByte = 1888
; NumSgprs: 19
; NumVgprs: 31
; ScratchSize: 0
; MemoryBound: 0
; FloatMode: 240
; IeeeMode: 1
; LDSByteSize: 0 bytes/workgroup (compile time only)
; SGPRBlocks: 2
; VGPRBlocks: 3
; NumSGPRsForWavesPerEU: 19
; NumVGPRsForWavesPerEU: 31
; Occupancy: 16
; WaveLimiterHint : 0
; COMPUTE_PGM_RSRC2:SCRATCH_EN: 0
; COMPUTE_PGM_RSRC2:USER_SGPR: 15
; COMPUTE_PGM_RSRC2:TRAP_HANDLER: 0
; COMPUTE_PGM_RSRC2:TGID_X_EN: 1
; COMPUTE_PGM_RSRC2:TGID_Y_EN: 0
; COMPUTE_PGM_RSRC2:TGID_Z_EN: 0
; COMPUTE_PGM_RSRC2:TIDIG_COMP_CNT: 1
	.section	.text._ZN4vllm3moe17topkGatingSoftmaxItLi1ELi1ELi8ELi2ELb0ELi4ELNS0_23SharedExpertScoringFuncE1EEEvPKT_PKbPfiPiS9_iiiiii,"axG",@progbits,_ZN4vllm3moe17topkGatingSoftmaxItLi1ELi1ELi8ELi2ELb0ELi4ELNS0_23SharedExpertScoringFuncE1EEEvPKT_PKbPfiPiS9_iiiiii,comdat
	.protected	_ZN4vllm3moe17topkGatingSoftmaxItLi1ELi1ELi8ELi2ELb0ELi4ELNS0_23SharedExpertScoringFuncE1EEEvPKT_PKbPfiPiS9_iiiiii ; -- Begin function _ZN4vllm3moe17topkGatingSoftmaxItLi1ELi1ELi8ELi2ELb0ELi4ELNS0_23SharedExpertScoringFuncE1EEEvPKT_PKbPfiPiS9_iiiiii
	.globl	_ZN4vllm3moe17topkGatingSoftmaxItLi1ELi1ELi8ELi2ELb0ELi4ELNS0_23SharedExpertScoringFuncE1EEEvPKT_PKbPfiPiS9_iiiiii
	.p2align	8
	.type	_ZN4vllm3moe17topkGatingSoftmaxItLi1ELi1ELi8ELi2ELb0ELi4ELNS0_23SharedExpertScoringFuncE1EEEvPKT_PKbPfiPiS9_iiiiii,@function
_ZN4vllm3moe17topkGatingSoftmaxItLi1ELi1ELi8ELi2ELb0ELi4ELNS0_23SharedExpertScoringFuncE1EEEvPKT_PKbPfiPiS9_iiiiii: ; @_ZN4vllm3moe17topkGatingSoftmaxItLi1ELi1ELi8ELi2ELb0ELi4ELNS0_23SharedExpertScoringFuncE1EEEvPKT_PKbPfiPiS9_iiiiii
; %bb.0:
	s_load_b32 s14, s[0:1], 0x18
	v_bfe_u32 v1, v0, 10, 10
	v_and_b32_e32 v8, 0x3ff, v0
	s_lshl_b32 s15, s15, 8
	s_mov_b32 s2, exec_lo
	s_delay_alu instid0(VALU_DEP_2) | instskip(NEXT) | instid1(VALU_DEP_1)
	v_lshlrev_b32_e32 v7, 5, v1
	v_add3_u32 v9, v7, v8, s15
	s_waitcnt lgkmcnt(0)
	s_delay_alu instid0(VALU_DEP_1)
	v_cmpx_gt_i32_e64 s14, v9
	s_cbranch_execz .LBB215_13
; %bb.1:
	s_clause 0x1
	s_load_b128 s[4:7], s[0:1], 0x0
	s_load_b64 s[12:13], s[0:1], 0x10
	s_waitcnt lgkmcnt(0)
	s_cmp_eq_u64 s[6:7], 0
	s_cbranch_scc1 .LBB215_3
; %bb.2:
	v_ashrrev_i32_e32 v1, 31, v9
	v_add_co_u32 v0, vcc_lo, s6, v9
	s_delay_alu instid0(VALU_DEP_2) | instskip(SKIP_3) | instid1(VALU_DEP_1)
	v_add_co_ci_u32_e32 v1, vcc_lo, s7, v1, vcc_lo
	global_load_u8 v0, v[0:1], off
	s_waitcnt vmcnt(0)
	v_and_b32_e32 v0, 1, v0
	v_cmp_eq_u32_e32 vcc_lo, 1, v0
	s_xor_b32 s2, vcc_lo, -1
	s_delay_alu instid0(SALU_CYCLE_1)
	s_or_not1_b32 s16, s2, exec_lo
	s_branch .LBB215_4
.LBB215_3:
	s_mov_b32 s16, -1
.LBB215_4:
	s_clause 0x1
	s_load_b64 s[6:7], s[0:1], 0x40
	s_load_b128 s[8:11], s[0:1], 0x30
	s_waitcnt lgkmcnt(0)
	v_mul_lo_u32 v0, v9, s7
	s_cmp_gt_i32 s8, 0
	s_delay_alu instid0(VALU_DEP_1) | instskip(NEXT) | instid1(VALU_DEP_1)
	v_ashrrev_i32_e32 v1, 31, v0
	v_lshlrev_b64 v[0:1], 1, v[0:1]
	s_delay_alu instid0(VALU_DEP_1) | instskip(NEXT) | instid1(VALU_DEP_2)
	v_add_co_u32 v0, vcc_lo, s4, v0
	v_add_co_ci_u32_e32 v1, vcc_lo, s5, v1, vcc_lo
	s_clause 0x1
	global_load_b64 v[2:3], v[0:1], off
	global_load_u16 v0, v[0:1], off offset:8
	s_waitcnt vmcnt(1)
	v_and_b32_e32 v4, 0xffff, v3
	v_lshrrev_b32_e32 v3, 16, v3
	s_waitcnt vmcnt(0)
	v_cvt_f32_u32_e32 v5, v0
	v_lshrrev_b32_e32 v1, 16, v2
	v_and_b32_e32 v2, 0xffff, v2
	v_cvt_f32_u32_e32 v3, v3
	s_delay_alu instid0(VALU_DEP_4) | instskip(NEXT) | instid1(VALU_DEP_4)
	v_mul_f32_e32 v0, 0xbfb8aa3b, v5
	v_cvt_f32_u32_e32 v1, v1
	v_cmp_nlt_f32_e32 vcc_lo, 0x42ce8ed0, v5
	s_delay_alu instid0(VALU_DEP_4) | instskip(NEXT) | instid1(VALU_DEP_4)
	v_mul_f32_e32 v11, 0xbfb8aa3b, v3
	v_fma_f32 v12, 0xbfb8aa3b, v5, -v0
	v_rndne_f32_e32 v13, v0
	s_delay_alu instid0(VALU_DEP_3) | instskip(SKIP_1) | instid1(VALU_DEP_4)
	v_rndne_f32_e32 v19, v11
	v_mul_f32_e32 v6, 0xbfb8aa3b, v1
	v_fmac_f32_e32 v12, 0xb2a5705f, v5
	s_delay_alu instid0(VALU_DEP_4)
	v_sub_f32_e32 v0, v0, v13
	v_fma_f32 v18, 0xbfb8aa3b, v3, -v11
	v_sub_f32_e32 v11, v11, v19
	v_fma_f32 v14, 0xbfb8aa3b, v1, -v6
	v_rndne_f32_e32 v15, v6
	v_add_f32_e32 v0, v0, v12
	v_fmac_f32_e32 v18, 0xb2a5705f, v3
	v_cvt_i32_f32_e32 v13, v13
	s_delay_alu instid0(VALU_DEP_4) | instskip(NEXT) | instid1(VALU_DEP_4)
	v_sub_f32_e32 v6, v6, v15
	v_exp_f32_e32 v12, v0
	v_mul_lo_u32 v0, v9, s11
	v_dual_fmac_f32 v14, 0xb2a5705f, v1 :: v_dual_add_f32 v11, v11, v18
	v_cvt_f32_u32_e32 v4, v4
	s_delay_alu instid0(VALU_DEP_2) | instskip(SKIP_1) | instid1(VALU_DEP_3)
	v_add_f32_e32 v6, v6, v14
	v_cvt_i32_f32_e32 v14, v15
	v_mul_f32_e32 v10, 0xbfb8aa3b, v4
	s_delay_alu instid0(TRANS32_DEP_1) | instskip(SKIP_2) | instid1(VALU_DEP_2)
	v_ldexp_f32 v12, v12, v13
	v_exp_f32_e32 v11, v11
	v_exp_f32_e32 v6, v6
	v_fma_f32 v16, 0xbfb8aa3b, v4, -v10
	v_rndne_f32_e32 v17, v10
	v_cndmask_b32_e32 v12, 0, v12, vcc_lo
	v_cmp_nlt_f32_e32 vcc_lo, 0x42ce8ed0, v1
	s_delay_alu instid0(VALU_DEP_4) | instskip(NEXT) | instid1(VALU_DEP_4)
	v_fmac_f32_e32 v16, 0xb2a5705f, v4
	v_cvt_i32_f32_e32 v15, v17
	s_delay_alu instid0(TRANS32_DEP_1) | instskip(NEXT) | instid1(VALU_DEP_1)
	v_ldexp_f32 v6, v6, v14
	v_cndmask_b32_e32 v6, 0, v6, vcc_lo
	v_sub_f32_e32 v10, v10, v17
	v_cmp_nlt_f32_e32 vcc_lo, 0x42ce8ed0, v4
	s_delay_alu instid0(VALU_DEP_2) | instskip(SKIP_1) | instid1(VALU_DEP_2)
	v_add_f32_e32 v10, v10, v16
	v_cvt_i32_f32_e32 v16, v19
	v_exp_f32_e32 v10, v10
	s_delay_alu instid0(VALU_DEP_1) | instskip(SKIP_2) | instid1(VALU_DEP_1)
	v_ldexp_f32 v11, v11, v16
	s_waitcnt_depctr 0xfff
	v_ldexp_f32 v10, v10, v15
	v_cndmask_b32_e32 v10, 0, v10, vcc_lo
	v_cmp_nlt_f32_e32 vcc_lo, 0x42ce8ed0, v3
	v_cndmask_b32_e32 v11, 0, v11, vcc_lo
	v_cmp_ngt_f32_e32 vcc_lo, 0xc2b17218, v5
	v_cndmask_b32_e32 v5, 0x7f800000, v12, vcc_lo
	v_cmp_ngt_f32_e32 vcc_lo, 0xc2b17218, v1
	s_delay_alu instid0(VALU_DEP_2) | instskip(SKIP_2) | instid1(VALU_DEP_3)
	v_add_f32_e32 v5, 1.0, v5
	v_cndmask_b32_e32 v1, 0x7f800000, v6, vcc_lo
	v_cmp_ngt_f32_e32 vcc_lo, 0xc2b17218, v4
	v_div_scale_f32 v21, s2, 1.0, v5, 1.0
	v_cndmask_b32_e32 v4, 0x7f800000, v10, vcc_lo
	v_cmp_ngt_f32_e32 vcc_lo, 0xc2b17218, v3
	v_add_f32_e32 v1, 1.0, v1
	v_div_scale_f32 v10, null, v5, v5, 1.0
	s_delay_alu instid0(VALU_DEP_4) | instskip(NEXT) | instid1(VALU_DEP_3)
	v_dual_add_f32 v6, 1.0, v4 :: v_dual_cndmask_b32 v3, 0x7f800000, v11
	v_div_scale_f32 v14, null, v1, v1, 1.0
	s_delay_alu instid0(VALU_DEP_3) | instskip(NEXT) | instid1(VALU_DEP_2)
	v_rcp_f32_e32 v17, v10
	v_div_scale_f32 v15, null, v6, v6, 1.0
	s_delay_alu instid0(VALU_DEP_3) | instskip(NEXT) | instid1(VALU_DEP_3)
	v_add_f32_e32 v11, 1.0, v3
	v_rcp_f32_e32 v18, v14
	v_div_scale_f32 v22, vcc_lo, 1.0, v1, 1.0
	s_delay_alu instid0(VALU_DEP_3) | instskip(NEXT) | instid1(VALU_DEP_2)
	v_rcp_f32_e32 v19, v15
	v_div_scale_f32 v16, null, v11, v11, 1.0
	s_delay_alu instid0(TRANS32_DEP_3) | instskip(SKIP_2) | instid1(VALU_DEP_4)
	v_fma_f32 v4, -v10, v17, 1.0
	v_add_nc_u32_e32 v3, s8, v0
	v_div_scale_f32 v23, s3, 1.0, v6, 1.0
	v_rcp_f32_e32 v20, v16
	s_delay_alu instid0(TRANS32_DEP_3) | instskip(SKIP_1) | instid1(TRANS32_DEP_2)
	v_fma_f32 v12, -v14, v18, 1.0
	v_fmac_f32_e32 v17, v4, v17
	v_fma_f32 v13, -v15, v19, 1.0
	v_div_scale_f32 v25, s4, 1.0, v11, 1.0
	s_delay_alu instid0(VALU_DEP_4) | instskip(SKIP_1) | instid1(VALU_DEP_4)
	v_fmac_f32_e32 v18, v12, v18
	v_ashrrev_i32_e32 v4, 31, v3
	v_fmac_f32_e32 v19, v13, v19
	s_delay_alu instid0(TRANS32_DEP_1) | instskip(NEXT) | instid1(VALU_DEP_4)
	v_fma_f32 v24, -v16, v20, 1.0
	v_mul_f32_e32 v26, v22, v18
	s_delay_alu instid0(VALU_DEP_4) | instskip(NEXT) | instid1(VALU_DEP_3)
	v_lshlrev_b64 v[3:4], 2, v[3:4]
	v_dual_mul_f32 v27, v23, v19 :: v_dual_fmac_f32 v20, v24, v20
	v_mul_f32_e32 v24, v21, v17
	s_delay_alu instid0(VALU_DEP_4) | instskip(NEXT) | instid1(VALU_DEP_3)
	v_fma_f32 v30, -v14, v26, v22
	v_fma_f32 v31, -v15, v27, v23
	v_add_co_u32 v12, s5, s12, v3
	v_mul_f32_e32 v28, v25, v20
	v_fma_f32 v29, -v10, v24, v21
	s_delay_alu instid0(VALU_DEP_4) | instskip(SKIP_1) | instid1(VALU_DEP_4)
	v_dual_fmac_f32 v26, v30, v18 :: v_dual_fmac_f32 v27, v31, v19
	v_add_co_ci_u32_e64 v13, s5, s13, v4, s5
	v_fma_f32 v32, -v16, v28, v25
	s_delay_alu instid0(VALU_DEP_4) | instskip(NEXT) | instid1(VALU_DEP_4)
	v_fmac_f32_e32 v24, v29, v17
	v_fma_f32 v4, -v14, v26, v22
	s_delay_alu instid0(VALU_DEP_3) | instskip(NEXT) | instid1(VALU_DEP_3)
	v_fmac_f32_e32 v28, v32, v20
	v_fma_f32 v3, -v10, v24, v21
	v_fma_f32 v10, -v15, v27, v23
	s_delay_alu instid0(VALU_DEP_4) | instskip(SKIP_2) | instid1(VALU_DEP_3)
	v_div_fmas_f32 v4, v4, v18, v26
	s_mov_b32 vcc_lo, s3
	v_fma_f32 v14, -v16, v28, v25
	v_div_fmas_f32 v15, v10, v19, v27
	s_mov_b32 vcc_lo, s4
	v_cvt_f32_u32_e32 v10, v2
	s_delay_alu instid0(VALU_DEP_3)
	v_div_fmas_f32 v14, v14, v20, v28
	s_mov_b32 vcc_lo, s2
	v_div_fixup_f32 v2, v4, v1, 1.0
	v_div_fmas_f32 v16, v3, v17, v24
	v_mov_b32_e32 v1, v10
	v_div_fixup_f32 v3, v15, v6, 1.0
	v_div_fixup_f32 v4, v14, v11, 1.0
	v_mov_b32_e32 v11, 0
	v_div_fixup_f32 v5, v16, v5, 1.0
	s_cselect_b32 s4, -1, 0
	s_cmp_lt_i32 s8, 1
	global_store_b128 v[12:13], v[2:5], off
	s_cbranch_scc1 .LBB215_9
; %bb.5:
	v_sub_f32_e32 v11, v10, v10
	s_load_b128 s[0:3], s[0:1], 0x20
	v_mul_lo_u32 v2, v9, s6
	s_cmp_lt_i32 s9, 1
	s_cselect_b32 s5, -1, 0
	v_mul_f32_e32 v1, 0x3fb8aa3b, v11
	s_cmp_gt_i32 s10, 0
	s_cselect_b32 s6, -1, 0
	s_sub_i32 s7, 0, s9
	s_delay_alu instid0(VALU_DEP_1) | instskip(SKIP_2) | instid1(SALU_CYCLE_1)
	v_rndne_f32_e32 v4, v1
	v_fma_f32 v3, 0x3fb8aa3b, v11, -v1
	s_and_b32 s5, s5, s6
	s_and_b32 s5, s16, s5
	s_delay_alu instid0(VALU_DEP_2) | instskip(NEXT) | instid1(VALU_DEP_2)
	v_sub_f32_e32 v5, v1, v4
	v_fmac_f32_e32 v3, 0x32a5705f, v11
	v_ashrrev_i32_e32 v1, 31, v0
	v_cndmask_b32_e64 v12, 1, s7, s5
	s_cmp_eq_u32 s8, 1
	s_delay_alu instid0(VALU_DEP_3) | instskip(NEXT) | instid1(VALU_DEP_3)
	v_add_f32_e32 v3, v5, v3
	v_lshlrev_b64 v[13:14], 2, v[0:1]
	v_cvt_i32_f32_e32 v1, v4
	v_mul_lo_u32 v5, v9, s8
	s_delay_alu instid0(VALU_DEP_4) | instskip(SKIP_1) | instid1(VALU_DEP_2)
	v_exp_f32_e32 v15, v3
	v_ashrrev_i32_e32 v3, 31, v2
	v_ashrrev_i32_e32 v6, 31, v5
	s_delay_alu instid0(VALU_DEP_2)
	v_lshlrev_b64 v[3:4], 2, v[2:3]
	s_waitcnt_depctr 0xfff
	v_ldexp_f32 v15, v15, v1
	v_add_co_u32 v1, vcc_lo, s12, v13
	v_add_co_ci_u32_e32 v2, vcc_lo, s13, v14, vcc_lo
	v_cmp_ngt_f32_e32 vcc_lo, 0xc2ce8ed0, v11
	v_lshlrev_b64 v[5:6], 2, v[5:6]
	v_cndmask_b32_e32 v15, 0, v15, vcc_lo
	s_waitcnt lgkmcnt(0)
	v_add_co_u32 v13, vcc_lo, s0, v3
	v_add_co_ci_u32_e32 v14, vcc_lo, s1, v4, vcc_lo
	v_cmp_nlt_f32_e32 vcc_lo, 0x42b17218, v11
	v_cndmask_b32_e32 v11, 0x7f800000, v15, vcc_lo
	v_add_co_u32 v15, vcc_lo, s2, v5
	v_add_co_ci_u32_e32 v16, vcc_lo, s3, v6, vcc_lo
	global_store_b32 v[13:14], v12, off
	global_store_b32 v[1:2], v11, off
	;; [unrolled: 1-line block ×3, first 2 shown]
	s_cbranch_scc1 .LBB215_8
; %bb.6:
	v_sub_f32_e32 v9, 0xff800000, v10
	v_add_co_u32 v5, vcc_lo, v5, s2
	v_add_co_ci_u32_e32 v6, vcc_lo, s3, v6, vcc_lo
	s_delay_alu instid0(VALU_DEP_3) | instskip(SKIP_1) | instid1(SALU_CYCLE_1)
	v_mul_f32_e32 v13, 0x3fb8aa3b, v9
	s_add_i32 s15, s15, s14
	v_add3_u32 v7, s15, v8, v7
	s_delay_alu instid0(VALU_DEP_2) | instskip(SKIP_1) | instid1(VALU_DEP_1)
	v_fma_f32 v14, 0x3fb8aa3b, v9, -v13
	v_rndne_f32_e32 v15, v13
	v_dual_fmac_f32 v14, 0x32a5705f, v9 :: v_dual_sub_f32 v13, v13, v15
	s_delay_alu instid0(VALU_DEP_1) | instskip(SKIP_3) | instid1(VALU_DEP_4)
	v_add_f32_e32 v13, v13, v14
	v_add_co_u32 v14, vcc_lo, v3, s0
	v_cvt_i32_f32_e32 v3, v15
	v_add_co_ci_u32_e32 v16, vcc_lo, s1, v4, vcc_lo
	v_exp_f32_e32 v13, v13
	v_add_co_u32 v1, vcc_lo, v1, 4
	v_add_co_ci_u32_e32 v2, vcc_lo, 0, v2, vcc_lo
	s_add_i32 s0, s8, -1
	s_waitcnt_depctr 0xfff
	v_ldexp_f32 v13, v13, v3
	v_add_co_u32 v3, vcc_lo, v5, 4
	v_add_co_ci_u32_e32 v4, vcc_lo, 0, v6, vcc_lo
	v_cmp_ngt_f32_e32 vcc_lo, 0xc2ce8ed0, v9
	s_delay_alu instid0(VALU_DEP_4) | instskip(SKIP_3) | instid1(VALU_DEP_4)
	v_cndmask_b32_e32 v13, 0, v13, vcc_lo
	v_add_co_u32 v5, vcc_lo, v14, 4
	v_add_co_ci_u32_e32 v6, vcc_lo, 0, v16, vcc_lo
	v_cmp_nlt_f32_e32 vcc_lo, 0x42b17218, v9
	v_cndmask_b32_e32 v9, 0x7f800000, v13, vcc_lo
	.p2align	6
.LBB215_7:                              ; =>This Inner Loop Header: Depth=1
	global_store_b32 v[1:2], v9, off
	global_store_b32 v[5:6], v12, off
	;; [unrolled: 1-line block ×3, first 2 shown]
	v_add_co_u32 v3, vcc_lo, v3, 4
	v_add_co_ci_u32_e32 v4, vcc_lo, 0, v4, vcc_lo
	v_add_co_u32 v5, vcc_lo, v5, 4
	v_add_co_ci_u32_e32 v6, vcc_lo, 0, v6, vcc_lo
	v_add_co_u32 v1, vcc_lo, v1, 4
	v_add_f32_e32 v11, v11, v9
	v_add_co_ci_u32_e32 v2, vcc_lo, 0, v2, vcc_lo
	v_add_nc_u32_e32 v7, s14, v7
	s_add_i32 s0, s0, -1
	s_delay_alu instid0(SALU_CYCLE_1)
	s_cmp_eq_u32 s0, 0
	s_cbranch_scc0 .LBB215_7
.LBB215_8:
	v_mov_b32_e32 v1, 0xff800000
.LBB215_9:
	s_delay_alu instid0(VALU_DEP_1) | instskip(NEXT) | instid1(VALU_DEP_1)
	v_sub_f32_e32 v1, v1, v10
	v_mul_f32_e32 v2, 0x3fb8aa3b, v1
	s_delay_alu instid0(VALU_DEP_1) | instskip(SKIP_1) | instid1(VALU_DEP_1)
	v_fma_f32 v3, 0x3fb8aa3b, v1, -v2
	v_rndne_f32_e32 v4, v2
	v_sub_f32_e32 v2, v2, v4
	v_cmp_ngt_f32_e32 vcc_lo, 0xc2ce8ed0, v1
	s_delay_alu instid0(VALU_DEP_4) | instskip(NEXT) | instid1(VALU_DEP_1)
	v_fmamk_f32 v3, v1, 0x32a5705f, v3
	v_add_f32_e32 v2, v2, v3
	v_cvt_i32_f32_e32 v3, v4
	s_delay_alu instid0(VALU_DEP_2) | instskip(SKIP_2) | instid1(VALU_DEP_1)
	v_exp_f32_e32 v2, v2
	s_waitcnt_depctr 0xfff
	v_ldexp_f32 v2, v2, v3
	v_cndmask_b32_e32 v2, 0, v2, vcc_lo
	v_cmp_nlt_f32_e32 vcc_lo, 0x42b17218, v1
	s_delay_alu instid0(VALU_DEP_2) | instskip(NEXT) | instid1(VALU_DEP_1)
	v_cndmask_b32_e32 v1, 0x7f800000, v2, vcc_lo
	v_add_f32_e32 v2, v11, v1
	s_delay_alu instid0(VALU_DEP_1)
	v_cmp_neq_f32_e32 vcc_lo, 0, v2
	s_and_b32 exec_lo, exec_lo, vcc_lo
	s_cbranch_execz .LBB215_13
; %bb.10:
	s_and_not1_b32 vcc_lo, exec_lo, s4
	s_cbranch_vccnz .LBB215_13
; %bb.11:
	v_div_scale_f32 v1, null, v2, v2, 1.0
	v_div_scale_f32 v5, vcc_lo, 1.0, v2, 1.0
	s_delay_alu instid0(VALU_DEP_2) | instskip(SKIP_2) | instid1(VALU_DEP_1)
	v_rcp_f32_e32 v3, v1
	s_waitcnt_depctr 0xfff
	v_fma_f32 v4, -v1, v3, 1.0
	v_fmac_f32_e32 v3, v4, v3
	s_delay_alu instid0(VALU_DEP_1) | instskip(NEXT) | instid1(VALU_DEP_1)
	v_mul_f32_e32 v4, v5, v3
	v_fma_f32 v6, -v1, v4, v5
	s_delay_alu instid0(VALU_DEP_1) | instskip(NEXT) | instid1(VALU_DEP_1)
	v_fmac_f32_e32 v4, v6, v3
	v_fma_f32 v5, -v1, v4, v5
	v_ashrrev_i32_e32 v1, 31, v0
	s_delay_alu instid0(VALU_DEP_2) | instskip(NEXT) | instid1(VALU_DEP_2)
	v_div_fmas_f32 v3, v5, v3, v4
	v_lshlrev_b64 v[0:1], 2, v[0:1]
	s_delay_alu instid0(VALU_DEP_2) | instskip(NEXT) | instid1(VALU_DEP_2)
	v_div_fixup_f32 v2, v3, v2, 1.0
	v_add_co_u32 v0, vcc_lo, s12, v0
	s_delay_alu instid0(VALU_DEP_3)
	v_add_co_ci_u32_e32 v1, vcc_lo, s13, v1, vcc_lo
.LBB215_12:                             ; =>This Inner Loop Header: Depth=1
	global_load_b32 v3, v[0:1], off
	s_add_i32 s8, s8, -1
	s_delay_alu instid0(SALU_CYCLE_1)
	s_cmp_lg_u32 s8, 0
	s_waitcnt vmcnt(0)
	v_mul_f32_e32 v3, v2, v3
	global_store_b32 v[0:1], v3, off
	v_add_co_u32 v0, vcc_lo, v0, 4
	v_add_co_ci_u32_e32 v1, vcc_lo, 0, v1, vcc_lo
	s_cbranch_scc1 .LBB215_12
.LBB215_13:
	s_nop 0
	s_sendmsg sendmsg(MSG_DEALLOC_VGPRS)
	s_endpgm
	.section	.rodata,"a",@progbits
	.p2align	6, 0x0
	.amdhsa_kernel _ZN4vllm3moe17topkGatingSoftmaxItLi1ELi1ELi8ELi2ELb0ELi4ELNS0_23SharedExpertScoringFuncE1EEEvPKT_PKbPfiPiS9_iiiiii
		.amdhsa_group_segment_fixed_size 0
		.amdhsa_private_segment_fixed_size 0
		.amdhsa_kernarg_size 72
		.amdhsa_user_sgpr_count 15
		.amdhsa_user_sgpr_dispatch_ptr 0
		.amdhsa_user_sgpr_queue_ptr 0
		.amdhsa_user_sgpr_kernarg_segment_ptr 1
		.amdhsa_user_sgpr_dispatch_id 0
		.amdhsa_user_sgpr_private_segment_size 0
		.amdhsa_wavefront_size32 1
		.amdhsa_uses_dynamic_stack 0
		.amdhsa_enable_private_segment 0
		.amdhsa_system_sgpr_workgroup_id_x 1
		.amdhsa_system_sgpr_workgroup_id_y 0
		.amdhsa_system_sgpr_workgroup_id_z 0
		.amdhsa_system_sgpr_workgroup_info 0
		.amdhsa_system_vgpr_workitem_id 1
		.amdhsa_next_free_vgpr 33
		.amdhsa_next_free_sgpr 17
		.amdhsa_reserve_vcc 1
		.amdhsa_float_round_mode_32 0
		.amdhsa_float_round_mode_16_64 0
		.amdhsa_float_denorm_mode_32 3
		.amdhsa_float_denorm_mode_16_64 3
		.amdhsa_dx10_clamp 1
		.amdhsa_ieee_mode 1
		.amdhsa_fp16_overflow 0
		.amdhsa_workgroup_processor_mode 1
		.amdhsa_memory_ordered 1
		.amdhsa_forward_progress 0
		.amdhsa_shared_vgpr_count 0
		.amdhsa_exception_fp_ieee_invalid_op 0
		.amdhsa_exception_fp_denorm_src 0
		.amdhsa_exception_fp_ieee_div_zero 0
		.amdhsa_exception_fp_ieee_overflow 0
		.amdhsa_exception_fp_ieee_underflow 0
		.amdhsa_exception_fp_ieee_inexact 0
		.amdhsa_exception_int_div_zero 0
	.end_amdhsa_kernel
	.section	.text._ZN4vllm3moe17topkGatingSoftmaxItLi1ELi1ELi8ELi2ELb0ELi4ELNS0_23SharedExpertScoringFuncE1EEEvPKT_PKbPfiPiS9_iiiiii,"axG",@progbits,_ZN4vllm3moe17topkGatingSoftmaxItLi1ELi1ELi8ELi2ELb0ELi4ELNS0_23SharedExpertScoringFuncE1EEEvPKT_PKbPfiPiS9_iiiiii,comdat
.Lfunc_end215:
	.size	_ZN4vllm3moe17topkGatingSoftmaxItLi1ELi1ELi8ELi2ELb0ELi4ELNS0_23SharedExpertScoringFuncE1EEEvPKT_PKbPfiPiS9_iiiiii, .Lfunc_end215-_ZN4vllm3moe17topkGatingSoftmaxItLi1ELi1ELi8ELi2ELb0ELi4ELNS0_23SharedExpertScoringFuncE1EEEvPKT_PKbPfiPiS9_iiiiii
                                        ; -- End function
	.section	.AMDGPU.csdata,"",@progbits
; Kernel info:
; codeLenInByte = 2020
; NumSgprs: 19
; NumVgprs: 33
; ScratchSize: 0
; MemoryBound: 0
; FloatMode: 240
; IeeeMode: 1
; LDSByteSize: 0 bytes/workgroup (compile time only)
; SGPRBlocks: 2
; VGPRBlocks: 4
; NumSGPRsForWavesPerEU: 19
; NumVGPRsForWavesPerEU: 33
; Occupancy: 16
; WaveLimiterHint : 0
; COMPUTE_PGM_RSRC2:SCRATCH_EN: 0
; COMPUTE_PGM_RSRC2:USER_SGPR: 15
; COMPUTE_PGM_RSRC2:TRAP_HANDLER: 0
; COMPUTE_PGM_RSRC2:TGID_X_EN: 1
; COMPUTE_PGM_RSRC2:TGID_Y_EN: 0
; COMPUTE_PGM_RSRC2:TGID_Z_EN: 0
; COMPUTE_PGM_RSRC2:TIDIG_COMP_CNT: 1
	.section	.text._ZN4vllm3moe17topkGatingSoftmaxItLi1ELi1ELi8ELi2ELb1ELi8ELNS0_23SharedExpertScoringFuncE1EEEvPKT_PKbPfiPiS9_iiiiii,"axG",@progbits,_ZN4vllm3moe17topkGatingSoftmaxItLi1ELi1ELi8ELi2ELb1ELi8ELNS0_23SharedExpertScoringFuncE1EEEvPKT_PKbPfiPiS9_iiiiii,comdat
	.protected	_ZN4vllm3moe17topkGatingSoftmaxItLi1ELi1ELi8ELi2ELb1ELi8ELNS0_23SharedExpertScoringFuncE1EEEvPKT_PKbPfiPiS9_iiiiii ; -- Begin function _ZN4vllm3moe17topkGatingSoftmaxItLi1ELi1ELi8ELi2ELb1ELi8ELNS0_23SharedExpertScoringFuncE1EEEvPKT_PKbPfiPiS9_iiiiii
	.globl	_ZN4vllm3moe17topkGatingSoftmaxItLi1ELi1ELi8ELi2ELb1ELi8ELNS0_23SharedExpertScoringFuncE1EEEvPKT_PKbPfiPiS9_iiiiii
	.p2align	8
	.type	_ZN4vllm3moe17topkGatingSoftmaxItLi1ELi1ELi8ELi2ELb1ELi8ELNS0_23SharedExpertScoringFuncE1EEEvPKT_PKbPfiPiS9_iiiiii,@function
_ZN4vllm3moe17topkGatingSoftmaxItLi1ELi1ELi8ELi2ELb1ELi8ELNS0_23SharedExpertScoringFuncE1EEEvPKT_PKbPfiPiS9_iiiiii: ; @_ZN4vllm3moe17topkGatingSoftmaxItLi1ELi1ELi8ELi2ELb1ELi8ELNS0_23SharedExpertScoringFuncE1EEEvPKT_PKbPfiPiS9_iiiiii
; %bb.0:
	s_load_b32 s9, s[0:1], 0x18
	v_bfe_u32 v1, v0, 10, 10
	v_and_b32_e32 v8, 0x3ff, v0
	s_lshl_b32 s18, s15, 8
	s_mov_b32 s2, exec_lo
	s_delay_alu instid0(VALU_DEP_2) | instskip(NEXT) | instid1(VALU_DEP_1)
	v_lshlrev_b32_e32 v7, 5, v1
	v_add3_u32 v9, v7, v8, s18
	s_waitcnt lgkmcnt(0)
	s_delay_alu instid0(VALU_DEP_1)
	v_cmpx_gt_i32_e64 s9, v9
	s_cbranch_execz .LBB216_12
; %bb.1:
	s_clause 0x1
	s_load_b128 s[4:7], s[0:1], 0x0
	s_load_b64 s[10:11], s[0:1], 0x10
	s_waitcnt lgkmcnt(0)
	s_cmp_eq_u64 s[6:7], 0
	s_cbranch_scc1 .LBB216_3
; %bb.2:
	v_ashrrev_i32_e32 v1, 31, v9
	v_add_co_u32 v0, vcc_lo, s6, v9
	s_delay_alu instid0(VALU_DEP_2) | instskip(SKIP_3) | instid1(VALU_DEP_1)
	v_add_co_ci_u32_e32 v1, vcc_lo, s7, v1, vcc_lo
	global_load_u8 v0, v[0:1], off
	s_waitcnt vmcnt(0)
	v_and_b32_e32 v0, 1, v0
	v_cmp_eq_u32_e32 vcc_lo, 1, v0
	s_xor_b32 s2, vcc_lo, -1
	s_delay_alu instid0(SALU_CYCLE_1)
	s_or_not1_b32 s19, s2, exec_lo
	s_branch .LBB216_4
.LBB216_3:
	s_mov_b32 s19, -1
.LBB216_4:
	s_clause 0x1
	s_load_b64 s[16:17], s[0:1], 0x40
	s_load_b128 s[12:15], s[0:1], 0x30
	s_waitcnt lgkmcnt(0)
	v_mul_lo_u32 v0, v9, s17
	s_cmp_gt_i32 s12, 0
	s_delay_alu instid0(VALU_DEP_1) | instskip(NEXT) | instid1(VALU_DEP_1)
	v_ashrrev_i32_e32 v1, 31, v0
	v_lshlrev_b64 v[0:1], 1, v[0:1]
	s_delay_alu instid0(VALU_DEP_1) | instskip(NEXT) | instid1(VALU_DEP_2)
	v_add_co_u32 v4, vcc_lo, s4, v0
	v_add_co_ci_u32_e32 v5, vcc_lo, s5, v1, vcc_lo
	s_clause 0x1
	global_load_b128 v[0:3], v[4:5], off
	global_load_u16 v10, v[4:5], off offset:16
	v_mul_lo_u32 v4, v9, s15
	s_waitcnt vmcnt(1)
	v_lshrrev_b32_e32 v11, 16, v0
	v_lshrrev_b32_e32 v12, 16, v1
	;; [unrolled: 1-line block ×3, first 2 shown]
	s_waitcnt vmcnt(0)
	v_cvt_f32_u32_e32 v10, v10
	v_lshrrev_b32_e32 v13, 16, v2
	v_cvt_f32_u32_e32 v11, v11
	v_add_nc_u32_e32 v5, s12, v4
	v_cvt_f32_u32_e32 v14, v14
	v_cvt_f32_u32_e32 v12, v12
	s_delay_alu instid0(VALU_DEP_4) | instskip(SKIP_2) | instid1(VALU_DEP_4)
	v_dual_mul_f32 v15, 0xbfb8aa3b, v10 :: v_dual_mul_f32 v16, 0xbfb8aa3b, v11
	v_cvt_f32_u32_e32 v13, v13
	v_ashrrev_i32_e32 v6, 31, v5
	v_mul_f32_e32 v18, 0xbfb8aa3b, v12
	s_delay_alu instid0(VALU_DEP_4)
	v_fma_f32 v23, 0xbfb8aa3b, v10, -v15
	v_rndne_f32_e32 v26, v16
	v_and_b32_e32 v1, 0xffff, v1
	v_fma_f32 v25, 0xbfb8aa3b, v11, -v16
	v_rndne_f32_e32 v24, v15
	v_and_b32_e32 v2, 0xffff, v2
	v_sub_f32_e32 v16, v16, v26
	v_cvt_f32_u32_e32 v1, v1
	s_delay_alu instid0(VALU_DEP_4) | instskip(NEXT) | instid1(VALU_DEP_4)
	v_dual_mul_f32 v20, 0xbfb8aa3b, v13 :: v_dual_sub_f32 v15, v15, v24
	v_cvt_f32_u32_e32 v2, v2
	s_delay_alu instid0(VALU_DEP_3) | instskip(SKIP_2) | instid1(VALU_DEP_4)
	v_dual_mul_f32 v22, 0xbfb8aa3b, v14 :: v_dual_mul_f32 v17, 0xbfb8aa3b, v1
	v_rndne_f32_e32 v30, v18
	v_and_b32_e32 v3, 0xffff, v3
	v_mul_f32_e32 v19, 0xbfb8aa3b, v2
	s_delay_alu instid0(VALU_DEP_4)
	v_rndne_f32_e32 v38, v22
	v_fma_f32 v37, 0xbfb8aa3b, v14, -v22
	v_fmac_f32_e32 v25, 0xb2a5705f, v11
	v_lshlrev_b64 v[5:6], 2, v[5:6]
	v_fma_f32 v29, 0xbfb8aa3b, v12, -v18
	v_sub_f32_e32 v22, v22, v38
	s_delay_alu instid0(VALU_DEP_4) | instskip(SKIP_3) | instid1(VALU_DEP_4)
	v_dual_fmac_f32 v23, 0xb2a5705f, v10 :: v_dual_add_f32 v16, v16, v25
	v_fma_f32 v33, 0xbfb8aa3b, v13, -v20
	v_rndne_f32_e32 v34, v20
	v_cvt_i32_f32_e32 v24, v24
	v_dual_add_f32 v15, v15, v23 :: v_dual_sub_f32 v18, v18, v30
	v_cvt_f32_u32_e32 v3, v3
	v_exp_f32_e32 v16, v16
	v_add_co_u32 v5, vcc_lo, s10, v5
	s_delay_alu instid0(VALU_DEP_3)
	v_exp_f32_e32 v15, v15
	v_add_co_ci_u32_e32 v6, vcc_lo, s11, v6, vcc_lo
	v_dual_mul_f32 v21, 0xbfb8aa3b, v3 :: v_dual_sub_f32 v20, v20, v34
	v_fma_f32 v27, 0xbfb8aa3b, v1, -v17
	v_rndne_f32_e32 v28, v17
	v_cvt_i32_f32_e32 v26, v26
	v_fmac_f32_e32 v33, 0xb2a5705f, v13
	v_cmp_nlt_f32_e32 vcc_lo, 0x42ce8ed0, v10
	s_delay_alu instid0(TRANS32_DEP_1) | instskip(SKIP_3) | instid1(VALU_DEP_4)
	v_ldexp_f32 v15, v15, v24
	v_fmac_f32_e32 v29, 0xb2a5705f, v12
	v_ldexp_f32 v16, v16, v26
	v_dual_add_f32 v20, v20, v33 :: v_dual_sub_f32 v17, v17, v28
	v_cndmask_b32_e32 v15, 0, v15, vcc_lo
	v_cmp_nlt_f32_e32 vcc_lo, 0x42ce8ed0, v11
	v_fmac_f32_e32 v27, 0xb2a5705f, v1
	v_add_f32_e32 v18, v18, v29
	v_fma_f32 v31, 0xbfb8aa3b, v2, -v19
	v_cvt_i32_f32_e32 v28, v28
	s_delay_alu instid0(VALU_DEP_4)
	v_dual_cndmask_b32 v16, 0, v16 :: v_dual_add_f32 v17, v17, v27
	v_fmac_f32_e32 v37, 0xb2a5705f, v14
	v_exp_f32_e32 v18, v18
	v_rndne_f32_e32 v32, v19
	v_cvt_i32_f32_e32 v30, v30
	v_exp_f32_e32 v17, v17
	v_dual_fmac_f32 v31, 0xb2a5705f, v2 :: v_dual_add_f32 v22, v22, v37
	v_cmp_nlt_f32_e32 vcc_lo, 0x42ce8ed0, v1
	v_fma_f32 v35, 0xbfb8aa3b, v3, -v21
	v_rndne_f32_e32 v36, v21
	v_cvt_i32_f32_e32 v25, v38
	v_exp_f32_e32 v22, v22
	v_ldexp_f32 v18, v18, v30
	v_exp_f32_e32 v20, v20
	s_delay_alu instid0(TRANS32_DEP_3) | instskip(SKIP_3) | instid1(VALU_DEP_4)
	v_ldexp_f32 v17, v17, v28
	v_sub_f32_e32 v21, v21, v36
	v_cvt_i32_f32_e32 v34, v34
	v_cvt_i32_f32_e32 v23, v36
	v_cndmask_b32_e32 v17, 0, v17, vcc_lo
	v_cmp_nlt_f32_e32 vcc_lo, 0x42ce8ed0, v12
	v_sub_f32_e32 v19, v19, v32
	v_ldexp_f32 v22, v22, v25
	v_fmac_f32_e32 v35, 0xb2a5705f, v3
	v_cvt_i32_f32_e32 v32, v32
	s_delay_alu instid0(VALU_DEP_4) | instskip(SKIP_1) | instid1(VALU_DEP_4)
	v_dual_cndmask_b32 v18, 0, v18 :: v_dual_add_f32 v19, v19, v31
	v_cmp_nlt_f32_e32 vcc_lo, 0x42ce8ed0, v2
	v_add_f32_e32 v21, v21, v35
	v_ldexp_f32 v20, v20, v34
	s_delay_alu instid0(VALU_DEP_4) | instskip(NEXT) | instid1(VALU_DEP_2)
	v_exp_f32_e32 v19, v19
	v_exp_f32_e32 v21, v21
	s_waitcnt_depctr 0xfff
	v_ldexp_f32 v19, v19, v32
	v_ldexp_f32 v21, v21, v23
	s_delay_alu instid0(VALU_DEP_2)
	v_cndmask_b32_e32 v19, 0, v19, vcc_lo
	v_cmp_nlt_f32_e32 vcc_lo, 0x42ce8ed0, v13
	v_cndmask_b32_e32 v20, 0, v20, vcc_lo
	v_cmp_nlt_f32_e32 vcc_lo, 0x42ce8ed0, v3
	;; [unrolled: 2-line block ×3, first 2 shown]
	v_cndmask_b32_e32 v22, 0, v22, vcc_lo
	v_cmp_ngt_f32_e32 vcc_lo, 0xc2b17218, v10
	v_cndmask_b32_e32 v10, 0x7f800000, v15, vcc_lo
	v_cmp_ngt_f32_e32 vcc_lo, 0xc2b17218, v11
	s_delay_alu instid0(VALU_DEP_2)
	v_dual_add_f32 v10, 1.0, v10 :: v_dual_cndmask_b32 v11, 0x7f800000, v16
	v_cmp_ngt_f32_e32 vcc_lo, 0xc2b17218, v1
	v_cndmask_b32_e32 v1, 0x7f800000, v17, vcc_lo
	v_cmp_ngt_f32_e32 vcc_lo, 0xc2b17218, v12
	v_cndmask_b32_e32 v12, 0x7f800000, v18, vcc_lo
	v_cmp_ngt_f32_e32 vcc_lo, 0xc2b17218, v2
	s_delay_alu instid0(VALU_DEP_2) | instskip(SKIP_4) | instid1(VALU_DEP_3)
	v_dual_add_f32 v15, 1.0, v12 :: v_dual_cndmask_b32 v2, 0x7f800000, v19
	v_cmp_ngt_f32_e32 vcc_lo, 0xc2b17218, v13
	v_div_scale_f32 v12, null, v10, v10, 1.0
	v_cndmask_b32_e32 v13, 0x7f800000, v20, vcc_lo
	v_cmp_ngt_f32_e32 vcc_lo, 0xc2b17218, v3
	v_rcp_f32_e32 v30, v12
	v_cndmask_b32_e32 v3, 0x7f800000, v21, vcc_lo
	v_div_scale_f32 v21, null, v15, v15, 1.0
	v_cmp_ngt_f32_e32 vcc_lo, 0xc2b17218, v14
	s_delay_alu instid0(VALU_DEP_2) | instskip(SKIP_4) | instid1(VALU_DEP_3)
	v_rcp_f32_e32 v33, v21
	s_waitcnt_depctr 0xfff
	v_fma_f32 v39, -v12, v30, 1.0
	v_cndmask_b32_e32 v14, 0x7f800000, v22, vcc_lo
	v_div_scale_f32 v22, s4, 1.0, v15, 1.0
	v_fmac_f32_e32 v30, v39, v30
	v_fma_f32 v42, -v21, v33, 1.0
	s_delay_alu instid0(VALU_DEP_1) | instskip(NEXT) | instid1(VALU_DEP_1)
	v_fmac_f32_e32 v33, v42, v33
	v_mul_f32_e32 v42, v22, v33
	v_add_f32_e32 v16, 1.0, v13
	v_div_scale_f32 v13, s2, 1.0, v10, 1.0
	s_delay_alu instid0(VALU_DEP_3) | instskip(NEXT) | instid1(VALU_DEP_3)
	v_fma_f32 v50, -v21, v42, v22
	v_div_scale_f32 v25, null, v16, v16, 1.0
	v_div_scale_f32 v26, s6, 1.0, v16, 1.0
	s_delay_alu instid0(VALU_DEP_4) | instskip(NEXT) | instid1(VALU_DEP_3)
	v_mul_f32_e32 v39, v13, v30
	v_rcp_f32_e32 v35, v25
	v_fmac_f32_e32 v42, v50, v33
	s_delay_alu instid0(VALU_DEP_2) | instskip(NEXT) | instid1(VALU_DEP_1)
	v_fma_f32 v47, -v12, v39, v13
	v_fmac_f32_e32 v39, v47, v30
	s_waitcnt_depctr 0xfff
	v_fma_f32 v44, -v25, v35, 1.0
	v_fma_f32 v47, -v12, v39, v13
	s_delay_alu instid0(VALU_DEP_2) | instskip(NEXT) | instid1(VALU_DEP_1)
	v_fmac_f32_e32 v35, v44, v35
	v_dual_mul_f32 v44, v26, v35 :: v_dual_add_f32 v1, 1.0, v1
	v_add_f32_e32 v2, 1.0, v2
	s_delay_alu instid0(VALU_DEP_2) | instskip(SKIP_1) | instid1(VALU_DEP_4)
	v_fma_f32 v52, -v25, v44, v26
	v_add_f32_e32 v17, 1.0, v14
	v_div_scale_f32 v19, null, v1, v1, 1.0
	s_delay_alu instid0(VALU_DEP_4) | instskip(NEXT) | instid1(VALU_DEP_4)
	v_div_scale_f32 v23, null, v2, v2, 1.0
	v_fmac_f32_e32 v44, v52, v35
	s_delay_alu instid0(VALU_DEP_4) | instskip(SKIP_2) | instid1(VALU_DEP_2)
	v_div_scale_f32 v29, null, v17, v17, 1.0
	v_div_scale_f32 v38, s8, 1.0, v17, 1.0
	v_rcp_f32_e32 v32, v19
	v_rcp_f32_e32 v37, v29
	;; [unrolled: 1-line block ×3, first 2 shown]
	v_div_scale_f32 v20, s3, 1.0, v1, 1.0
	v_div_scale_f32 v24, s5, 1.0, v2, 1.0
	s_delay_alu instid0(TRANS32_DEP_3) | instskip(SKIP_3) | instid1(VALU_DEP_2)
	v_fma_f32 v41, -v19, v32, 1.0
	s_waitcnt_depctr 0xfff
	v_fma_f32 v46, -v29, v37, 1.0
	v_fma_f32 v43, -v23, v34, 1.0
	v_dual_fmac_f32 v32, v41, v32 :: v_dual_fmac_f32 v37, v46, v37
	s_delay_alu instid0(VALU_DEP_2) | instskip(NEXT) | instid1(VALU_DEP_2)
	v_dual_add_f32 v11, 1.0, v11 :: v_dual_fmac_f32 v34, v43, v34
	v_dual_mul_f32 v41, v20, v32 :: v_dual_mul_f32 v46, v38, v37
	s_delay_alu instid0(VALU_DEP_2) | instskip(SKIP_1) | instid1(VALU_DEP_3)
	v_div_scale_f32 v14, null, v11, v11, 1.0
	v_div_scale_f32 v18, vcc_lo, 1.0, v11, 1.0
	v_fma_f32 v54, -v29, v46, v38
	s_delay_alu instid0(VALU_DEP_3) | instskip(SKIP_2) | instid1(VALU_DEP_3)
	v_rcp_f32_e32 v31, v14
	v_mul_f32_e32 v43, v24, v34
	v_fma_f32 v49, -v19, v41, v20
	v_fmac_f32_e32 v46, v54, v37
	s_delay_alu instid0(VALU_DEP_3) | instskip(NEXT) | instid1(VALU_DEP_3)
	v_fma_f32 v51, -v23, v43, v24
	v_fmac_f32_e32 v41, v49, v32
	s_waitcnt_depctr 0xfff
	v_fma_f32 v40, -v14, v31, 1.0
	v_fmac_f32_e32 v43, v51, v34
	v_fma_f32 v13, -v19, v41, v20
	v_fma_f32 v19, -v25, v44, v26
	s_delay_alu instid0(VALU_DEP_4) | instskip(NEXT) | instid1(VALU_DEP_1)
	v_fmac_f32_e32 v31, v40, v31
	v_mul_f32_e32 v40, v18, v31
	s_delay_alu instid0(VALU_DEP_1) | instskip(NEXT) | instid1(VALU_DEP_1)
	v_fma_f32 v48, -v14, v40, v18
	v_fmac_f32_e32 v40, v48, v31
	v_add_f32_e32 v3, 1.0, v3
	s_delay_alu instid0(VALU_DEP_2) | instskip(NEXT) | instid1(VALU_DEP_2)
	v_fma_f32 v12, -v14, v40, v18
	v_div_scale_f32 v27, null, v3, v3, 1.0
	v_div_scale_f32 v28, s7, 1.0, v3, 1.0
	v_fma_f32 v14, -v21, v42, v22
	s_delay_alu instid0(VALU_DEP_3)
	v_rcp_f32_e32 v36, v27
	v_div_fmas_f32 v12, v12, v31, v40
	s_mov_b32 vcc_lo, s3
	v_fma_f32 v18, -v23, v43, v24
	v_div_fmas_f32 v13, v13, v32, v41
	s_mov_b32 vcc_lo, s4
	v_fma_f32 v21, -v29, v46, v38
	v_div_fmas_f32 v14, v14, v33, v42
	s_mov_b32 vcc_lo, s5
	v_div_fixup_f32 v11, v12, v11, 1.0
	v_fma_f32 v45, -v27, v36, 1.0
	v_div_fmas_f32 v18, v18, v34, v43
	s_mov_b32 vcc_lo, s6
	v_div_fixup_f32 v12, v13, v1, 1.0
	v_div_fmas_f32 v1, v19, v35, v44
	v_fmac_f32_e32 v36, v45, v36
	s_mov_b32 vcc_lo, s7
	v_div_fixup_f32 v13, v14, v15, 1.0
	v_div_fixup_f32 v14, v18, v2, 1.0
	v_div_fixup_f32 v15, v1, v16, 1.0
	v_mul_f32_e32 v45, v28, v36
	s_cselect_b32 s4, -1, 0
	s_cmp_lt_i32 s12, 1
	s_delay_alu instid0(VALU_DEP_1) | instskip(NEXT) | instid1(VALU_DEP_1)
	v_fma_f32 v53, -v27, v45, v28
	v_fmac_f32_e32 v45, v53, v36
	s_delay_alu instid0(VALU_DEP_1) | instskip(NEXT) | instid1(VALU_DEP_1)
	v_fma_f32 v20, -v27, v45, v28
	v_div_fmas_f32 v19, v20, v36, v45
	s_mov_b32 vcc_lo, s8
	v_div_fmas_f32 v20, v21, v37, v46
	s_mov_b32 vcc_lo, s2
	s_delay_alu instid0(VALU_DEP_2) | instskip(SKIP_1) | instid1(VALU_DEP_3)
	v_div_fixup_f32 v16, v19, v3, 1.0
	v_div_fmas_f32 v21, v47, v30, v39
	v_div_fixup_f32 v17, v20, v17, 1.0
	s_delay_alu instid0(VALU_DEP_2)
	v_div_fixup_f32 v18, v21, v10, 1.0
	v_mov_b32_e32 v10, 0
	s_clause 0x1
	global_store_b128 v[5:6], v[11:14], off
	global_store_b128 v[5:6], v[15:18], off offset:16
	s_cbranch_scc1 .LBB216_8
; %bb.5:
	v_and_b32_e32 v0, 0xffff, v0
	s_load_b128 s[0:3], s[0:1], 0x20
	v_ashrrev_i32_e32 v5, 31, v4
	v_mul_lo_u32 v13, v9, s12
	s_cmp_lt_i32 s13, 1
	v_cvt_f32_u32_e32 v12, v0
	s_cselect_b32 s5, -1, 0
	v_lshlrev_b64 v[5:6], 2, v[4:5]
	s_cmp_gt_i32 s14, 0
	s_cselect_b32 s6, -1, 0
	v_sub_f32_e32 v10, v12, v12
	v_ashrrev_i32_e32 v14, 31, v13
	s_and_b32 s5, s5, s6
	s_sub_i32 s7, 0, s13
	s_and_b32 s5, s19, s5
	v_mul_f32_e32 v0, 0x3fb8aa3b, v10
	v_cndmask_b32_e64 v11, 1, s7, s5
	s_cmp_eq_u32 s12, 1
	s_delay_alu instid0(VALU_DEP_2) | instskip(SKIP_1) | instid1(VALU_DEP_2)
	v_fma_f32 v1, 0x3fb8aa3b, v10, -v0
	v_rndne_f32_e32 v2, v0
	v_fmac_f32_e32 v1, 0x32a5705f, v10
	s_delay_alu instid0(VALU_DEP_2) | instskip(SKIP_2) | instid1(VALU_DEP_3)
	v_sub_f32_e32 v3, v0, v2
	v_mul_lo_u32 v0, v9, s16
	v_cvt_i32_f32_e32 v16, v2
	v_add_f32_e32 v1, v3, v1
	s_delay_alu instid0(VALU_DEP_1) | instskip(NEXT) | instid1(VALU_DEP_3)
	v_exp_f32_e32 v15, v1
	v_ashrrev_i32_e32 v1, 31, v0
	s_delay_alu instid0(VALU_DEP_1)
	v_lshlrev_b64 v[2:3], 2, v[0:1]
	v_add_co_u32 v0, vcc_lo, s10, v5
	v_add_co_ci_u32_e32 v1, vcc_lo, s11, v6, vcc_lo
	s_waitcnt_depctr 0xfff
	v_ldexp_f32 v15, v15, v16
	v_cmp_ngt_f32_e32 vcc_lo, 0xc2ce8ed0, v10
	v_lshlrev_b64 v[5:6], 2, v[13:14]
	s_delay_alu instid0(VALU_DEP_3)
	v_cndmask_b32_e32 v15, 0, v15, vcc_lo
	s_waitcnt lgkmcnt(0)
	v_add_co_u32 v13, vcc_lo, s0, v2
	v_add_co_ci_u32_e32 v14, vcc_lo, s1, v3, vcc_lo
	v_cmp_nlt_f32_e32 vcc_lo, 0x42b17218, v10
	v_cndmask_b32_e32 v10, 0x7f800000, v15, vcc_lo
	v_add_co_u32 v15, vcc_lo, s2, v5
	v_add_co_ci_u32_e32 v16, vcc_lo, s3, v6, vcc_lo
	global_store_b32 v[13:14], v11, off
	global_store_b32 v[0:1], v10, off
	;; [unrolled: 1-line block ×3, first 2 shown]
	s_cbranch_scc1 .LBB216_8
; %bb.6:
	v_sub_f32_e32 v9, 0xff800000, v12
	v_add_co_u32 v5, vcc_lo, v5, s2
	v_add_co_ci_u32_e32 v6, vcc_lo, s3, v6, vcc_lo
	s_delay_alu instid0(VALU_DEP_3) | instskip(SKIP_1) | instid1(SALU_CYCLE_1)
	v_mul_f32_e32 v12, 0x3fb8aa3b, v9
	s_add_i32 s18, s18, s9
	v_add3_u32 v7, s18, v8, v7
	s_delay_alu instid0(VALU_DEP_2) | instskip(SKIP_1) | instid1(VALU_DEP_1)
	v_fma_f32 v13, 0x3fb8aa3b, v9, -v12
	v_rndne_f32_e32 v14, v12
	v_dual_sub_f32 v12, v12, v14 :: v_dual_fmac_f32 v13, 0x32a5705f, v9
	s_delay_alu instid0(VALU_DEP_1) | instskip(SKIP_3) | instid1(VALU_DEP_4)
	v_add_f32_e32 v12, v12, v13
	v_add_co_u32 v13, vcc_lo, v2, s0
	v_cvt_i32_f32_e32 v2, v14
	v_add_co_ci_u32_e32 v15, vcc_lo, s1, v3, vcc_lo
	v_exp_f32_e32 v12, v12
	v_add_co_u32 v0, vcc_lo, v0, 4
	v_add_co_ci_u32_e32 v1, vcc_lo, 0, v1, vcc_lo
	s_add_i32 s0, s12, -1
	s_waitcnt_depctr 0xfff
	v_ldexp_f32 v12, v12, v2
	v_add_co_u32 v2, vcc_lo, v5, 4
	v_add_co_ci_u32_e32 v3, vcc_lo, 0, v6, vcc_lo
	v_cmp_ngt_f32_e32 vcc_lo, 0xc2ce8ed0, v9
	s_delay_alu instid0(VALU_DEP_4) | instskip(SKIP_3) | instid1(VALU_DEP_4)
	v_cndmask_b32_e32 v12, 0, v12, vcc_lo
	v_add_co_u32 v5, vcc_lo, v13, 4
	v_add_co_ci_u32_e32 v6, vcc_lo, 0, v15, vcc_lo
	v_cmp_nlt_f32_e32 vcc_lo, 0x42b17218, v9
	v_cndmask_b32_e32 v9, 0x7f800000, v12, vcc_lo
	.p2align	6
.LBB216_7:                              ; =>This Inner Loop Header: Depth=1
	global_store_b32 v[0:1], v9, off
	global_store_b32 v[5:6], v11, off
	;; [unrolled: 1-line block ×3, first 2 shown]
	v_add_co_u32 v2, vcc_lo, v2, 4
	v_add_co_ci_u32_e32 v3, vcc_lo, 0, v3, vcc_lo
	v_add_co_u32 v5, vcc_lo, v5, 4
	v_add_co_ci_u32_e32 v6, vcc_lo, 0, v6, vcc_lo
	v_add_co_u32 v0, vcc_lo, v0, 4
	v_dual_add_f32 v10, v10, v9 :: v_dual_add_nc_u32 v7, s9, v7
	v_add_co_ci_u32_e32 v1, vcc_lo, 0, v1, vcc_lo
	s_add_i32 s0, s0, -1
	s_delay_alu instid0(SALU_CYCLE_1)
	s_cmp_eq_u32 s0, 0
	s_cbranch_scc0 .LBB216_7
.LBB216_8:
	v_cmp_neq_f32_e32 vcc_lo, 0, v10
	s_and_b32 exec_lo, exec_lo, vcc_lo
	s_cbranch_execz .LBB216_12
; %bb.9:
	s_and_not1_b32 vcc_lo, exec_lo, s4
	s_cbranch_vccnz .LBB216_12
; %bb.10:
	v_div_scale_f32 v0, null, v10, v10, 1.0
	v_div_scale_f32 v3, vcc_lo, 1.0, v10, 1.0
	s_delay_alu instid0(VALU_DEP_2) | instskip(SKIP_2) | instid1(VALU_DEP_1)
	v_rcp_f32_e32 v1, v0
	s_waitcnt_depctr 0xfff
	v_fma_f32 v2, -v0, v1, 1.0
	v_fmac_f32_e32 v1, v2, v1
	s_delay_alu instid0(VALU_DEP_1) | instskip(NEXT) | instid1(VALU_DEP_1)
	v_mul_f32_e32 v2, v3, v1
	v_fma_f32 v5, -v0, v2, v3
	s_delay_alu instid0(VALU_DEP_1) | instskip(SKIP_1) | instid1(VALU_DEP_2)
	v_fmac_f32_e32 v2, v5, v1
	v_ashrrev_i32_e32 v5, 31, v4
	v_fma_f32 v0, -v0, v2, v3
	s_delay_alu instid0(VALU_DEP_1) | instskip(NEXT) | instid1(VALU_DEP_3)
	v_div_fmas_f32 v2, v0, v1, v2
	v_lshlrev_b64 v[0:1], 2, v[4:5]
	s_delay_alu instid0(VALU_DEP_2) | instskip(NEXT) | instid1(VALU_DEP_2)
	v_div_fixup_f32 v2, v2, v10, 1.0
	v_add_co_u32 v0, vcc_lo, s10, v0
	s_delay_alu instid0(VALU_DEP_3)
	v_add_co_ci_u32_e32 v1, vcc_lo, s11, v1, vcc_lo
.LBB216_11:                             ; =>This Inner Loop Header: Depth=1
	global_load_b32 v3, v[0:1], off
	s_add_i32 s12, s12, -1
	s_delay_alu instid0(SALU_CYCLE_1)
	s_cmp_lg_u32 s12, 0
	s_waitcnt vmcnt(0)
	v_mul_f32_e32 v3, v2, v3
	global_store_b32 v[0:1], v3, off
	v_add_co_u32 v0, vcc_lo, v0, 4
	v_add_co_ci_u32_e32 v1, vcc_lo, 0, v1, vcc_lo
	s_cbranch_scc1 .LBB216_11
.LBB216_12:
	s_nop 0
	s_sendmsg sendmsg(MSG_DEALLOC_VGPRS)
	s_endpgm
	.section	.rodata,"a",@progbits
	.p2align	6, 0x0
	.amdhsa_kernel _ZN4vllm3moe17topkGatingSoftmaxItLi1ELi1ELi8ELi2ELb1ELi8ELNS0_23SharedExpertScoringFuncE1EEEvPKT_PKbPfiPiS9_iiiiii
		.amdhsa_group_segment_fixed_size 0
		.amdhsa_private_segment_fixed_size 0
		.amdhsa_kernarg_size 72
		.amdhsa_user_sgpr_count 15
		.amdhsa_user_sgpr_dispatch_ptr 0
		.amdhsa_user_sgpr_queue_ptr 0
		.amdhsa_user_sgpr_kernarg_segment_ptr 1
		.amdhsa_user_sgpr_dispatch_id 0
		.amdhsa_user_sgpr_private_segment_size 0
		.amdhsa_wavefront_size32 1
		.amdhsa_uses_dynamic_stack 0
		.amdhsa_enable_private_segment 0
		.amdhsa_system_sgpr_workgroup_id_x 1
		.amdhsa_system_sgpr_workgroup_id_y 0
		.amdhsa_system_sgpr_workgroup_id_z 0
		.amdhsa_system_sgpr_workgroup_info 0
		.amdhsa_system_vgpr_workitem_id 1
		.amdhsa_next_free_vgpr 55
		.amdhsa_next_free_sgpr 20
		.amdhsa_reserve_vcc 1
		.amdhsa_float_round_mode_32 0
		.amdhsa_float_round_mode_16_64 0
		.amdhsa_float_denorm_mode_32 3
		.amdhsa_float_denorm_mode_16_64 3
		.amdhsa_dx10_clamp 1
		.amdhsa_ieee_mode 1
		.amdhsa_fp16_overflow 0
		.amdhsa_workgroup_processor_mode 1
		.amdhsa_memory_ordered 1
		.amdhsa_forward_progress 0
		.amdhsa_shared_vgpr_count 0
		.amdhsa_exception_fp_ieee_invalid_op 0
		.amdhsa_exception_fp_denorm_src 0
		.amdhsa_exception_fp_ieee_div_zero 0
		.amdhsa_exception_fp_ieee_overflow 0
		.amdhsa_exception_fp_ieee_underflow 0
		.amdhsa_exception_fp_ieee_inexact 0
		.amdhsa_exception_int_div_zero 0
	.end_amdhsa_kernel
	.section	.text._ZN4vllm3moe17topkGatingSoftmaxItLi1ELi1ELi8ELi2ELb1ELi8ELNS0_23SharedExpertScoringFuncE1EEEvPKT_PKbPfiPiS9_iiiiii,"axG",@progbits,_ZN4vllm3moe17topkGatingSoftmaxItLi1ELi1ELi8ELi2ELb1ELi8ELNS0_23SharedExpertScoringFuncE1EEEvPKT_PKbPfiPiS9_iiiiii,comdat
.Lfunc_end216:
	.size	_ZN4vllm3moe17topkGatingSoftmaxItLi1ELi1ELi8ELi2ELb1ELi8ELNS0_23SharedExpertScoringFuncE1EEEvPKT_PKbPfiPiS9_iiiiii, .Lfunc_end216-_ZN4vllm3moe17topkGatingSoftmaxItLi1ELi1ELi8ELi2ELb1ELi8ELNS0_23SharedExpertScoringFuncE1EEEvPKT_PKbPfiPiS9_iiiiii
                                        ; -- End function
	.section	.AMDGPU.csdata,"",@progbits
; Kernel info:
; codeLenInByte = 2640
; NumSgprs: 22
; NumVgprs: 55
; ScratchSize: 0
; MemoryBound: 0
; FloatMode: 240
; IeeeMode: 1
; LDSByteSize: 0 bytes/workgroup (compile time only)
; SGPRBlocks: 2
; VGPRBlocks: 6
; NumSGPRsForWavesPerEU: 22
; NumVGPRsForWavesPerEU: 55
; Occupancy: 16
; WaveLimiterHint : 0
; COMPUTE_PGM_RSRC2:SCRATCH_EN: 0
; COMPUTE_PGM_RSRC2:USER_SGPR: 15
; COMPUTE_PGM_RSRC2:TRAP_HANDLER: 0
; COMPUTE_PGM_RSRC2:TGID_X_EN: 1
; COMPUTE_PGM_RSRC2:TGID_Y_EN: 0
; COMPUTE_PGM_RSRC2:TGID_Z_EN: 0
; COMPUTE_PGM_RSRC2:TIDIG_COMP_CNT: 1
	.section	.text._ZN4vllm3moe17topkGatingSoftmaxItLi1ELi1ELi8ELi2ELb0ELi8ELNS0_23SharedExpertScoringFuncE1EEEvPKT_PKbPfiPiS9_iiiiii,"axG",@progbits,_ZN4vllm3moe17topkGatingSoftmaxItLi1ELi1ELi8ELi2ELb0ELi8ELNS0_23SharedExpertScoringFuncE1EEEvPKT_PKbPfiPiS9_iiiiii,comdat
	.protected	_ZN4vllm3moe17topkGatingSoftmaxItLi1ELi1ELi8ELi2ELb0ELi8ELNS0_23SharedExpertScoringFuncE1EEEvPKT_PKbPfiPiS9_iiiiii ; -- Begin function _ZN4vllm3moe17topkGatingSoftmaxItLi1ELi1ELi8ELi2ELb0ELi8ELNS0_23SharedExpertScoringFuncE1EEEvPKT_PKbPfiPiS9_iiiiii
	.globl	_ZN4vllm3moe17topkGatingSoftmaxItLi1ELi1ELi8ELi2ELb0ELi8ELNS0_23SharedExpertScoringFuncE1EEEvPKT_PKbPfiPiS9_iiiiii
	.p2align	8
	.type	_ZN4vllm3moe17topkGatingSoftmaxItLi1ELi1ELi8ELi2ELb0ELi8ELNS0_23SharedExpertScoringFuncE1EEEvPKT_PKbPfiPiS9_iiiiii,@function
_ZN4vllm3moe17topkGatingSoftmaxItLi1ELi1ELi8ELi2ELb0ELi8ELNS0_23SharedExpertScoringFuncE1EEEvPKT_PKbPfiPiS9_iiiiii: ; @_ZN4vllm3moe17topkGatingSoftmaxItLi1ELi1ELi8ELi2ELb0ELi8ELNS0_23SharedExpertScoringFuncE1EEEvPKT_PKbPfiPiS9_iiiiii
; %bb.0:
	s_load_b32 s9, s[0:1], 0x18
	v_bfe_u32 v1, v0, 10, 10
	v_and_b32_e32 v8, 0x3ff, v0
	s_lshl_b32 s18, s15, 8
	s_mov_b32 s2, exec_lo
	s_delay_alu instid0(VALU_DEP_2) | instskip(NEXT) | instid1(VALU_DEP_1)
	v_lshlrev_b32_e32 v7, 5, v1
	v_add3_u32 v9, v7, v8, s18
	s_waitcnt lgkmcnt(0)
	s_delay_alu instid0(VALU_DEP_1)
	v_cmpx_gt_i32_e64 s9, v9
	s_cbranch_execz .LBB217_13
; %bb.1:
	s_clause 0x1
	s_load_b128 s[4:7], s[0:1], 0x0
	s_load_b64 s[10:11], s[0:1], 0x10
	s_waitcnt lgkmcnt(0)
	s_cmp_eq_u64 s[6:7], 0
	s_cbranch_scc1 .LBB217_3
; %bb.2:
	v_ashrrev_i32_e32 v1, 31, v9
	v_add_co_u32 v0, vcc_lo, s6, v9
	s_delay_alu instid0(VALU_DEP_2) | instskip(SKIP_3) | instid1(VALU_DEP_1)
	v_add_co_ci_u32_e32 v1, vcc_lo, s7, v1, vcc_lo
	global_load_u8 v0, v[0:1], off
	s_waitcnt vmcnt(0)
	v_and_b32_e32 v0, 1, v0
	v_cmp_eq_u32_e32 vcc_lo, 1, v0
	s_xor_b32 s2, vcc_lo, -1
	s_delay_alu instid0(SALU_CYCLE_1)
	s_or_not1_b32 s19, s2, exec_lo
	s_branch .LBB217_4
.LBB217_3:
	s_mov_b32 s19, -1
.LBB217_4:
	s_clause 0x1
	s_load_b64 s[16:17], s[0:1], 0x40
	s_load_b128 s[12:15], s[0:1], 0x30
	s_waitcnt lgkmcnt(0)
	v_mul_lo_u32 v0, v9, s17
	s_cmp_gt_i32 s12, 0
	s_delay_alu instid0(VALU_DEP_1) | instskip(NEXT) | instid1(VALU_DEP_1)
	v_ashrrev_i32_e32 v1, 31, v0
	v_lshlrev_b64 v[0:1], 1, v[0:1]
	s_delay_alu instid0(VALU_DEP_1) | instskip(NEXT) | instid1(VALU_DEP_2)
	v_add_co_u32 v5, vcc_lo, s4, v0
	v_add_co_ci_u32_e32 v6, vcc_lo, s5, v1, vcc_lo
	v_mul_lo_u32 v0, v9, s15
	s_clause 0x1
	global_load_b128 v[1:4], v[5:6], off
	global_load_u16 v10, v[5:6], off offset:16
	s_waitcnt vmcnt(1)
	v_lshrrev_b32_e32 v11, 16, v3
	s_waitcnt vmcnt(0)
	v_cvt_f32_u32_e32 v13, v10
	v_add_nc_u32_e32 v5, s12, v0
	v_lshrrev_b32_e32 v12, 16, v4
	v_cvt_f32_u32_e32 v11, v11
	s_delay_alu instid0(VALU_DEP_4) | instskip(NEXT) | instid1(VALU_DEP_4)
	v_mul_f32_e32 v14, 0xbfb8aa3b, v13
	v_ashrrev_i32_e32 v6, 31, v5
	s_delay_alu instid0(VALU_DEP_4) | instskip(NEXT) | instid1(VALU_DEP_4)
	v_cvt_f32_u32_e32 v12, v12
	v_mul_f32_e32 v20, 0xbfb8aa3b, v11
	s_delay_alu instid0(VALU_DEP_4) | instskip(NEXT) | instid1(VALU_DEP_4)
	v_rndne_f32_e32 v24, v14
	v_lshlrev_b64 v[5:6], 2, v[5:6]
	v_and_b32_e32 v3, 0xffff, v3
	v_fma_f32 v23, 0xbfb8aa3b, v13, -v14
	v_mul_f32_e32 v22, 0xbfb8aa3b, v12
	v_sub_f32_e32 v14, v14, v24
	v_cvt_i32_f32_e32 v24, v24
	v_add_co_u32 v16, vcc_lo, s10, v5
	v_add_co_ci_u32_e32 v17, vcc_lo, s11, v6, vcc_lo
	v_lshrrev_b32_e32 v6, 16, v2
	v_lshrrev_b32_e32 v5, 16, v1
	v_cvt_f32_u32_e32 v3, v3
	v_and_b32_e32 v2, 0xffff, v2
	v_rndne_f32_e32 v38, v22
	v_cvt_f32_u32_e32 v6, v6
	v_cvt_f32_u32_e32 v5, v5
	v_mul_f32_e32 v19, 0xbfb8aa3b, v3
	v_cvt_f32_u32_e32 v2, v2
	v_fmac_f32_e32 v23, 0xb2a5705f, v13
	v_mul_f32_e32 v18, 0xbfb8aa3b, v6
	v_fma_f32 v37, 0xbfb8aa3b, v12, -v22
	v_sub_f32_e32 v22, v22, v38
	v_mul_f32_e32 v15, 0xbfb8aa3b, v2
	v_fma_f32 v31, 0xbfb8aa3b, v3, -v19
	v_rndne_f32_e32 v30, v18
	v_and_b32_e32 v1, 0xffff, v1
	v_fma_f32 v29, 0xbfb8aa3b, v6, -v18
	v_fma_f32 v27, 0xbfb8aa3b, v2, -v15
	v_rndne_f32_e32 v28, v15
	v_sub_f32_e32 v18, v18, v30
	v_cvt_f32_u32_e32 v10, v1
	v_mul_f32_e32 v1, 0xbfb8aa3b, v5
	v_fma_f32 v33, 0xbfb8aa3b, v11, -v20
	v_rndne_f32_e32 v34, v20
	v_sub_f32_e32 v15, v15, v28
	v_fmac_f32_e32 v37, 0xb2a5705f, v12
	v_rndne_f32_e32 v26, v1
	v_and_b32_e32 v4, 0xffff, v4
	v_fma_f32 v25, 0xbfb8aa3b, v5, -v1
	v_fmac_f32_e32 v33, 0xb2a5705f, v11
	s_delay_alu instid0(VALU_DEP_4) | instskip(NEXT) | instid1(VALU_DEP_4)
	v_dual_add_f32 v14, v14, v23 :: v_dual_sub_f32 v1, v1, v26
	v_cvt_f32_u32_e32 v4, v4
	v_sub_f32_e32 v20, v20, v34
	v_fmac_f32_e32 v29, 0xb2a5705f, v6
	v_fmac_f32_e32 v25, 0xb2a5705f, v5
	v_cvt_i32_f32_e32 v34, v34
	s_delay_alu instid0(VALU_DEP_4) | instskip(NEXT) | instid1(VALU_DEP_4)
	v_dual_mul_f32 v21, 0xbfb8aa3b, v4 :: v_dual_add_f32 v20, v20, v33
	v_dual_fmac_f32 v27, 0xb2a5705f, v2 :: v_dual_add_f32 v18, v18, v29
	v_exp_f32_e32 v14, v14
	v_rndne_f32_e32 v32, v19
	s_delay_alu instid0(VALU_DEP_3) | instskip(NEXT) | instid1(VALU_DEP_2)
	v_exp_f32_e32 v20, v20
	v_add_f32_e32 v15, v15, v27
	v_cvt_i32_f32_e32 v26, v26
	v_dual_fmac_f32 v31, 0xb2a5705f, v3 :: v_dual_add_f32 v22, v22, v37
	v_cmp_nlt_f32_e32 vcc_lo, 0x42ce8ed0, v13
	s_delay_alu instid0(VALU_DEP_4) | instskip(SKIP_1) | instid1(TRANS32_DEP_3)
	v_exp_f32_e32 v15, v15
	v_cvt_i32_f32_e32 v28, v28
	v_ldexp_f32 v14, v14, v24
	v_sub_f32_e32 v19, v19, v32
	s_delay_alu instid0(TRANS32_DEP_2)
	v_ldexp_f32 v20, v20, v34
	v_add_f32_e32 v1, v1, v25
	v_exp_f32_e32 v22, v22
	v_cndmask_b32_e32 v14, 0, v14, vcc_lo
	v_cmp_nlt_f32_e32 vcc_lo, 0x42ce8ed0, v5
	v_fma_f32 v35, 0xbfb8aa3b, v4, -v21
	v_exp_f32_e32 v1, v1
	v_rndne_f32_e32 v36, v21
	v_add_f32_e32 v19, v19, v31
	v_exp_f32_e32 v18, v18
	v_cvt_i32_f32_e32 v25, v38
	v_ldexp_f32 v15, v15, v28
	v_cvt_i32_f32_e32 v30, v30
	v_exp_f32_e32 v19, v19
	v_cvt_i32_f32_e32 v32, v32
	v_ldexp_f32 v22, v22, v25
	v_ldexp_f32 v1, v1, v26
	v_fmac_f32_e32 v35, 0xb2a5705f, v4
	v_cvt_i32_f32_e32 v23, v36
	v_ldexp_f32 v18, v18, v30
	s_delay_alu instid0(VALU_DEP_4) | instskip(SKIP_1) | instid1(TRANS32_DEP_1)
	v_cndmask_b32_e32 v1, 0, v1, vcc_lo
	v_cmp_nlt_f32_e32 vcc_lo, 0x42ce8ed0, v2
	v_ldexp_f32 v19, v19, v32
	v_cndmask_b32_e32 v15, 0, v15, vcc_lo
	v_sub_f32_e32 v21, v21, v36
	v_cmp_nlt_f32_e32 vcc_lo, 0x42ce8ed0, v6
	s_delay_alu instid0(VALU_DEP_2) | instskip(SKIP_1) | instid1(VALU_DEP_2)
	v_dual_add_f32 v21, v21, v35 :: v_dual_cndmask_b32 v18, 0, v18
	v_cmp_nlt_f32_e32 vcc_lo, 0x42ce8ed0, v3
	v_exp_f32_e32 v21, v21
	v_cndmask_b32_e32 v19, 0, v19, vcc_lo
	v_cmp_nlt_f32_e32 vcc_lo, 0x42ce8ed0, v11
	v_cndmask_b32_e32 v20, 0, v20, vcc_lo
	v_cmp_nlt_f32_e32 vcc_lo, 0x42ce8ed0, v4
	s_waitcnt_depctr 0xfff
	v_ldexp_f32 v21, v21, v23
	s_delay_alu instid0(VALU_DEP_1)
	v_cndmask_b32_e32 v21, 0, v21, vcc_lo
	v_cmp_nlt_f32_e32 vcc_lo, 0x42ce8ed0, v12
	v_cndmask_b32_e32 v22, 0, v22, vcc_lo
	v_cmp_ngt_f32_e32 vcc_lo, 0xc2b17218, v13
	v_cndmask_b32_e32 v13, 0x7f800000, v14, vcc_lo
	v_cmp_ngt_f32_e32 vcc_lo, 0xc2b17218, v5
	;; [unrolled: 2-line block ×4, first 2 shown]
	v_add_f32_e32 v15, 1.0, v13
	v_cndmask_b32_e32 v5, 0x7f800000, v18, vcc_lo
	v_cmp_ngt_f32_e32 vcc_lo, 0xc2b17218, v3
	s_delay_alu instid0(VALU_DEP_2) | instskip(SKIP_2) | instid1(VALU_DEP_2)
	v_add_f32_e32 v5, 1.0, v5
	v_cndmask_b32_e32 v3, 0x7f800000, v19, vcc_lo
	v_cmp_ngt_f32_e32 vcc_lo, 0xc2b17218, v11
	v_dual_add_f32 v13, 1.0, v3 :: v_dual_cndmask_b32 v6, 0x7f800000, v20
	v_cmp_ngt_f32_e32 vcc_lo, 0xc2b17218, v4
	s_delay_alu instid0(VALU_DEP_2) | instskip(NEXT) | instid1(VALU_DEP_3)
	v_div_scale_f32 v23, null, v13, v13, 1.0
	v_add_f32_e32 v6, 1.0, v6
	s_delay_alu instid0(VALU_DEP_2) | instskip(NEXT) | instid1(VALU_DEP_1)
	v_rcp_f32_e32 v34, v23
	v_div_scale_f32 v25, null, v6, v6, 1.0
	v_div_scale_f32 v26, s6, 1.0, v6, 1.0
	s_delay_alu instid0(VALU_DEP_2) | instskip(SKIP_2) | instid1(VALU_DEP_1)
	v_rcp_f32_e32 v35, v25
	s_waitcnt_depctr 0xfff
	v_fma_f32 v43, -v23, v34, 1.0
	v_fmac_f32_e32 v34, v43, v34
	v_cndmask_b32_e32 v4, 0x7f800000, v21, vcc_lo
	v_fma_f32 v44, -v25, v35, 1.0
	v_cmp_ngt_f32_e32 vcc_lo, 0xc2b17218, v12
	v_div_scale_f32 v21, null, v5, v5, 1.0
	s_delay_alu instid0(VALU_DEP_3) | instskip(SKIP_1) | instid1(VALU_DEP_3)
	v_dual_add_f32 v14, 1.0, v4 :: v_dual_fmac_f32 v35, v44, v35
	v_cndmask_b32_e32 v11, 0x7f800000, v22, vcc_lo
	v_rcp_f32_e32 v33, v21
	v_add_f32_e32 v12, 1.0, v2
	s_delay_alu instid0(VALU_DEP_3) | instskip(SKIP_2) | instid1(VALU_DEP_4)
	v_div_scale_f32 v27, null, v14, v14, 1.0
	v_mul_f32_e32 v44, v26, v35
	v_add_f32_e32 v11, 1.0, v11
	v_div_scale_f32 v19, null, v12, v12, 1.0
	v_div_scale_f32 v22, s4, 1.0, v5, 1.0
	s_delay_alu instid0(VALU_DEP_4) | instskip(SKIP_1) | instid1(TRANS32_DEP_1)
	v_fma_f32 v52, -v25, v44, v26
	v_add_f32_e32 v1, 1.0, v1
	v_fma_f32 v42, -v21, v33, 1.0
	v_rcp_f32_e32 v32, v19
	v_div_scale_f32 v29, null, v11, v11, 1.0
	v_fmac_f32_e32 v44, v52, v35
	v_div_scale_f32 v4, null, v1, v1, 1.0
	v_div_scale_f32 v18, vcc_lo, 1.0, v1, 1.0
	v_fmac_f32_e32 v33, v42, v33
	s_delay_alu instid0(VALU_DEP_3)
	v_rcp_f32_e32 v31, v4
	v_rcp_f32_e32 v36, v27
	;; [unrolled: 1-line block ×3, first 2 shown]
	v_fma_f32 v41, -v19, v32, 1.0
	v_mul_f32_e32 v42, v22, v33
	v_div_scale_f32 v20, s3, 1.0, v12, 1.0
	v_div_scale_f32 v28, s7, 1.0, v14, 1.0
	s_delay_alu instid0(VALU_DEP_3) | instskip(NEXT) | instid1(TRANS32_DEP_3)
	v_fma_f32 v50, -v21, v42, v22
	v_fma_f32 v40, -v4, v31, 1.0
	v_fmac_f32_e32 v32, v41, v32
	s_delay_alu instid0(TRANS32_DEP_2) | instskip(NEXT) | instid1(TRANS32_DEP_1)
	v_fma_f32 v45, -v27, v36, 1.0
	v_fma_f32 v46, -v29, v37, 1.0
	s_delay_alu instid0(VALU_DEP_4) | instskip(SKIP_3) | instid1(VALU_DEP_3)
	v_dual_fmac_f32 v42, v50, v33 :: v_dual_fmac_f32 v31, v40, v31
	v_div_scale_f32 v24, s5, 1.0, v13, 1.0
	v_mul_f32_e32 v41, v20, v32
	v_fmac_f32_e32 v36, v45, v36
	v_dual_mul_f32 v40, v18, v31 :: v_dual_mul_f32 v43, v24, v34
	v_div_scale_f32 v38, s8, 1.0, v11, 1.0
	v_fmac_f32_e32 v37, v46, v37
	s_delay_alu instid0(VALU_DEP_3)
	v_fma_f32 v48, -v4, v40, v18
	v_fma_f32 v49, -v19, v41, v20
	v_mul_f32_e32 v45, v28, v36
	v_fma_f32 v51, -v23, v43, v24
	v_mul_f32_e32 v46, v38, v37
	v_fmac_f32_e32 v40, v48, v31
	v_div_scale_f32 v2, null, v15, v15, 1.0
	v_div_scale_f32 v3, s2, 1.0, v15, 1.0
	v_fmac_f32_e32 v41, v49, v32
	s_delay_alu instid0(VALU_DEP_3) | instskip(SKIP_3) | instid1(VALU_DEP_1)
	v_rcp_f32_e32 v30, v2
	v_fma_f32 v53, -v27, v45, v28
	v_fmac_f32_e32 v43, v51, v34
	v_fma_f32 v54, -v29, v46, v38
	v_dual_fmac_f32 v45, v53, v36 :: v_dual_fmac_f32 v46, v54, v37
	s_waitcnt_depctr 0xfff
	v_fma_f32 v39, -v2, v30, 1.0
	s_delay_alu instid0(VALU_DEP_1) | instskip(NEXT) | instid1(VALU_DEP_1)
	v_fmac_f32_e32 v30, v39, v30
	v_mul_f32_e32 v39, v3, v30
	s_delay_alu instid0(VALU_DEP_1) | instskip(NEXT) | instid1(VALU_DEP_1)
	v_fma_f32 v47, -v2, v39, v3
	v_fmac_f32_e32 v39, v47, v30
	s_delay_alu instid0(VALU_DEP_1)
	v_fma_f32 v47, -v2, v39, v3
	v_fma_f32 v2, -v4, v40, v18
	;; [unrolled: 1-line block ×6, first 2 shown]
	v_div_fmas_f32 v2, v2, v31, v40
	s_mov_b32 vcc_lo, s3
	v_fma_f32 v20, -v27, v45, v28
	v_div_fmas_f32 v3, v3, v32, v41
	s_mov_b32 vcc_lo, s4
	v_div_fixup_f32 v2, v2, v1, 1.0
	v_div_fmas_f32 v4, v4, v33, v42
	s_mov_b32 vcc_lo, s5
	v_fma_f32 v21, -v29, v46, v38
	v_div_fmas_f32 v1, v18, v34, v43
	s_mov_b32 vcc_lo, s6
	v_div_fixup_f32 v3, v3, v12, 1.0
	v_div_fmas_f32 v12, v19, v35, v44
	s_mov_b32 vcc_lo, s7
	v_div_fixup_f32 v4, v4, v5, 1.0
	;; [unrolled: 3-line block ×4, first 2 shown]
	v_div_fmas_f32 v20, v47, v30, v39
	v_mov_b32_e32 v1, v10
	v_div_fixup_f32 v14, v19, v11, 1.0
	v_mov_b32_e32 v11, 0
	v_div_fixup_f32 v12, v12, v6, 1.0
	v_div_fixup_f32 v15, v20, v15, 1.0
	s_cselect_b32 s4, -1, 0
	s_cmp_lt_i32 s12, 1
	s_clause 0x1
	global_store_b128 v[16:17], v[2:5], off
	global_store_b128 v[16:17], v[12:15], off offset:16
	s_cbranch_scc1 .LBB217_9
; %bb.5:
	v_sub_f32_e32 v11, v10, v10
	s_load_b128 s[0:3], s[0:1], 0x20
	v_mul_lo_u32 v2, v9, s16
	s_cmp_lt_i32 s13, 1
	s_cselect_b32 s5, -1, 0
	v_mul_f32_e32 v1, 0x3fb8aa3b, v11
	s_cmp_gt_i32 s14, 0
	s_cselect_b32 s6, -1, 0
	s_sub_i32 s7, 0, s13
	s_delay_alu instid0(VALU_DEP_1) | instskip(SKIP_2) | instid1(SALU_CYCLE_1)
	v_rndne_f32_e32 v4, v1
	v_fma_f32 v3, 0x3fb8aa3b, v11, -v1
	s_and_b32 s5, s5, s6
	s_and_b32 s5, s19, s5
	s_delay_alu instid0(VALU_DEP_2) | instskip(NEXT) | instid1(VALU_DEP_2)
	v_sub_f32_e32 v5, v1, v4
	v_fmac_f32_e32 v3, 0x32a5705f, v11
	v_ashrrev_i32_e32 v1, 31, v0
	v_cndmask_b32_e64 v12, 1, s7, s5
	s_cmp_eq_u32 s12, 1
	s_delay_alu instid0(VALU_DEP_3) | instskip(NEXT) | instid1(VALU_DEP_3)
	v_add_f32_e32 v3, v5, v3
	v_lshlrev_b64 v[13:14], 2, v[0:1]
	v_cvt_i32_f32_e32 v1, v4
	v_mul_lo_u32 v5, v9, s12
	s_delay_alu instid0(VALU_DEP_4) | instskip(SKIP_1) | instid1(VALU_DEP_2)
	v_exp_f32_e32 v15, v3
	v_ashrrev_i32_e32 v3, 31, v2
	v_ashrrev_i32_e32 v6, 31, v5
	s_delay_alu instid0(VALU_DEP_2)
	v_lshlrev_b64 v[3:4], 2, v[2:3]
	s_waitcnt_depctr 0xfff
	v_ldexp_f32 v15, v15, v1
	v_add_co_u32 v1, vcc_lo, s10, v13
	v_add_co_ci_u32_e32 v2, vcc_lo, s11, v14, vcc_lo
	v_cmp_ngt_f32_e32 vcc_lo, 0xc2ce8ed0, v11
	v_lshlrev_b64 v[5:6], 2, v[5:6]
	v_cndmask_b32_e32 v15, 0, v15, vcc_lo
	s_waitcnt lgkmcnt(0)
	v_add_co_u32 v13, vcc_lo, s0, v3
	v_add_co_ci_u32_e32 v14, vcc_lo, s1, v4, vcc_lo
	v_cmp_nlt_f32_e32 vcc_lo, 0x42b17218, v11
	v_cndmask_b32_e32 v11, 0x7f800000, v15, vcc_lo
	v_add_co_u32 v15, vcc_lo, s2, v5
	v_add_co_ci_u32_e32 v16, vcc_lo, s3, v6, vcc_lo
	global_store_b32 v[13:14], v12, off
	global_store_b32 v[1:2], v11, off
	global_store_b32 v[15:16], v9, off
	s_cbranch_scc1 .LBB217_8
; %bb.6:
	v_sub_f32_e32 v9, 0xff800000, v10
	v_add_co_u32 v5, vcc_lo, v5, s2
	v_add_co_ci_u32_e32 v6, vcc_lo, s3, v6, vcc_lo
	s_delay_alu instid0(VALU_DEP_3) | instskip(SKIP_1) | instid1(SALU_CYCLE_1)
	v_mul_f32_e32 v13, 0x3fb8aa3b, v9
	s_add_i32 s18, s18, s9
	v_add3_u32 v7, s18, v8, v7
	s_delay_alu instid0(VALU_DEP_2) | instskip(SKIP_1) | instid1(VALU_DEP_1)
	v_fma_f32 v14, 0x3fb8aa3b, v9, -v13
	v_rndne_f32_e32 v15, v13
	v_dual_fmac_f32 v14, 0x32a5705f, v9 :: v_dual_sub_f32 v13, v13, v15
	s_delay_alu instid0(VALU_DEP_1) | instskip(SKIP_3) | instid1(VALU_DEP_4)
	v_add_f32_e32 v13, v13, v14
	v_add_co_u32 v14, vcc_lo, v3, s0
	v_cvt_i32_f32_e32 v3, v15
	v_add_co_ci_u32_e32 v16, vcc_lo, s1, v4, vcc_lo
	v_exp_f32_e32 v13, v13
	v_add_co_u32 v1, vcc_lo, v1, 4
	v_add_co_ci_u32_e32 v2, vcc_lo, 0, v2, vcc_lo
	s_add_i32 s0, s12, -1
	s_waitcnt_depctr 0xfff
	v_ldexp_f32 v13, v13, v3
	v_add_co_u32 v3, vcc_lo, v5, 4
	v_add_co_ci_u32_e32 v4, vcc_lo, 0, v6, vcc_lo
	v_cmp_ngt_f32_e32 vcc_lo, 0xc2ce8ed0, v9
	s_delay_alu instid0(VALU_DEP_4) | instskip(SKIP_3) | instid1(VALU_DEP_4)
	v_cndmask_b32_e32 v13, 0, v13, vcc_lo
	v_add_co_u32 v5, vcc_lo, v14, 4
	v_add_co_ci_u32_e32 v6, vcc_lo, 0, v16, vcc_lo
	v_cmp_nlt_f32_e32 vcc_lo, 0x42b17218, v9
	v_cndmask_b32_e32 v9, 0x7f800000, v13, vcc_lo
	.p2align	6
.LBB217_7:                              ; =>This Inner Loop Header: Depth=1
	global_store_b32 v[1:2], v9, off
	global_store_b32 v[5:6], v12, off
	;; [unrolled: 1-line block ×3, first 2 shown]
	v_add_co_u32 v3, vcc_lo, v3, 4
	v_add_co_ci_u32_e32 v4, vcc_lo, 0, v4, vcc_lo
	v_add_co_u32 v5, vcc_lo, v5, 4
	v_add_co_ci_u32_e32 v6, vcc_lo, 0, v6, vcc_lo
	v_add_co_u32 v1, vcc_lo, v1, 4
	v_add_f32_e32 v11, v11, v9
	v_add_co_ci_u32_e32 v2, vcc_lo, 0, v2, vcc_lo
	v_add_nc_u32_e32 v7, s9, v7
	s_add_i32 s0, s0, -1
	s_delay_alu instid0(SALU_CYCLE_1)
	s_cmp_eq_u32 s0, 0
	s_cbranch_scc0 .LBB217_7
.LBB217_8:
	v_mov_b32_e32 v1, 0xff800000
.LBB217_9:
	s_delay_alu instid0(VALU_DEP_1) | instskip(NEXT) | instid1(VALU_DEP_1)
	v_sub_f32_e32 v1, v1, v10
	v_mul_f32_e32 v2, 0x3fb8aa3b, v1
	s_delay_alu instid0(VALU_DEP_1) | instskip(SKIP_1) | instid1(VALU_DEP_1)
	v_fma_f32 v3, 0x3fb8aa3b, v1, -v2
	v_rndne_f32_e32 v4, v2
	v_sub_f32_e32 v2, v2, v4
	v_cmp_ngt_f32_e32 vcc_lo, 0xc2ce8ed0, v1
	s_delay_alu instid0(VALU_DEP_4) | instskip(NEXT) | instid1(VALU_DEP_1)
	v_fmamk_f32 v3, v1, 0x32a5705f, v3
	v_add_f32_e32 v2, v2, v3
	v_cvt_i32_f32_e32 v3, v4
	s_delay_alu instid0(VALU_DEP_2) | instskip(SKIP_2) | instid1(VALU_DEP_1)
	v_exp_f32_e32 v2, v2
	s_waitcnt_depctr 0xfff
	v_ldexp_f32 v2, v2, v3
	v_cndmask_b32_e32 v2, 0, v2, vcc_lo
	v_cmp_nlt_f32_e32 vcc_lo, 0x42b17218, v1
	s_delay_alu instid0(VALU_DEP_2) | instskip(NEXT) | instid1(VALU_DEP_1)
	v_cndmask_b32_e32 v1, 0x7f800000, v2, vcc_lo
	v_add_f32_e32 v2, v11, v1
	s_delay_alu instid0(VALU_DEP_1)
	v_cmp_neq_f32_e32 vcc_lo, 0, v2
	s_and_b32 exec_lo, exec_lo, vcc_lo
	s_cbranch_execz .LBB217_13
; %bb.10:
	s_and_not1_b32 vcc_lo, exec_lo, s4
	s_cbranch_vccnz .LBB217_13
; %bb.11:
	v_div_scale_f32 v1, null, v2, v2, 1.0
	v_div_scale_f32 v5, vcc_lo, 1.0, v2, 1.0
	s_delay_alu instid0(VALU_DEP_2) | instskip(SKIP_2) | instid1(VALU_DEP_1)
	v_rcp_f32_e32 v3, v1
	s_waitcnt_depctr 0xfff
	v_fma_f32 v4, -v1, v3, 1.0
	v_fmac_f32_e32 v3, v4, v3
	s_delay_alu instid0(VALU_DEP_1) | instskip(NEXT) | instid1(VALU_DEP_1)
	v_mul_f32_e32 v4, v5, v3
	v_fma_f32 v6, -v1, v4, v5
	s_delay_alu instid0(VALU_DEP_1) | instskip(NEXT) | instid1(VALU_DEP_1)
	v_fmac_f32_e32 v4, v6, v3
	v_fma_f32 v5, -v1, v4, v5
	v_ashrrev_i32_e32 v1, 31, v0
	s_delay_alu instid0(VALU_DEP_2) | instskip(NEXT) | instid1(VALU_DEP_2)
	v_div_fmas_f32 v3, v5, v3, v4
	v_lshlrev_b64 v[0:1], 2, v[0:1]
	s_delay_alu instid0(VALU_DEP_2) | instskip(NEXT) | instid1(VALU_DEP_2)
	v_div_fixup_f32 v2, v3, v2, 1.0
	v_add_co_u32 v0, vcc_lo, s10, v0
	s_delay_alu instid0(VALU_DEP_3)
	v_add_co_ci_u32_e32 v1, vcc_lo, s11, v1, vcc_lo
.LBB217_12:                             ; =>This Inner Loop Header: Depth=1
	global_load_b32 v3, v[0:1], off
	s_add_i32 s12, s12, -1
	s_delay_alu instid0(SALU_CYCLE_1)
	s_cmp_lg_u32 s12, 0
	s_waitcnt vmcnt(0)
	v_mul_f32_e32 v3, v2, v3
	global_store_b32 v[0:1], v3, off
	v_add_co_u32 v0, vcc_lo, v0, 4
	v_add_co_ci_u32_e32 v1, vcc_lo, 0, v1, vcc_lo
	s_cbranch_scc1 .LBB217_12
.LBB217_13:
	s_nop 0
	s_sendmsg sendmsg(MSG_DEALLOC_VGPRS)
	s_endpgm
	.section	.rodata,"a",@progbits
	.p2align	6, 0x0
	.amdhsa_kernel _ZN4vllm3moe17topkGatingSoftmaxItLi1ELi1ELi8ELi2ELb0ELi8ELNS0_23SharedExpertScoringFuncE1EEEvPKT_PKbPfiPiS9_iiiiii
		.amdhsa_group_segment_fixed_size 0
		.amdhsa_private_segment_fixed_size 0
		.amdhsa_kernarg_size 72
		.amdhsa_user_sgpr_count 15
		.amdhsa_user_sgpr_dispatch_ptr 0
		.amdhsa_user_sgpr_queue_ptr 0
		.amdhsa_user_sgpr_kernarg_segment_ptr 1
		.amdhsa_user_sgpr_dispatch_id 0
		.amdhsa_user_sgpr_private_segment_size 0
		.amdhsa_wavefront_size32 1
		.amdhsa_uses_dynamic_stack 0
		.amdhsa_enable_private_segment 0
		.amdhsa_system_sgpr_workgroup_id_x 1
		.amdhsa_system_sgpr_workgroup_id_y 0
		.amdhsa_system_sgpr_workgroup_id_z 0
		.amdhsa_system_sgpr_workgroup_info 0
		.amdhsa_system_vgpr_workitem_id 1
		.amdhsa_next_free_vgpr 55
		.amdhsa_next_free_sgpr 20
		.amdhsa_reserve_vcc 1
		.amdhsa_float_round_mode_32 0
		.amdhsa_float_round_mode_16_64 0
		.amdhsa_float_denorm_mode_32 3
		.amdhsa_float_denorm_mode_16_64 3
		.amdhsa_dx10_clamp 1
		.amdhsa_ieee_mode 1
		.amdhsa_fp16_overflow 0
		.amdhsa_workgroup_processor_mode 1
		.amdhsa_memory_ordered 1
		.amdhsa_forward_progress 0
		.amdhsa_shared_vgpr_count 0
		.amdhsa_exception_fp_ieee_invalid_op 0
		.amdhsa_exception_fp_denorm_src 0
		.amdhsa_exception_fp_ieee_div_zero 0
		.amdhsa_exception_fp_ieee_overflow 0
		.amdhsa_exception_fp_ieee_underflow 0
		.amdhsa_exception_fp_ieee_inexact 0
		.amdhsa_exception_int_div_zero 0
	.end_amdhsa_kernel
	.section	.text._ZN4vllm3moe17topkGatingSoftmaxItLi1ELi1ELi8ELi2ELb0ELi8ELNS0_23SharedExpertScoringFuncE1EEEvPKT_PKbPfiPiS9_iiiiii,"axG",@progbits,_ZN4vllm3moe17topkGatingSoftmaxItLi1ELi1ELi8ELi2ELb0ELi8ELNS0_23SharedExpertScoringFuncE1EEEvPKT_PKbPfiPiS9_iiiiii,comdat
.Lfunc_end217:
	.size	_ZN4vllm3moe17topkGatingSoftmaxItLi1ELi1ELi8ELi2ELb0ELi8ELNS0_23SharedExpertScoringFuncE1EEEvPKT_PKbPfiPiS9_iiiiii, .Lfunc_end217-_ZN4vllm3moe17topkGatingSoftmaxItLi1ELi1ELi8ELi2ELb0ELi8ELNS0_23SharedExpertScoringFuncE1EEEvPKT_PKbPfiPiS9_iiiiii
                                        ; -- End function
	.section	.AMDGPU.csdata,"",@progbits
; Kernel info:
; codeLenInByte = 2732
; NumSgprs: 22
; NumVgprs: 55
; ScratchSize: 0
; MemoryBound: 0
; FloatMode: 240
; IeeeMode: 1
; LDSByteSize: 0 bytes/workgroup (compile time only)
; SGPRBlocks: 2
; VGPRBlocks: 6
; NumSGPRsForWavesPerEU: 22
; NumVGPRsForWavesPerEU: 55
; Occupancy: 16
; WaveLimiterHint : 0
; COMPUTE_PGM_RSRC2:SCRATCH_EN: 0
; COMPUTE_PGM_RSRC2:USER_SGPR: 15
; COMPUTE_PGM_RSRC2:TRAP_HANDLER: 0
; COMPUTE_PGM_RSRC2:TGID_X_EN: 1
; COMPUTE_PGM_RSRC2:TGID_Y_EN: 0
; COMPUTE_PGM_RSRC2:TGID_Z_EN: 0
; COMPUTE_PGM_RSRC2:TIDIG_COMP_CNT: 1
	.section	.text._ZN4vllm3moe17topkGatingSoftmaxItLi2ELi2ELi8ELi4ELb1ELi0ELNS0_23SharedExpertScoringFuncE0EEEvPKT_PKbPfiPiS9_iiiiii,"axG",@progbits,_ZN4vllm3moe17topkGatingSoftmaxItLi2ELi2ELi8ELi4ELb1ELi0ELNS0_23SharedExpertScoringFuncE0EEEvPKT_PKbPfiPiS9_iiiiii,comdat
	.protected	_ZN4vllm3moe17topkGatingSoftmaxItLi2ELi2ELi8ELi4ELb1ELi0ELNS0_23SharedExpertScoringFuncE0EEEvPKT_PKbPfiPiS9_iiiiii ; -- Begin function _ZN4vllm3moe17topkGatingSoftmaxItLi2ELi2ELi8ELi4ELb1ELi0ELNS0_23SharedExpertScoringFuncE0EEEvPKT_PKbPfiPiS9_iiiiii
	.globl	_ZN4vllm3moe17topkGatingSoftmaxItLi2ELi2ELi8ELi4ELb1ELi0ELNS0_23SharedExpertScoringFuncE0EEEvPKT_PKbPfiPiS9_iiiiii
	.p2align	8
	.type	_ZN4vllm3moe17topkGatingSoftmaxItLi2ELi2ELi8ELi4ELb1ELi0ELNS0_23SharedExpertScoringFuncE0EEEvPKT_PKbPfiPiS9_iiiiii,@function
_ZN4vllm3moe17topkGatingSoftmaxItLi2ELi2ELi8ELi4ELb1ELi0ELNS0_23SharedExpertScoringFuncE0EEEvPKT_PKbPfiPiS9_iiiiii: ; @_ZN4vllm3moe17topkGatingSoftmaxItLi2ELi2ELi8ELi4ELb1ELi0ELNS0_23SharedExpertScoringFuncE0EEEvPKT_PKbPfiPiS9_iiiiii
; %bb.0:
	s_load_b32 s3, s[0:1], 0x18
	v_bfe_u32 v1, v0, 10, 10
	v_and_b32_e32 v10, 0x3ff, v0
	s_lshl_b32 s18, s15, 8
	s_mov_b32 s2, exec_lo
	s_delay_alu instid0(VALU_DEP_2) | instskip(NEXT) | instid1(VALU_DEP_1)
	v_lshlrev_b32_e32 v9, 5, v1
	v_add3_u32 v6, v9, v10, s18
	s_waitcnt lgkmcnt(0)
	s_delay_alu instid0(VALU_DEP_1)
	v_cmpx_gt_i32_e64 s3, v6
	s_cbranch_execz .LBB218_13
; %bb.1:
	s_clause 0x1
	s_load_b128 s[12:15], s[0:1], 0x0
	s_load_b64 s[16:17], s[0:1], 0x10
	s_waitcnt lgkmcnt(0)
	s_cmp_eq_u64 s[14:15], 0
	s_cbranch_scc1 .LBB218_3
; %bb.2:
	v_ashrrev_i32_e32 v1, 31, v6
	v_add_co_u32 v0, vcc_lo, s14, v6
	s_delay_alu instid0(VALU_DEP_2) | instskip(SKIP_3) | instid1(VALU_DEP_1)
	v_add_co_ci_u32_e32 v1, vcc_lo, s15, v1, vcc_lo
	global_load_u8 v0, v[0:1], off
	s_waitcnt vmcnt(0)
	v_and_b32_e32 v0, 1, v0
	v_cmp_eq_u32_e32 vcc_lo, 1, v0
	s_xor_b32 s2, vcc_lo, -1
	s_delay_alu instid0(SALU_CYCLE_1)
	s_or_not1_b32 s15, s2, exec_lo
	s_branch .LBB218_4
.LBB218_3:
	s_mov_b32 s15, -1
.LBB218_4:
	s_load_b128 s[4:7], s[0:1], 0x30
	s_waitcnt lgkmcnt(0)
	s_cmp_gt_i32 s4, 0
	s_cselect_b32 s14, -1, 0
	s_cmp_lt_i32 s4, 1
	s_cbranch_scc1 .LBB218_9
; %bb.5:
	s_clause 0x1
	s_load_b64 s[20:21], s[0:1], 0x40
	s_load_b128 s[8:11], s[0:1], 0x20
	v_mul_lo_u32 v2, v6, s4
	s_waitcnt lgkmcnt(0)
	v_mul_lo_u32 v0, v6, s21
	v_mul_lo_u32 v14, v6, s20
	s_delay_alu instid0(VALU_DEP_2) | instskip(NEXT) | instid1(VALU_DEP_1)
	v_ashrrev_i32_e32 v1, 31, v0
	v_lshlrev_b64 v[0:1], 1, v[0:1]
	s_delay_alu instid0(VALU_DEP_1) | instskip(NEXT) | instid1(VALU_DEP_2)
	v_add_co_u32 v0, vcc_lo, s12, v0
	v_add_co_ci_u32_e32 v1, vcc_lo, s13, v1, vcc_lo
	global_load_b32 v0, v[0:1], off
	s_waitcnt vmcnt(0)
	v_lshrrev_b32_e32 v1, 16, v0
	v_and_b32_e32 v0, 0xffff, v0
	s_delay_alu instid0(VALU_DEP_2) | instskip(NEXT) | instid1(VALU_DEP_2)
	v_cvt_f32_u32_e32 v12, v1
	v_cvt_f32_u32_e32 v11, v0
	v_mul_lo_u32 v0, v6, s7
	s_delay_alu instid0(VALU_DEP_2) | instskip(SKIP_2) | instid1(VALU_DEP_2)
	v_cmp_lt_f32_e32 vcc_lo, v11, v12
	v_cndmask_b32_e32 v7, v11, v12, vcc_lo
	v_cndmask_b32_e64 v13, 0, 1, vcc_lo
	v_sub_f32_e32 v8, v7, v7
	s_delay_alu instid0(VALU_DEP_2) | instskip(SKIP_1) | instid1(VALU_DEP_3)
	v_cmp_le_i32_e64 s0, s5, v13
	v_cmp_gt_i32_e64 s1, s6, v13
	v_mul_f32_e32 v1, 0x3fb8aa3b, v8
	s_delay_alu instid0(VALU_DEP_2) | instskip(SKIP_1) | instid1(VALU_DEP_2)
	s_and_b32 s1, s0, s1
	v_cmp_ngt_f32_e64 s0, 0xc2ce8ed0, v8
	v_fma_f32 v3, 0x3fb8aa3b, v8, -v1
	v_rndne_f32_e32 v16, v1
	s_delay_alu instid0(VALU_DEP_2) | instskip(NEXT) | instid1(VALU_DEP_2)
	v_fmac_f32_e32 v3, 0x32a5705f, v8
	v_sub_f32_e32 v4, v1, v16
	v_ashrrev_i32_e32 v1, 31, v0
	s_delay_alu instid0(VALU_DEP_2) | instskip(SKIP_1) | instid1(VALU_DEP_3)
	v_add_f32_e32 v15, v4, v3
	v_ashrrev_i32_e32 v3, 31, v2
	v_lshlrev_b64 v[4:5], 2, v[0:1]
	s_delay_alu instid0(VALU_DEP_3) | instskip(NEXT) | instid1(VALU_DEP_2)
	v_exp_f32_e32 v17, v15
	v_lshlrev_b64 v[0:1], 2, v[2:3]
	v_ashrrev_i32_e32 v15, 31, v14
	v_cvt_i32_f32_e32 v2, v16
	s_delay_alu instid0(VALU_DEP_4) | instskip(NEXT) | instid1(VALU_DEP_1)
	v_add_co_u32 v4, s2, s16, v4
	v_add_co_ci_u32_e64 v5, s2, s17, v5, s2
	s_waitcnt_depctr 0xfff
	v_ldexp_f32 v16, v17, v2
	v_lshlrev_b64 v[2:3], 2, v[14:15]
	v_subrev_nc_u32_e32 v17, s5, v13
	s_delay_alu instid0(VALU_DEP_3) | instskip(NEXT) | instid1(VALU_DEP_3)
	v_cndmask_b32_e64 v16, 0, v16, s0
	v_add_co_u32 v14, s0, s8, v2
	s_delay_alu instid0(VALU_DEP_1) | instskip(SKIP_4) | instid1(VALU_DEP_1)
	v_add_co_ci_u32_e64 v15, s0, s9, v3, s0
	s_and_b32 s0, s15, s1
	s_cmp_eq_u32 s4, 1
	v_cndmask_b32_e64 v18, 2, v17, s0
	v_cmp_nlt_f32_e64 s0, 0x42b17218, v8
	v_cndmask_b32_e64 v8, 0x7f800000, v16, s0
	v_add_co_u32 v16, s0, s10, v0
	s_delay_alu instid0(VALU_DEP_1)
	v_add_co_ci_u32_e64 v17, s0, s11, v1, s0
	global_store_b32 v[14:15], v18, off
	global_store_b32 v[4:5], v8, off
	;; [unrolled: 1-line block ×3, first 2 shown]
	s_cbranch_scc1 .LBB218_8
; %bb.6:
	v_cndmask_b32_e32 v11, 0xff800000, v11, vcc_lo
	v_cmp_ne_u32_e32 vcc_lo, 1, v13
	s_add_i32 s18, s18, s3
	s_add_i32 s1, s4, -1
	v_add3_u32 v9, s18, v10, v9
	v_cndmask_b32_e32 v12, 0xff800000, v12, vcc_lo
	v_add_co_u32 v0, vcc_lo, v0, s10
	v_add_co_ci_u32_e32 v1, vcc_lo, s11, v1, vcc_lo
	v_add_co_u32 v2, vcc_lo, v2, s8
	v_add_co_ci_u32_e32 v3, vcc_lo, s9, v3, vcc_lo
	s_delay_alu instid0(VALU_DEP_4) | instskip(NEXT) | instid1(VALU_DEP_4)
	v_add_co_u32 v0, vcc_lo, v0, 4
	v_add_co_ci_u32_e32 v1, vcc_lo, 0, v1, vcc_lo
	s_delay_alu instid0(VALU_DEP_4) | instskip(NEXT) | instid1(VALU_DEP_4)
	v_add_co_u32 v2, vcc_lo, v2, 4
	v_add_co_ci_u32_e32 v3, vcc_lo, 0, v3, vcc_lo
	v_add_co_u32 v4, vcc_lo, v4, 4
	v_add_co_ci_u32_e32 v5, vcc_lo, 0, v5, vcc_lo
.LBB218_7:                              ; =>This Inner Loop Header: Depth=1
	v_cmp_gt_f32_e32 vcc_lo, v12, v11
	s_add_i32 s1, s1, -1
	v_cndmask_b32_e64 v13, 0, 1, vcc_lo
	v_cndmask_b32_e32 v10, v11, v12, vcc_lo
	v_cndmask_b32_e64 v12, v12, 0xff800000, vcc_lo
	v_cndmask_b32_e32 v11, 0xff800000, v11, vcc_lo
	s_delay_alu instid0(VALU_DEP_4) | instskip(SKIP_2) | instid1(VALU_DEP_2)
	v_cmp_le_i32_e32 vcc_lo, s5, v13
	v_cmp_gt_i32_e64 s0, s6, v13
	v_subrev_nc_u32_e32 v13, s5, v13
	s_and_b32 s0, vcc_lo, s0
	s_delay_alu instid0(SALU_CYCLE_1) | instskip(SKIP_1) | instid1(VALU_DEP_1)
	s_and_b32 vcc_lo, s15, s0
	s_cmp_eq_u32 s1, 0
	v_dual_cndmask_b32 v13, 2, v13 :: v_dual_sub_f32 v10, v10, v7
	global_store_b32 v[2:3], v13, off
	global_store_b32 v[0:1], v9, off
	v_add_nc_u32_e32 v9, s3, v9
	v_add_co_u32 v0, vcc_lo, v0, 4
	v_add_co_ci_u32_e32 v1, vcc_lo, 0, v1, vcc_lo
	v_add_co_u32 v2, vcc_lo, v2, 4
	v_add_co_ci_u32_e32 v3, vcc_lo, 0, v3, vcc_lo
	v_cmp_ngt_f32_e32 vcc_lo, 0xc2ce8ed0, v10
	v_mul_f32_e32 v14, 0x3fb8aa3b, v10
	s_delay_alu instid0(VALU_DEP_1) | instskip(SKIP_1) | instid1(VALU_DEP_1)
	v_fma_f32 v15, 0x3fb8aa3b, v10, -v14
	v_rndne_f32_e32 v16, v14
	v_dual_fmac_f32 v15, 0x32a5705f, v10 :: v_dual_sub_f32 v14, v14, v16
	v_cvt_i32_f32_e32 v16, v16
	s_delay_alu instid0(VALU_DEP_2) | instskip(NEXT) | instid1(VALU_DEP_1)
	v_add_f32_e32 v13, v14, v15
	v_exp_f32_e32 v13, v13
	s_waitcnt_depctr 0xfff
	v_ldexp_f32 v13, v13, v16
	s_delay_alu instid0(VALU_DEP_1) | instskip(SKIP_1) | instid1(VALU_DEP_2)
	v_cndmask_b32_e32 v13, 0, v13, vcc_lo
	v_cmp_nlt_f32_e32 vcc_lo, 0x42b17218, v10
	v_cndmask_b32_e32 v10, 0x7f800000, v13, vcc_lo
	s_delay_alu instid0(VALU_DEP_1)
	v_add_f32_e32 v8, v8, v10
	global_store_b32 v[4:5], v10, off
	v_add_co_u32 v4, vcc_lo, v4, 4
	v_add_co_ci_u32_e32 v5, vcc_lo, 0, v5, vcc_lo
	s_cbranch_scc0 .LBB218_7
.LBB218_8:
	v_cmp_neq_f32_e32 vcc_lo, 0, v8
	s_and_b32 exec_lo, exec_lo, vcc_lo
	s_cbranch_execnz .LBB218_10
	s_branch .LBB218_13
.LBB218_9:
	v_mov_b32_e32 v8, 0
	s_delay_alu instid0(VALU_DEP_1)
	v_cmp_neq_f32_e32 vcc_lo, 0, v8
	s_and_b32 exec_lo, exec_lo, vcc_lo
	s_cbranch_execz .LBB218_13
.LBB218_10:
	s_and_not1_b32 vcc_lo, exec_lo, s14
	s_cbranch_vccnz .LBB218_13
; %bb.11:
	v_div_scale_f32 v1, null, v8, v8, 1.0
	v_div_scale_f32 v3, vcc_lo, 1.0, v8, 1.0
	s_delay_alu instid0(VALU_DEP_2) | instskip(SKIP_2) | instid1(VALU_DEP_1)
	v_rcp_f32_e32 v2, v1
	s_waitcnt_depctr 0xfff
	v_fma_f32 v0, -v1, v2, 1.0
	v_fmac_f32_e32 v2, v0, v2
	v_mul_lo_u32 v0, v6, s7
	s_delay_alu instid0(VALU_DEP_2) | instskip(NEXT) | instid1(VALU_DEP_1)
	v_mul_f32_e32 v4, v3, v2
	v_fma_f32 v5, -v1, v4, v3
	s_delay_alu instid0(VALU_DEP_1) | instskip(NEXT) | instid1(VALU_DEP_1)
	v_fmac_f32_e32 v4, v5, v2
	v_fma_f32 v3, -v1, v4, v3
	v_ashrrev_i32_e32 v1, 31, v0
	s_delay_alu instid0(VALU_DEP_2) | instskip(NEXT) | instid1(VALU_DEP_2)
	v_div_fmas_f32 v2, v3, v2, v4
	v_lshlrev_b64 v[0:1], 2, v[0:1]
	s_delay_alu instid0(VALU_DEP_2) | instskip(NEXT) | instid1(VALU_DEP_2)
	v_div_fixup_f32 v2, v2, v8, 1.0
	v_add_co_u32 v0, vcc_lo, s16, v0
	s_delay_alu instid0(VALU_DEP_3)
	v_add_co_ci_u32_e32 v1, vcc_lo, s17, v1, vcc_lo
.LBB218_12:                             ; =>This Inner Loop Header: Depth=1
	global_load_b32 v3, v[0:1], off
	s_add_i32 s4, s4, -1
	s_delay_alu instid0(SALU_CYCLE_1)
	s_cmp_lg_u32 s4, 0
	s_waitcnt vmcnt(0)
	v_mul_f32_e32 v3, v2, v3
	global_store_b32 v[0:1], v3, off
	v_add_co_u32 v0, vcc_lo, v0, 4
	v_add_co_ci_u32_e32 v1, vcc_lo, 0, v1, vcc_lo
	s_cbranch_scc1 .LBB218_12
.LBB218_13:
	s_nop 0
	s_sendmsg sendmsg(MSG_DEALLOC_VGPRS)
	s_endpgm
	.section	.rodata,"a",@progbits
	.p2align	6, 0x0
	.amdhsa_kernel _ZN4vllm3moe17topkGatingSoftmaxItLi2ELi2ELi8ELi4ELb1ELi0ELNS0_23SharedExpertScoringFuncE0EEEvPKT_PKbPfiPiS9_iiiiii
		.amdhsa_group_segment_fixed_size 0
		.amdhsa_private_segment_fixed_size 0
		.amdhsa_kernarg_size 72
		.amdhsa_user_sgpr_count 15
		.amdhsa_user_sgpr_dispatch_ptr 0
		.amdhsa_user_sgpr_queue_ptr 0
		.amdhsa_user_sgpr_kernarg_segment_ptr 1
		.amdhsa_user_sgpr_dispatch_id 0
		.amdhsa_user_sgpr_private_segment_size 0
		.amdhsa_wavefront_size32 1
		.amdhsa_uses_dynamic_stack 0
		.amdhsa_enable_private_segment 0
		.amdhsa_system_sgpr_workgroup_id_x 1
		.amdhsa_system_sgpr_workgroup_id_y 0
		.amdhsa_system_sgpr_workgroup_id_z 0
		.amdhsa_system_sgpr_workgroup_info 0
		.amdhsa_system_vgpr_workitem_id 1
		.amdhsa_next_free_vgpr 19
		.amdhsa_next_free_sgpr 22
		.amdhsa_reserve_vcc 1
		.amdhsa_float_round_mode_32 0
		.amdhsa_float_round_mode_16_64 0
		.amdhsa_float_denorm_mode_32 3
		.amdhsa_float_denorm_mode_16_64 3
		.amdhsa_dx10_clamp 1
		.amdhsa_ieee_mode 1
		.amdhsa_fp16_overflow 0
		.amdhsa_workgroup_processor_mode 1
		.amdhsa_memory_ordered 1
		.amdhsa_forward_progress 0
		.amdhsa_shared_vgpr_count 0
		.amdhsa_exception_fp_ieee_invalid_op 0
		.amdhsa_exception_fp_denorm_src 0
		.amdhsa_exception_fp_ieee_div_zero 0
		.amdhsa_exception_fp_ieee_overflow 0
		.amdhsa_exception_fp_ieee_underflow 0
		.amdhsa_exception_fp_ieee_inexact 0
		.amdhsa_exception_int_div_zero 0
	.end_amdhsa_kernel
	.section	.text._ZN4vllm3moe17topkGatingSoftmaxItLi2ELi2ELi8ELi4ELb1ELi0ELNS0_23SharedExpertScoringFuncE0EEEvPKT_PKbPfiPiS9_iiiiii,"axG",@progbits,_ZN4vllm3moe17topkGatingSoftmaxItLi2ELi2ELi8ELi4ELb1ELi0ELNS0_23SharedExpertScoringFuncE0EEEvPKT_PKbPfiPiS9_iiiiii,comdat
.Lfunc_end218:
	.size	_ZN4vllm3moe17topkGatingSoftmaxItLi2ELi2ELi8ELi4ELb1ELi0ELNS0_23SharedExpertScoringFuncE0EEEvPKT_PKbPfiPiS9_iiiiii, .Lfunc_end218-_ZN4vllm3moe17topkGatingSoftmaxItLi2ELi2ELi8ELi4ELb1ELi0ELNS0_23SharedExpertScoringFuncE0EEEvPKT_PKbPfiPiS9_iiiiii
                                        ; -- End function
	.section	.AMDGPU.csdata,"",@progbits
; Kernel info:
; codeLenInByte = 1232
; NumSgprs: 24
; NumVgprs: 19
; ScratchSize: 0
; MemoryBound: 0
; FloatMode: 240
; IeeeMode: 1
; LDSByteSize: 0 bytes/workgroup (compile time only)
; SGPRBlocks: 2
; VGPRBlocks: 2
; NumSGPRsForWavesPerEU: 24
; NumVGPRsForWavesPerEU: 19
; Occupancy: 16
; WaveLimiterHint : 0
; COMPUTE_PGM_RSRC2:SCRATCH_EN: 0
; COMPUTE_PGM_RSRC2:USER_SGPR: 15
; COMPUTE_PGM_RSRC2:TRAP_HANDLER: 0
; COMPUTE_PGM_RSRC2:TGID_X_EN: 1
; COMPUTE_PGM_RSRC2:TGID_Y_EN: 0
; COMPUTE_PGM_RSRC2:TGID_Z_EN: 0
; COMPUTE_PGM_RSRC2:TIDIG_COMP_CNT: 1
	.section	.text._ZN4vllm3moe17topkGatingSoftmaxItLi2ELi2ELi8ELi4ELb0ELi0ELNS0_23SharedExpertScoringFuncE0EEEvPKT_PKbPfiPiS9_iiiiii,"axG",@progbits,_ZN4vllm3moe17topkGatingSoftmaxItLi2ELi2ELi8ELi4ELb0ELi0ELNS0_23SharedExpertScoringFuncE0EEEvPKT_PKbPfiPiS9_iiiiii,comdat
	.protected	_ZN4vllm3moe17topkGatingSoftmaxItLi2ELi2ELi8ELi4ELb0ELi0ELNS0_23SharedExpertScoringFuncE0EEEvPKT_PKbPfiPiS9_iiiiii ; -- Begin function _ZN4vllm3moe17topkGatingSoftmaxItLi2ELi2ELi8ELi4ELb0ELi0ELNS0_23SharedExpertScoringFuncE0EEEvPKT_PKbPfiPiS9_iiiiii
	.globl	_ZN4vllm3moe17topkGatingSoftmaxItLi2ELi2ELi8ELi4ELb0ELi0ELNS0_23SharedExpertScoringFuncE0EEEvPKT_PKbPfiPiS9_iiiiii
	.p2align	8
	.type	_ZN4vllm3moe17topkGatingSoftmaxItLi2ELi2ELi8ELi4ELb0ELi0ELNS0_23SharedExpertScoringFuncE0EEEvPKT_PKbPfiPiS9_iiiiii,@function
_ZN4vllm3moe17topkGatingSoftmaxItLi2ELi2ELi8ELi4ELb0ELi0ELNS0_23SharedExpertScoringFuncE0EEEvPKT_PKbPfiPiS9_iiiiii: ; @_ZN4vllm3moe17topkGatingSoftmaxItLi2ELi2ELi8ELi4ELb0ELi0ELNS0_23SharedExpertScoringFuncE0EEEvPKT_PKbPfiPiS9_iiiiii
; %bb.0:
	s_load_b32 s14, s[0:1], 0x18
	v_bfe_u32 v1, v0, 10, 10
	v_and_b32_e32 v12, 0x3ff, v0
	s_lshl_b32 s16, s15, 8
	s_mov_b32 s2, exec_lo
	s_delay_alu instid0(VALU_DEP_2) | instskip(NEXT) | instid1(VALU_DEP_1)
	v_lshlrev_b32_e32 v11, 5, v1
	v_add3_u32 v6, v11, v12, s16
	s_waitcnt lgkmcnt(0)
	s_delay_alu instid0(VALU_DEP_1)
	v_cmpx_gt_i32_e64 s14, v6
	s_cbranch_execz .LBB219_13
; %bb.1:
	s_clause 0x1
	s_load_b128 s[4:7], s[0:1], 0x0
	s_load_b64 s[2:3], s[0:1], 0x10
	s_waitcnt lgkmcnt(0)
	s_cmp_eq_u64 s[6:7], 0
	s_cbranch_scc1 .LBB219_3
; %bb.2:
	v_ashrrev_i32_e32 v1, 31, v6
	v_add_co_u32 v0, vcc_lo, s6, v6
	s_delay_alu instid0(VALU_DEP_2) | instskip(SKIP_3) | instid1(VALU_DEP_1)
	v_add_co_ci_u32_e32 v1, vcc_lo, s7, v1, vcc_lo
	global_load_u8 v0, v[0:1], off
	s_waitcnt vmcnt(0)
	v_and_b32_e32 v0, 1, v0
	v_cmp_eq_u32_e32 vcc_lo, 1, v0
	s_xor_b32 s6, vcc_lo, -1
	s_delay_alu instid0(SALU_CYCLE_1)
	s_or_not1_b32 s15, s6, exec_lo
	s_branch .LBB219_4
.LBB219_3:
	s_mov_b32 s15, -1
.LBB219_4:
	s_load_b64 s[12:13], s[0:1], 0x40
	s_waitcnt lgkmcnt(0)
	v_mul_lo_u32 v0, v6, s13
	s_delay_alu instid0(VALU_DEP_1) | instskip(NEXT) | instid1(VALU_DEP_1)
	v_ashrrev_i32_e32 v1, 31, v0
	v_lshlrev_b64 v[0:1], 1, v[0:1]
	s_delay_alu instid0(VALU_DEP_1) | instskip(NEXT) | instid1(VALU_DEP_2)
	v_add_co_u32 v0, vcc_lo, s4, v0
	v_add_co_ci_u32_e32 v1, vcc_lo, s5, v1, vcc_lo
	s_load_b128 s[4:7], s[0:1], 0x30
	global_load_b32 v0, v[0:1], off
	s_waitcnt lgkmcnt(0)
	s_cmp_gt_i32 s4, 0
	s_cselect_b32 s13, -1, 0
	s_cmp_lt_i32 s4, 1
	s_waitcnt vmcnt(0)
	v_lshrrev_b32_e32 v1, 16, v0
	v_and_b32_e32 v0, 0xffff, v0
	s_delay_alu instid0(VALU_DEP_2) | instskip(NEXT) | instid1(VALU_DEP_2)
	v_cvt_f32_u32_e32 v7, v1
	v_cvt_f32_u32_e32 v9, v0
	s_delay_alu instid0(VALU_DEP_1)
	v_cmp_lt_f32_e32 vcc_lo, v9, v7
	v_cndmask_b32_e32 v8, v9, v7, vcc_lo
	s_cbranch_scc1 .LBB219_8
; %bb.5:
	s_delay_alu instid0(VALU_DEP_1) | instskip(SKIP_3) | instid1(VALU_DEP_3)
	v_dual_sub_f32 v10, v8, v8 :: v_dual_cndmask_b32 v9, 0xff800000, v9
	v_mul_lo_u32 v0, v6, s7
	s_load_b128 s[8:11], s[0:1], 0x20
	v_mul_lo_u32 v2, v6, s12
	v_mul_f32_e32 v1, 0x3fb8aa3b, v10
	v_cndmask_b32_e64 v17, 0, 1, vcc_lo
	v_mul_lo_u32 v4, v6, s4
	s_delay_alu instid0(VALU_DEP_3) | instskip(SKIP_1) | instid1(VALU_DEP_4)
	v_rndne_f32_e32 v15, v1
	v_fma_f32 v3, 0x3fb8aa3b, v10, -v1
	v_cmp_le_i32_e32 vcc_lo, s5, v17
	v_cmp_gt_i32_e64 s0, s6, v17
	v_subrev_nc_u32_e32 v16, s5, v17
	v_sub_f32_e32 v5, v1, v15
	v_fmac_f32_e32 v3, 0x32a5705f, v10
	v_ashrrev_i32_e32 v1, 31, v0
	s_and_b32 s0, vcc_lo, s0
	v_cvt_i32_f32_e32 v15, v15
	s_and_b32 vcc_lo, s15, s0
	v_add_f32_e32 v18, v5, v3
	v_ashrrev_i32_e32 v3, 31, v2
	v_lshlrev_b64 v[13:14], 2, v[0:1]
	v_ashrrev_i32_e32 v5, 31, v4
	v_cndmask_b32_e32 v19, 2, v16, vcc_lo
	v_exp_f32_e32 v18, v18
	v_lshlrev_b64 v[0:1], 2, v[2:3]
	s_cmp_eq_u32 s4, 1
	v_lshlrev_b64 v[2:3], 2, v[4:5]
	v_add_co_u32 v4, vcc_lo, s2, v13
	v_add_co_ci_u32_e32 v5, vcc_lo, s3, v14, vcc_lo
	s_waitcnt lgkmcnt(0)
	v_add_co_u32 v13, vcc_lo, s8, v0
	v_add_co_ci_u32_e32 v14, vcc_lo, s9, v1, vcc_lo
	s_delay_alu instid0(TRANS32_DEP_1) | instskip(SKIP_1) | instid1(VALU_DEP_2)
	v_ldexp_f32 v15, v18, v15
	v_cmp_ngt_f32_e32 vcc_lo, 0xc2ce8ed0, v10
	v_cndmask_b32_e32 v18, 0, v15, vcc_lo
	v_add_co_u32 v15, vcc_lo, s10, v2
	v_add_co_ci_u32_e32 v16, vcc_lo, s11, v3, vcc_lo
	v_cmp_nlt_f32_e32 vcc_lo, 0x42b17218, v10
	s_delay_alu instid0(VALU_DEP_4)
	v_cndmask_b32_e32 v10, 0x7f800000, v18, vcc_lo
	v_cmp_ne_u32_e32 vcc_lo, 1, v17
	global_store_b32 v[13:14], v19, off
	global_store_b32 v[4:5], v10, off
	global_store_b32 v[15:16], v6, off
	v_cndmask_b32_e32 v7, 0xff800000, v7, vcc_lo
	s_cbranch_scc1 .LBB219_9
; %bb.6:
	v_add_co_u32 v2, vcc_lo, v2, s10
	v_add_co_ci_u32_e32 v3, vcc_lo, s11, v3, vcc_lo
	v_add_co_u32 v13, vcc_lo, v0, s8
	v_add_co_ci_u32_e32 v14, vcc_lo, s9, v1, vcc_lo
	s_delay_alu instid0(VALU_DEP_4) | instskip(NEXT) | instid1(VALU_DEP_4)
	v_add_co_u32 v0, vcc_lo, v2, 4
	v_add_co_ci_u32_e32 v1, vcc_lo, 0, v3, vcc_lo
	s_delay_alu instid0(VALU_DEP_4) | instskip(NEXT) | instid1(VALU_DEP_4)
	v_add_co_u32 v2, vcc_lo, v13, 4
	v_add_co_ci_u32_e32 v3, vcc_lo, 0, v14, vcc_lo
	s_add_i32 s16, s16, s14
	v_add_co_u32 v4, vcc_lo, v4, 4
	v_add_co_ci_u32_e32 v5, vcc_lo, 0, v5, vcc_lo
	v_add3_u32 v11, s16, v12, v11
	s_add_i32 s1, s4, -1
.LBB219_7:                              ; =>This Inner Loop Header: Depth=1
	v_cmp_gt_f32_e32 vcc_lo, v7, v9
	s_add_i32 s1, s1, -1
	v_cndmask_b32_e64 v13, 0, 1, vcc_lo
	v_cndmask_b32_e32 v12, v9, v7, vcc_lo
	v_cndmask_b32_e64 v7, v7, 0xff800000, vcc_lo
	v_cndmask_b32_e32 v9, 0xff800000, v9, vcc_lo
	s_delay_alu instid0(VALU_DEP_4) | instskip(SKIP_2) | instid1(VALU_DEP_2)
	v_cmp_le_i32_e32 vcc_lo, s5, v13
	v_cmp_gt_i32_e64 s0, s6, v13
	v_subrev_nc_u32_e32 v13, s5, v13
	s_and_b32 s0, vcc_lo, s0
	s_delay_alu instid0(SALU_CYCLE_1) | instskip(SKIP_1) | instid1(VALU_DEP_1)
	s_and_b32 vcc_lo, s15, s0
	s_cmp_eq_u32 s1, 0
	v_dual_cndmask_b32 v13, 2, v13 :: v_dual_sub_f32 v12, v12, v8
	global_store_b32 v[2:3], v13, off
	global_store_b32 v[0:1], v11, off
	v_dual_mul_f32 v14, 0x3fb8aa3b, v12 :: v_dual_add_nc_u32 v11, s14, v11
	v_add_co_u32 v0, vcc_lo, v0, 4
	v_add_co_ci_u32_e32 v1, vcc_lo, 0, v1, vcc_lo
	s_delay_alu instid0(VALU_DEP_3) | instskip(SKIP_3) | instid1(VALU_DEP_4)
	v_fma_f32 v15, 0x3fb8aa3b, v12, -v14
	v_rndne_f32_e32 v16, v14
	v_add_co_u32 v2, vcc_lo, v2, 4
	v_add_co_ci_u32_e32 v3, vcc_lo, 0, v3, vcc_lo
	v_fmac_f32_e32 v15, 0x32a5705f, v12
	s_delay_alu instid0(VALU_DEP_4) | instskip(SKIP_1) | instid1(VALU_DEP_2)
	v_sub_f32_e32 v14, v14, v16
	v_cvt_i32_f32_e32 v16, v16
	v_add_f32_e32 v13, v14, v15
	v_cmp_ngt_f32_e32 vcc_lo, 0xc2ce8ed0, v12
	s_delay_alu instid0(VALU_DEP_2) | instskip(SKIP_2) | instid1(VALU_DEP_1)
	v_exp_f32_e32 v13, v13
	s_waitcnt_depctr 0xfff
	v_ldexp_f32 v13, v13, v16
	v_cndmask_b32_e32 v13, 0, v13, vcc_lo
	v_cmp_nlt_f32_e32 vcc_lo, 0x42b17218, v12
	s_delay_alu instid0(VALU_DEP_2) | instskip(NEXT) | instid1(VALU_DEP_1)
	v_cndmask_b32_e32 v12, 0x7f800000, v13, vcc_lo
	v_add_f32_e32 v10, v10, v12
	global_store_b32 v[4:5], v12, off
	v_add_co_u32 v4, vcc_lo, v4, 4
	v_add_co_ci_u32_e32 v5, vcc_lo, 0, v5, vcc_lo
	s_cbranch_scc0 .LBB219_7
	s_branch .LBB219_9
.LBB219_8:
	v_mov_b32_e32 v10, 0
.LBB219_9:
	s_delay_alu instid0(VALU_DEP_1) | instskip(NEXT) | instid1(VALU_DEP_1)
	v_sub_f32_e32 v1, v7, v8
	v_dual_sub_f32 v0, v9, v8 :: v_dual_mul_f32 v3, 0x3fb8aa3b, v1
	s_delay_alu instid0(VALU_DEP_1) | instskip(SKIP_1) | instid1(VALU_DEP_3)
	v_mul_f32_e32 v2, 0x3fb8aa3b, v0
	v_cmp_ngt_f32_e32 vcc_lo, 0xc2ce8ed0, v0
	v_rndne_f32_e32 v8, v3
	s_delay_alu instid0(VALU_DEP_3) | instskip(SKIP_1) | instid1(VALU_DEP_1)
	v_fma_f32 v4, 0x3fb8aa3b, v0, -v2
	v_rndne_f32_e32 v5, v2
	v_sub_f32_e32 v2, v2, v5
	v_fma_f32 v7, 0x3fb8aa3b, v1, -v3
	s_delay_alu instid0(VALU_DEP_1) | instskip(NEXT) | instid1(VALU_DEP_1)
	v_dual_fmac_f32 v4, 0x32a5705f, v0 :: v_dual_fmac_f32 v7, 0x32a5705f, v1
	v_add_f32_e32 v2, v2, v4
	v_cvt_i32_f32_e32 v4, v5
	v_cvt_i32_f32_e32 v5, v8
	s_delay_alu instid0(VALU_DEP_3) | instskip(SKIP_2) | instid1(VALU_DEP_1)
	v_exp_f32_e32 v2, v2
	s_waitcnt_depctr 0xfff
	v_ldexp_f32 v2, v2, v4
	v_dual_sub_f32 v3, v3, v8 :: v_dual_cndmask_b32 v2, 0, v2
	s_delay_alu instid0(VALU_DEP_1) | instskip(SKIP_1) | instid1(VALU_DEP_2)
	v_add_f32_e32 v3, v3, v7
	v_cmp_ngt_f32_e32 vcc_lo, 0xc2ce8ed0, v1
	v_exp_f32_e32 v3, v3
	s_waitcnt_depctr 0xfff
	v_ldexp_f32 v3, v3, v5
	s_delay_alu instid0(VALU_DEP_1) | instskip(SKIP_3) | instid1(VALU_DEP_4)
	v_cndmask_b32_e32 v3, 0, v3, vcc_lo
	v_cmp_nlt_f32_e32 vcc_lo, 0x42b17218, v0
	v_cndmask_b32_e32 v0, 0x7f800000, v2, vcc_lo
	v_cmp_nlt_f32_e32 vcc_lo, 0x42b17218, v1
	v_cndmask_b32_e32 v1, 0x7f800000, v3, vcc_lo
	s_delay_alu instid0(VALU_DEP_1) | instskip(NEXT) | instid1(VALU_DEP_1)
	v_add_f32_e32 v0, v0, v1
	v_add_f32_e32 v0, v10, v0
	s_delay_alu instid0(VALU_DEP_1)
	v_cmp_neq_f32_e32 vcc_lo, 0, v0
	s_and_b32 exec_lo, exec_lo, vcc_lo
	s_cbranch_execz .LBB219_13
; %bb.10:
	s_and_not1_b32 vcc_lo, exec_lo, s13
	s_cbranch_vccnz .LBB219_13
; %bb.11:
	v_div_scale_f32 v2, null, v0, v0, 1.0
	v_div_scale_f32 v4, vcc_lo, 1.0, v0, 1.0
	s_delay_alu instid0(VALU_DEP_2) | instskip(SKIP_2) | instid1(VALU_DEP_1)
	v_rcp_f32_e32 v3, v2
	s_waitcnt_depctr 0xfff
	v_fma_f32 v1, -v2, v3, 1.0
	v_fmac_f32_e32 v3, v1, v3
	v_mul_lo_u32 v1, v6, s7
	s_delay_alu instid0(VALU_DEP_2) | instskip(NEXT) | instid1(VALU_DEP_1)
	v_mul_f32_e32 v5, v4, v3
	v_fma_f32 v7, -v2, v5, v4
	s_delay_alu instid0(VALU_DEP_1) | instskip(NEXT) | instid1(VALU_DEP_1)
	v_fmac_f32_e32 v5, v7, v3
	v_fma_f32 v4, -v2, v5, v4
	v_ashrrev_i32_e32 v2, 31, v1
	s_delay_alu instid0(VALU_DEP_2) | instskip(NEXT) | instid1(VALU_DEP_2)
	v_div_fmas_f32 v5, v4, v3, v5
	v_lshlrev_b64 v[3:4], 2, v[1:2]
	s_delay_alu instid0(VALU_DEP_2) | instskip(NEXT) | instid1(VALU_DEP_2)
	v_div_fixup_f32 v2, v5, v0, 1.0
	v_add_co_u32 v0, vcc_lo, s2, v3
	s_delay_alu instid0(VALU_DEP_3)
	v_add_co_ci_u32_e32 v1, vcc_lo, s3, v4, vcc_lo
.LBB219_12:                             ; =>This Inner Loop Header: Depth=1
	global_load_b32 v3, v[0:1], off
	s_add_i32 s4, s4, -1
	s_delay_alu instid0(SALU_CYCLE_1)
	s_cmp_lg_u32 s4, 0
	s_waitcnt vmcnt(0)
	v_mul_f32_e32 v3, v2, v3
	global_store_b32 v[0:1], v3, off
	v_add_co_u32 v0, vcc_lo, v0, 4
	v_add_co_ci_u32_e32 v1, vcc_lo, 0, v1, vcc_lo
	s_cbranch_scc1 .LBB219_12
.LBB219_13:
	s_nop 0
	s_sendmsg sendmsg(MSG_DEALLOC_VGPRS)
	s_endpgm
	.section	.rodata,"a",@progbits
	.p2align	6, 0x0
	.amdhsa_kernel _ZN4vllm3moe17topkGatingSoftmaxItLi2ELi2ELi8ELi4ELb0ELi0ELNS0_23SharedExpertScoringFuncE0EEEvPKT_PKbPfiPiS9_iiiiii
		.amdhsa_group_segment_fixed_size 0
		.amdhsa_private_segment_fixed_size 0
		.amdhsa_kernarg_size 72
		.amdhsa_user_sgpr_count 15
		.amdhsa_user_sgpr_dispatch_ptr 0
		.amdhsa_user_sgpr_queue_ptr 0
		.amdhsa_user_sgpr_kernarg_segment_ptr 1
		.amdhsa_user_sgpr_dispatch_id 0
		.amdhsa_user_sgpr_private_segment_size 0
		.amdhsa_wavefront_size32 1
		.amdhsa_uses_dynamic_stack 0
		.amdhsa_enable_private_segment 0
		.amdhsa_system_sgpr_workgroup_id_x 1
		.amdhsa_system_sgpr_workgroup_id_y 0
		.amdhsa_system_sgpr_workgroup_id_z 0
		.amdhsa_system_sgpr_workgroup_info 0
		.amdhsa_system_vgpr_workitem_id 1
		.amdhsa_next_free_vgpr 20
		.amdhsa_next_free_sgpr 17
		.amdhsa_reserve_vcc 1
		.amdhsa_float_round_mode_32 0
		.amdhsa_float_round_mode_16_64 0
		.amdhsa_float_denorm_mode_32 3
		.amdhsa_float_denorm_mode_16_64 3
		.amdhsa_dx10_clamp 1
		.amdhsa_ieee_mode 1
		.amdhsa_fp16_overflow 0
		.amdhsa_workgroup_processor_mode 1
		.amdhsa_memory_ordered 1
		.amdhsa_forward_progress 0
		.amdhsa_shared_vgpr_count 0
		.amdhsa_exception_fp_ieee_invalid_op 0
		.amdhsa_exception_fp_denorm_src 0
		.amdhsa_exception_fp_ieee_div_zero 0
		.amdhsa_exception_fp_ieee_overflow 0
		.amdhsa_exception_fp_ieee_underflow 0
		.amdhsa_exception_fp_ieee_inexact 0
		.amdhsa_exception_int_div_zero 0
	.end_amdhsa_kernel
	.section	.text._ZN4vllm3moe17topkGatingSoftmaxItLi2ELi2ELi8ELi4ELb0ELi0ELNS0_23SharedExpertScoringFuncE0EEEvPKT_PKbPfiPiS9_iiiiii,"axG",@progbits,_ZN4vllm3moe17topkGatingSoftmaxItLi2ELi2ELi8ELi4ELb0ELi0ELNS0_23SharedExpertScoringFuncE0EEEvPKT_PKbPfiPiS9_iiiiii,comdat
.Lfunc_end219:
	.size	_ZN4vllm3moe17topkGatingSoftmaxItLi2ELi2ELi8ELi4ELb0ELi0ELNS0_23SharedExpertScoringFuncE0EEEvPKT_PKbPfiPiS9_iiiiii, .Lfunc_end219-_ZN4vllm3moe17topkGatingSoftmaxItLi2ELi2ELi8ELi4ELb0ELi0ELNS0_23SharedExpertScoringFuncE0EEEvPKT_PKbPfiPiS9_iiiiii
                                        ; -- End function
	.section	.AMDGPU.csdata,"",@progbits
; Kernel info:
; codeLenInByte = 1380
; NumSgprs: 19
; NumVgprs: 20
; ScratchSize: 0
; MemoryBound: 0
; FloatMode: 240
; IeeeMode: 1
; LDSByteSize: 0 bytes/workgroup (compile time only)
; SGPRBlocks: 2
; VGPRBlocks: 2
; NumSGPRsForWavesPerEU: 19
; NumVGPRsForWavesPerEU: 20
; Occupancy: 16
; WaveLimiterHint : 0
; COMPUTE_PGM_RSRC2:SCRATCH_EN: 0
; COMPUTE_PGM_RSRC2:USER_SGPR: 15
; COMPUTE_PGM_RSRC2:TRAP_HANDLER: 0
; COMPUTE_PGM_RSRC2:TGID_X_EN: 1
; COMPUTE_PGM_RSRC2:TGID_Y_EN: 0
; COMPUTE_PGM_RSRC2:TGID_Z_EN: 0
; COMPUTE_PGM_RSRC2:TIDIG_COMP_CNT: 1
	.section	.text._ZN4vllm3moe17topkGatingSoftmaxItLi2ELi2ELi8ELi4ELb1ELi1ELNS0_23SharedExpertScoringFuncE1EEEvPKT_PKbPfiPiS9_iiiiii,"axG",@progbits,_ZN4vllm3moe17topkGatingSoftmaxItLi2ELi2ELi8ELi4ELb1ELi1ELNS0_23SharedExpertScoringFuncE1EEEvPKT_PKbPfiPiS9_iiiiii,comdat
	.protected	_ZN4vllm3moe17topkGatingSoftmaxItLi2ELi2ELi8ELi4ELb1ELi1ELNS0_23SharedExpertScoringFuncE1EEEvPKT_PKbPfiPiS9_iiiiii ; -- Begin function _ZN4vllm3moe17topkGatingSoftmaxItLi2ELi2ELi8ELi4ELb1ELi1ELNS0_23SharedExpertScoringFuncE1EEEvPKT_PKbPfiPiS9_iiiiii
	.globl	_ZN4vllm3moe17topkGatingSoftmaxItLi2ELi2ELi8ELi4ELb1ELi1ELNS0_23SharedExpertScoringFuncE1EEEvPKT_PKbPfiPiS9_iiiiii
	.p2align	8
	.type	_ZN4vllm3moe17topkGatingSoftmaxItLi2ELi2ELi8ELi4ELb1ELi1ELNS0_23SharedExpertScoringFuncE1EEEvPKT_PKbPfiPiS9_iiiiii,@function
_ZN4vllm3moe17topkGatingSoftmaxItLi2ELi2ELi8ELi4ELb1ELi1ELNS0_23SharedExpertScoringFuncE1EEEvPKT_PKbPfiPiS9_iiiiii: ; @_ZN4vllm3moe17topkGatingSoftmaxItLi2ELi2ELi8ELi4ELb1ELi1ELNS0_23SharedExpertScoringFuncE1EEEvPKT_PKbPfiPiS9_iiiiii
; %bb.0:
	s_load_b32 s12, s[0:1], 0x18
	v_bfe_u32 v1, v0, 10, 10
	v_and_b32_e32 v8, 0x3ff, v0
	s_lshl_b32 s14, s15, 8
	s_mov_b32 s2, exec_lo
	s_delay_alu instid0(VALU_DEP_2) | instskip(NEXT) | instid1(VALU_DEP_1)
	v_lshlrev_b32_e32 v7, 5, v1
	v_add3_u32 v10, v7, v8, s14
	s_waitcnt lgkmcnt(0)
	s_delay_alu instid0(VALU_DEP_1)
	v_cmpx_gt_i32_e64 s12, v10
	s_cbranch_execz .LBB220_12
; %bb.1:
	s_clause 0x1
	s_load_b128 s[4:7], s[0:1], 0x0
	s_load_b64 s[2:3], s[0:1], 0x10
	s_waitcnt lgkmcnt(0)
	s_cmp_eq_u64 s[6:7], 0
	s_cbranch_scc1 .LBB220_3
; %bb.2:
	v_ashrrev_i32_e32 v1, 31, v10
	v_add_co_u32 v0, vcc_lo, s6, v10
	s_delay_alu instid0(VALU_DEP_2) | instskip(SKIP_3) | instid1(VALU_DEP_1)
	v_add_co_ci_u32_e32 v1, vcc_lo, s7, v1, vcc_lo
	global_load_u8 v0, v[0:1], off
	s_waitcnt vmcnt(0)
	v_and_b32_e32 v0, 1, v0
	v_cmp_eq_u32_e32 vcc_lo, 1, v0
	s_xor_b32 s6, vcc_lo, -1
	s_delay_alu instid0(SALU_CYCLE_1)
	s_or_not1_b32 s13, s6, exec_lo
	s_branch .LBB220_4
.LBB220_3:
	s_mov_b32 s13, -1
.LBB220_4:
	s_load_b64 s[8:9], s[0:1], 0x40
	s_waitcnt lgkmcnt(0)
	v_mul_lo_u32 v0, v10, s9
	s_delay_alu instid0(VALU_DEP_1) | instskip(NEXT) | instid1(VALU_DEP_1)
	v_ashrrev_i32_e32 v1, 31, v0
	v_lshlrev_b64 v[0:1], 1, v[0:1]
	s_delay_alu instid0(VALU_DEP_1) | instskip(NEXT) | instid1(VALU_DEP_2)
	v_add_co_u32 v0, vcc_lo, s4, v0
	v_add_co_ci_u32_e32 v1, vcc_lo, s5, v1, vcc_lo
	s_load_b128 s[4:7], s[0:1], 0x30
	s_clause 0x1
	global_load_u16 v2, v[0:1], off offset:4
	global_load_b32 v1, v[0:1], off
	s_waitcnt lgkmcnt(0)
	s_cmp_gt_i32 s4, 0
	s_waitcnt vmcnt(1)
	v_and_b32_e32 v0, 0xffff, v2
	s_delay_alu instid0(VALU_DEP_1) | instskip(NEXT) | instid1(VALU_DEP_1)
	v_cvt_f32_u32_e32 v0, v0
	v_mul_f32_e32 v2, 0xbfb8aa3b, v0
	v_cmp_nlt_f32_e32 vcc_lo, 0x42ce8ed0, v0
	s_delay_alu instid0(VALU_DEP_2) | instskip(SKIP_1) | instid1(VALU_DEP_1)
	v_fma_f32 v3, 0xbfb8aa3b, v0, -v2
	v_rndne_f32_e32 v4, v2
	v_dual_fmamk_f32 v3, v0, 0xb2a5705f, v3 :: v_dual_sub_f32 v2, v2, v4
	s_delay_alu instid0(VALU_DEP_1) | instskip(SKIP_1) | instid1(VALU_DEP_2)
	v_add_f32_e32 v2, v2, v3
	v_cvt_i32_f32_e32 v3, v4
	v_exp_f32_e32 v2, v2
	s_waitcnt_depctr 0xfff
	v_ldexp_f32 v2, v2, v3
	s_delay_alu instid0(VALU_DEP_1) | instskip(SKIP_1) | instid1(VALU_DEP_2)
	v_cndmask_b32_e32 v2, 0, v2, vcc_lo
	v_cmp_ngt_f32_e32 vcc_lo, 0xc2b17218, v0
	v_cndmask_b32_e32 v0, 0x7f800000, v2, vcc_lo
	s_delay_alu instid0(VALU_DEP_1) | instskip(NEXT) | instid1(VALU_DEP_1)
	v_add_f32_e32 v4, 1.0, v0
	v_div_scale_f32 v5, null, v4, v4, 1.0
	v_div_scale_f32 v9, vcc_lo, 1.0, v4, 1.0
	s_delay_alu instid0(VALU_DEP_2) | instskip(SKIP_2) | instid1(VALU_DEP_1)
	v_rcp_f32_e32 v6, v5
	s_waitcnt_depctr 0xfff
	v_fma_f32 v0, -v5, v6, 1.0
	v_fmac_f32_e32 v6, v0, v6
	v_mul_lo_u32 v0, v10, s7
	s_cselect_b32 s7, -1, 0
	s_cmp_lt_i32 s4, 1
	s_delay_alu instid0(VALU_DEP_1) | instskip(NEXT) | instid1(VALU_DEP_1)
	v_dual_mul_f32 v11, v9, v6 :: v_dual_add_nc_u32 v2, s4, v0
	v_fma_f32 v3, -v5, v11, v9
	s_delay_alu instid0(VALU_DEP_1) | instskip(NEXT) | instid1(VALU_DEP_3)
	v_fmac_f32_e32 v11, v3, v6
	v_ashrrev_i32_e32 v3, 31, v2
	s_delay_alu instid0(VALU_DEP_2) | instskip(NEXT) | instid1(VALU_DEP_2)
	v_fma_f32 v5, -v5, v11, v9
	v_lshlrev_b64 v[2:3], 2, v[2:3]
	s_delay_alu instid0(VALU_DEP_2) | instskip(SKIP_1) | instid1(VALU_DEP_3)
	v_div_fmas_f32 v5, v5, v6, v11
	v_mov_b32_e32 v11, 0
	v_add_co_u32 v2, vcc_lo, s2, v2
	s_delay_alu instid0(VALU_DEP_4) | instskip(NEXT) | instid1(VALU_DEP_4)
	v_add_co_ci_u32_e32 v3, vcc_lo, s3, v3, vcc_lo
	v_div_fixup_f32 v4, v5, v4, 1.0
	global_store_b32 v[2:3], v4, off
	s_cbranch_scc1 .LBB220_8
; %bb.5:
	s_waitcnt vmcnt(0)
	v_lshrrev_b32_e32 v2, 16, v1
	v_and_b32_e32 v1, 0xffff, v1
	v_mul_lo_u32 v15, v10, s4
	s_delay_alu instid0(VALU_DEP_3) | instskip(NEXT) | instid1(VALU_DEP_3)
	v_cvt_f32_u32_e32 v12, v2
	v_cvt_f32_u32_e32 v13, v1
	v_mul_lo_u32 v2, v10, s8
	s_load_b128 s[8:11], s[0:1], 0x20
	s_delay_alu instid0(VALU_DEP_4) | instskip(NEXT) | instid1(VALU_DEP_3)
	v_ashrrev_i32_e32 v16, 31, v15
	v_cmp_lt_f32_e32 vcc_lo, v13, v12
	v_cndmask_b32_e32 v9, v13, v12, vcc_lo
	s_delay_alu instid0(VALU_DEP_1) | instskip(NEXT) | instid1(VALU_DEP_1)
	v_sub_f32_e32 v11, v9, v9
	v_mul_f32_e32 v1, 0x3fb8aa3b, v11
	s_delay_alu instid0(VALU_DEP_1) | instskip(SKIP_1) | instid1(VALU_DEP_2)
	v_fma_f32 v3, 0x3fb8aa3b, v11, -v1
	v_rndne_f32_e32 v4, v1
	v_fmac_f32_e32 v3, 0x32a5705f, v11
	s_delay_alu instid0(VALU_DEP_2) | instskip(SKIP_2) | instid1(VALU_DEP_3)
	v_sub_f32_e32 v5, v1, v4
	v_ashrrev_i32_e32 v1, 31, v0
	v_cvt_i32_f32_e32 v4, v4
	v_add_f32_e32 v14, v5, v3
	s_delay_alu instid0(VALU_DEP_3) | instskip(SKIP_1) | instid1(VALU_DEP_3)
	v_lshlrev_b64 v[5:6], 2, v[0:1]
	v_ashrrev_i32_e32 v3, 31, v2
	v_exp_f32_e32 v17, v14
	v_cndmask_b32_e64 v14, 0, 1, vcc_lo
	s_delay_alu instid0(VALU_DEP_3) | instskip(NEXT) | instid1(VALU_DEP_1)
	v_add_co_u32 v5, s0, s2, v5
	v_add_co_ci_u32_e64 v6, s0, s3, v6, s0
	s_delay_alu instid0(VALU_DEP_3) | instskip(SKIP_3) | instid1(TRANS32_DEP_1)
	v_cmp_le_i32_e64 s0, s5, v14
	v_cmp_gt_i32_e64 s1, s6, v14
	v_lshlrev_b64 v[1:2], 2, v[2:3]
	v_subrev_nc_u32_e32 v18, s5, v14
	v_ldexp_f32 v17, v17, v4
	v_lshlrev_b64 v[3:4], 2, v[15:16]
	s_and_b32 s1, s0, s1
	v_cmp_ngt_f32_e64 s0, 0xc2ce8ed0, v11
	s_delay_alu instid0(VALU_DEP_1) | instskip(SKIP_2) | instid1(VALU_DEP_1)
	v_cndmask_b32_e64 v17, 0, v17, s0
	s_waitcnt lgkmcnt(0)
	v_add_co_u32 v15, s0, s8, v1
	v_add_co_ci_u32_e64 v16, s0, s9, v2, s0
	s_and_b32 s0, s13, s1
	s_cmp_eq_u32 s4, 1
	v_cndmask_b32_e64 v19, 2, v18, s0
	v_cmp_nlt_f32_e64 s0, 0x42b17218, v11
	s_delay_alu instid0(VALU_DEP_1) | instskip(SKIP_1) | instid1(VALU_DEP_1)
	v_cndmask_b32_e64 v11, 0x7f800000, v17, s0
	v_add_co_u32 v17, s0, s10, v3
	v_add_co_ci_u32_e64 v18, s0, s11, v4, s0
	global_store_b32 v[15:16], v19, off
	global_store_b32 v[5:6], v11, off
	;; [unrolled: 1-line block ×3, first 2 shown]
	s_cbranch_scc1 .LBB220_8
; %bb.6:
	v_cndmask_b32_e32 v10, 0xff800000, v13, vcc_lo
	v_cmp_ne_u32_e32 vcc_lo, 1, v14
	s_add_i32 s14, s14, s12
	s_add_i32 s1, s4, -1
	v_add3_u32 v7, s14, v8, v7
	v_cndmask_b32_e32 v12, 0xff800000, v12, vcc_lo
	v_add_co_u32 v3, vcc_lo, v3, s10
	v_add_co_ci_u32_e32 v4, vcc_lo, s11, v4, vcc_lo
	v_add_co_u32 v13, vcc_lo, v1, s8
	v_add_co_ci_u32_e32 v14, vcc_lo, s9, v2, vcc_lo
	s_delay_alu instid0(VALU_DEP_4) | instskip(NEXT) | instid1(VALU_DEP_4)
	v_add_co_u32 v1, vcc_lo, v3, 4
	v_add_co_ci_u32_e32 v2, vcc_lo, 0, v4, vcc_lo
	s_delay_alu instid0(VALU_DEP_4) | instskip(NEXT) | instid1(VALU_DEP_4)
	v_add_co_u32 v3, vcc_lo, v13, 4
	v_add_co_ci_u32_e32 v4, vcc_lo, 0, v14, vcc_lo
	v_add_co_u32 v5, vcc_lo, v5, 4
	v_add_co_ci_u32_e32 v6, vcc_lo, 0, v6, vcc_lo
.LBB220_7:                              ; =>This Inner Loop Header: Depth=1
	v_cmp_gt_f32_e32 vcc_lo, v12, v10
	s_add_i32 s1, s1, -1
	v_cndmask_b32_e64 v13, 0, 1, vcc_lo
	v_cndmask_b32_e32 v8, v10, v12, vcc_lo
	v_cndmask_b32_e64 v12, v12, 0xff800000, vcc_lo
	v_cndmask_b32_e32 v10, 0xff800000, v10, vcc_lo
	s_delay_alu instid0(VALU_DEP_4) | instskip(SKIP_2) | instid1(VALU_DEP_2)
	v_cmp_le_i32_e32 vcc_lo, s5, v13
	v_cmp_gt_i32_e64 s0, s6, v13
	v_subrev_nc_u32_e32 v13, s5, v13
	s_and_b32 s0, vcc_lo, s0
	s_delay_alu instid0(SALU_CYCLE_1) | instskip(SKIP_1) | instid1(VALU_DEP_1)
	s_and_b32 vcc_lo, s13, s0
	s_cmp_eq_u32 s1, 0
	v_cndmask_b32_e32 v13, 2, v13, vcc_lo
	v_sub_f32_e32 v8, v8, v9
	global_store_b32 v[3:4], v13, off
	global_store_b32 v[1:2], v7, off
	v_dual_mul_f32 v14, 0x3fb8aa3b, v8 :: v_dual_add_nc_u32 v7, s12, v7
	v_add_co_u32 v1, vcc_lo, v1, 4
	v_add_co_ci_u32_e32 v2, vcc_lo, 0, v2, vcc_lo
	s_delay_alu instid0(VALU_DEP_3) | instskip(SKIP_3) | instid1(VALU_DEP_4)
	v_fma_f32 v15, 0x3fb8aa3b, v8, -v14
	v_rndne_f32_e32 v16, v14
	v_add_co_u32 v3, vcc_lo, v3, 4
	v_add_co_ci_u32_e32 v4, vcc_lo, 0, v4, vcc_lo
	v_fmac_f32_e32 v15, 0x32a5705f, v8
	s_delay_alu instid0(VALU_DEP_4) | instskip(SKIP_1) | instid1(VALU_DEP_2)
	v_sub_f32_e32 v14, v14, v16
	v_cvt_i32_f32_e32 v16, v16
	v_add_f32_e32 v13, v14, v15
	v_cmp_ngt_f32_e32 vcc_lo, 0xc2ce8ed0, v8
	s_delay_alu instid0(VALU_DEP_2) | instskip(SKIP_2) | instid1(VALU_DEP_1)
	v_exp_f32_e32 v13, v13
	s_waitcnt_depctr 0xfff
	v_ldexp_f32 v13, v13, v16
	v_cndmask_b32_e32 v13, 0, v13, vcc_lo
	v_cmp_nlt_f32_e32 vcc_lo, 0x42b17218, v8
	s_delay_alu instid0(VALU_DEP_2)
	v_cndmask_b32_e32 v8, 0x7f800000, v13, vcc_lo
	global_store_b32 v[5:6], v8, off
	v_add_co_u32 v5, vcc_lo, v5, 4
	v_add_f32_e32 v11, v11, v8
	v_add_co_ci_u32_e32 v6, vcc_lo, 0, v6, vcc_lo
	s_cbranch_scc0 .LBB220_7
.LBB220_8:
	s_delay_alu instid0(VALU_DEP_2)
	v_cmp_neq_f32_e32 vcc_lo, 0, v11
	s_and_b32 exec_lo, exec_lo, vcc_lo
	s_cbranch_execz .LBB220_12
; %bb.9:
	s_and_not1_b32 vcc_lo, exec_lo, s7
	s_cbranch_vccnz .LBB220_12
; %bb.10:
	s_waitcnt vmcnt(0)
	v_div_scale_f32 v1, null, v11, v11, 1.0
	v_div_scale_f32 v4, vcc_lo, 1.0, v11, 1.0
	s_delay_alu instid0(VALU_DEP_2) | instskip(SKIP_2) | instid1(VALU_DEP_1)
	v_rcp_f32_e32 v2, v1
	s_waitcnt_depctr 0xfff
	v_fma_f32 v3, -v1, v2, 1.0
	v_fmac_f32_e32 v2, v3, v2
	s_delay_alu instid0(VALU_DEP_1) | instskip(NEXT) | instid1(VALU_DEP_1)
	v_mul_f32_e32 v3, v4, v2
	v_fma_f32 v5, -v1, v3, v4
	s_delay_alu instid0(VALU_DEP_1) | instskip(NEXT) | instid1(VALU_DEP_1)
	v_fmac_f32_e32 v3, v5, v2
	v_fma_f32 v4, -v1, v3, v4
	v_ashrrev_i32_e32 v1, 31, v0
	s_delay_alu instid0(VALU_DEP_2) | instskip(NEXT) | instid1(VALU_DEP_2)
	v_div_fmas_f32 v2, v4, v2, v3
	v_lshlrev_b64 v[0:1], 2, v[0:1]
	s_delay_alu instid0(VALU_DEP_2) | instskip(NEXT) | instid1(VALU_DEP_2)
	v_div_fixup_f32 v2, v2, v11, 1.0
	v_add_co_u32 v0, vcc_lo, s2, v0
	s_delay_alu instid0(VALU_DEP_3)
	v_add_co_ci_u32_e32 v1, vcc_lo, s3, v1, vcc_lo
.LBB220_11:                             ; =>This Inner Loop Header: Depth=1
	global_load_b32 v3, v[0:1], off
	s_add_i32 s4, s4, -1
	s_delay_alu instid0(SALU_CYCLE_1)
	s_cmp_lg_u32 s4, 0
	s_waitcnt vmcnt(0)
	v_mul_f32_e32 v3, v2, v3
	global_store_b32 v[0:1], v3, off
	v_add_co_u32 v0, vcc_lo, v0, 4
	v_add_co_ci_u32_e32 v1, vcc_lo, 0, v1, vcc_lo
	s_cbranch_scc1 .LBB220_11
.LBB220_12:
	s_nop 0
	s_sendmsg sendmsg(MSG_DEALLOC_VGPRS)
	s_endpgm
	.section	.rodata,"a",@progbits
	.p2align	6, 0x0
	.amdhsa_kernel _ZN4vllm3moe17topkGatingSoftmaxItLi2ELi2ELi8ELi4ELb1ELi1ELNS0_23SharedExpertScoringFuncE1EEEvPKT_PKbPfiPiS9_iiiiii
		.amdhsa_group_segment_fixed_size 0
		.amdhsa_private_segment_fixed_size 0
		.amdhsa_kernarg_size 72
		.amdhsa_user_sgpr_count 15
		.amdhsa_user_sgpr_dispatch_ptr 0
		.amdhsa_user_sgpr_queue_ptr 0
		.amdhsa_user_sgpr_kernarg_segment_ptr 1
		.amdhsa_user_sgpr_dispatch_id 0
		.amdhsa_user_sgpr_private_segment_size 0
		.amdhsa_wavefront_size32 1
		.amdhsa_uses_dynamic_stack 0
		.amdhsa_enable_private_segment 0
		.amdhsa_system_sgpr_workgroup_id_x 1
		.amdhsa_system_sgpr_workgroup_id_y 0
		.amdhsa_system_sgpr_workgroup_id_z 0
		.amdhsa_system_sgpr_workgroup_info 0
		.amdhsa_system_vgpr_workitem_id 1
		.amdhsa_next_free_vgpr 20
		.amdhsa_next_free_sgpr 16
		.amdhsa_reserve_vcc 1
		.amdhsa_float_round_mode_32 0
		.amdhsa_float_round_mode_16_64 0
		.amdhsa_float_denorm_mode_32 3
		.amdhsa_float_denorm_mode_16_64 3
		.amdhsa_dx10_clamp 1
		.amdhsa_ieee_mode 1
		.amdhsa_fp16_overflow 0
		.amdhsa_workgroup_processor_mode 1
		.amdhsa_memory_ordered 1
		.amdhsa_forward_progress 0
		.amdhsa_shared_vgpr_count 0
		.amdhsa_exception_fp_ieee_invalid_op 0
		.amdhsa_exception_fp_denorm_src 0
		.amdhsa_exception_fp_ieee_div_zero 0
		.amdhsa_exception_fp_ieee_overflow 0
		.amdhsa_exception_fp_ieee_underflow 0
		.amdhsa_exception_fp_ieee_inexact 0
		.amdhsa_exception_int_div_zero 0
	.end_amdhsa_kernel
	.section	.text._ZN4vllm3moe17topkGatingSoftmaxItLi2ELi2ELi8ELi4ELb1ELi1ELNS0_23SharedExpertScoringFuncE1EEEvPKT_PKbPfiPiS9_iiiiii,"axG",@progbits,_ZN4vllm3moe17topkGatingSoftmaxItLi2ELi2ELi8ELi4ELb1ELi1ELNS0_23SharedExpertScoringFuncE1EEEvPKT_PKbPfiPiS9_iiiiii,comdat
.Lfunc_end220:
	.size	_ZN4vllm3moe17topkGatingSoftmaxItLi2ELi2ELi8ELi4ELb1ELi1ELNS0_23SharedExpertScoringFuncE1EEEvPKT_PKbPfiPiS9_iiiiii, .Lfunc_end220-_ZN4vllm3moe17topkGatingSoftmaxItLi2ELi2ELi8ELi4ELb1ELi1ELNS0_23SharedExpertScoringFuncE1EEEvPKT_PKbPfiPiS9_iiiiii
                                        ; -- End function
	.section	.AMDGPU.csdata,"",@progbits
; Kernel info:
; codeLenInByte = 1480
; NumSgprs: 18
; NumVgprs: 20
; ScratchSize: 0
; MemoryBound: 0
; FloatMode: 240
; IeeeMode: 1
; LDSByteSize: 0 bytes/workgroup (compile time only)
; SGPRBlocks: 2
; VGPRBlocks: 2
; NumSGPRsForWavesPerEU: 18
; NumVGPRsForWavesPerEU: 20
; Occupancy: 16
; WaveLimiterHint : 0
; COMPUTE_PGM_RSRC2:SCRATCH_EN: 0
; COMPUTE_PGM_RSRC2:USER_SGPR: 15
; COMPUTE_PGM_RSRC2:TRAP_HANDLER: 0
; COMPUTE_PGM_RSRC2:TGID_X_EN: 1
; COMPUTE_PGM_RSRC2:TGID_Y_EN: 0
; COMPUTE_PGM_RSRC2:TGID_Z_EN: 0
; COMPUTE_PGM_RSRC2:TIDIG_COMP_CNT: 1
	.section	.text._ZN4vllm3moe17topkGatingSoftmaxItLi2ELi2ELi8ELi4ELb0ELi1ELNS0_23SharedExpertScoringFuncE1EEEvPKT_PKbPfiPiS9_iiiiii,"axG",@progbits,_ZN4vllm3moe17topkGatingSoftmaxItLi2ELi2ELi8ELi4ELb0ELi1ELNS0_23SharedExpertScoringFuncE1EEEvPKT_PKbPfiPiS9_iiiiii,comdat
	.protected	_ZN4vllm3moe17topkGatingSoftmaxItLi2ELi2ELi8ELi4ELb0ELi1ELNS0_23SharedExpertScoringFuncE1EEEvPKT_PKbPfiPiS9_iiiiii ; -- Begin function _ZN4vllm3moe17topkGatingSoftmaxItLi2ELi2ELi8ELi4ELb0ELi1ELNS0_23SharedExpertScoringFuncE1EEEvPKT_PKbPfiPiS9_iiiiii
	.globl	_ZN4vllm3moe17topkGatingSoftmaxItLi2ELi2ELi8ELi4ELb0ELi1ELNS0_23SharedExpertScoringFuncE1EEEvPKT_PKbPfiPiS9_iiiiii
	.p2align	8
	.type	_ZN4vllm3moe17topkGatingSoftmaxItLi2ELi2ELi8ELi4ELb0ELi1ELNS0_23SharedExpertScoringFuncE1EEEvPKT_PKbPfiPiS9_iiiiii,@function
_ZN4vllm3moe17topkGatingSoftmaxItLi2ELi2ELi8ELi4ELb0ELi1ELNS0_23SharedExpertScoringFuncE1EEEvPKT_PKbPfiPiS9_iiiiii: ; @_ZN4vllm3moe17topkGatingSoftmaxItLi2ELi2ELi8ELi4ELb0ELi1ELNS0_23SharedExpertScoringFuncE1EEEvPKT_PKbPfiPiS9_iiiiii
; %bb.0:
	s_load_b32 s14, s[0:1], 0x18
	v_bfe_u32 v1, v0, 10, 10
	v_and_b32_e32 v11, 0x3ff, v0
	s_lshl_b32 s16, s15, 8
	s_mov_b32 s2, exec_lo
	s_delay_alu instid0(VALU_DEP_2) | instskip(NEXT) | instid1(VALU_DEP_1)
	v_lshlrev_b32_e32 v10, 5, v1
	v_add3_u32 v12, v10, v11, s16
	s_waitcnt lgkmcnt(0)
	s_delay_alu instid0(VALU_DEP_1)
	v_cmpx_gt_i32_e64 s14, v12
	s_cbranch_execz .LBB221_12
; %bb.1:
	s_clause 0x1
	s_load_b128 s[4:7], s[0:1], 0x0
	s_load_b64 s[2:3], s[0:1], 0x10
	s_waitcnt lgkmcnt(0)
	s_cmp_eq_u64 s[6:7], 0
	s_cbranch_scc1 .LBB221_3
; %bb.2:
	v_ashrrev_i32_e32 v1, 31, v12
	v_add_co_u32 v0, vcc_lo, s6, v12
	s_delay_alu instid0(VALU_DEP_2) | instskip(SKIP_3) | instid1(VALU_DEP_1)
	v_add_co_ci_u32_e32 v1, vcc_lo, s7, v1, vcc_lo
	global_load_u8 v0, v[0:1], off
	s_waitcnt vmcnt(0)
	v_and_b32_e32 v0, 1, v0
	v_cmp_eq_u32_e32 vcc_lo, 1, v0
	s_xor_b32 s6, vcc_lo, -1
	s_delay_alu instid0(SALU_CYCLE_1)
	s_or_not1_b32 s15, s6, exec_lo
	s_branch .LBB221_4
.LBB221_3:
	s_mov_b32 s15, -1
.LBB221_4:
	s_load_b64 s[12:13], s[0:1], 0x40
	v_mov_b32_e32 v13, 0
	s_waitcnt lgkmcnt(0)
	v_mul_lo_u32 v0, v12, s13
	s_delay_alu instid0(VALU_DEP_1) | instskip(NEXT) | instid1(VALU_DEP_1)
	v_ashrrev_i32_e32 v1, 31, v0
	v_lshlrev_b64 v[0:1], 1, v[0:1]
	s_delay_alu instid0(VALU_DEP_1) | instskip(NEXT) | instid1(VALU_DEP_2)
	v_add_co_u32 v0, vcc_lo, s4, v0
	v_add_co_ci_u32_e32 v1, vcc_lo, s5, v1, vcc_lo
	s_clause 0x1
	global_load_u16 v2, v[0:1], off offset:4
	global_load_b32 v3, v[0:1], off
	s_load_b128 s[4:7], s[0:1], 0x30
	s_waitcnt lgkmcnt(0)
	s_cmp_gt_i32 s4, 0
	s_waitcnt vmcnt(1)
	v_cvt_f32_u32_e32 v0, v2
	s_delay_alu instid0(VALU_DEP_1) | instskip(SKIP_1) | instid1(VALU_DEP_2)
	v_mul_f32_e32 v1, 0xbfb8aa3b, v0
	v_cmp_nlt_f32_e32 vcc_lo, 0x42ce8ed0, v0
	v_fma_f32 v2, 0xbfb8aa3b, v0, -v1
	v_rndne_f32_e32 v4, v1
	s_delay_alu instid0(VALU_DEP_1) | instskip(NEXT) | instid1(VALU_DEP_1)
	v_dual_fmamk_f32 v2, v0, 0xb2a5705f, v2 :: v_dual_sub_f32 v1, v1, v4
	v_add_f32_e32 v1, v1, v2
	v_cvt_i32_f32_e32 v2, v4
	s_delay_alu instid0(VALU_DEP_2) | instskip(SKIP_2) | instid1(VALU_DEP_1)
	v_exp_f32_e32 v1, v1
	s_waitcnt_depctr 0xfff
	v_ldexp_f32 v1, v1, v2
	v_cndmask_b32_e32 v1, 0, v1, vcc_lo
	v_cmp_ngt_f32_e32 vcc_lo, 0xc2b17218, v0
	s_delay_alu instid0(VALU_DEP_2) | instskip(NEXT) | instid1(VALU_DEP_1)
	v_cndmask_b32_e32 v0, 0x7f800000, v1, vcc_lo
	v_add_f32_e32 v4, 1.0, v0
	s_delay_alu instid0(VALU_DEP_1) | instskip(SKIP_1) | instid1(VALU_DEP_2)
	v_div_scale_f32 v5, null, v4, v4, 1.0
	v_div_scale_f32 v7, vcc_lo, 1.0, v4, 1.0
	v_rcp_f32_e32 v6, v5
	s_waitcnt_depctr 0xfff
	v_fma_f32 v0, -v5, v6, 1.0
	s_delay_alu instid0(VALU_DEP_1) | instskip(SKIP_3) | instid1(VALU_DEP_2)
	v_fmac_f32_e32 v6, v0, v6
	v_mul_lo_u32 v0, v12, s7
	s_cselect_b32 s7, -1, 0
	s_cmp_lt_i32 s4, 1
	v_mul_f32_e32 v8, v7, v6
	s_delay_alu instid0(VALU_DEP_1) | instskip(NEXT) | instid1(VALU_DEP_1)
	v_fma_f32 v9, -v5, v8, v7
	v_dual_fmac_f32 v8, v9, v6 :: v_dual_add_nc_u32 v1, s4, v0
	s_delay_alu instid0(VALU_DEP_1)
	v_ashrrev_i32_e32 v2, 31, v1
	s_waitcnt vmcnt(0)
	v_lshrrev_b32_e32 v9, 16, v3
	v_and_b32_e32 v3, 0xffff, v3
	v_fma_f32 v5, -v5, v8, v7
	v_lshlrev_b64 v[1:2], 2, v[1:2]
	s_delay_alu instid0(VALU_DEP_4) | instskip(NEXT) | instid1(VALU_DEP_4)
	v_cvt_f32_u32_e32 v7, v9
	v_cvt_f32_u32_e32 v9, v3
	s_delay_alu instid0(VALU_DEP_4) | instskip(NEXT) | instid1(VALU_DEP_4)
	v_div_fmas_f32 v3, v5, v6, v8
	v_add_co_u32 v1, vcc_lo, s2, v1
	v_add_co_ci_u32_e32 v2, vcc_lo, s3, v2, vcc_lo
	s_delay_alu instid0(VALU_DEP_4) | instskip(NEXT) | instid1(VALU_DEP_4)
	v_cmp_lt_f32_e32 vcc_lo, v9, v7
	v_div_fixup_f32 v3, v3, v4, 1.0
	v_cndmask_b32_e32 v8, v9, v7, vcc_lo
	global_store_b32 v[1:2], v3, off
	s_cbranch_scc1 .LBB221_8
; %bb.5:
	v_ashrrev_i32_e32 v1, 31, v0
	v_cndmask_b32_e64 v19, 0, 1, vcc_lo
	v_dual_sub_f32 v18, v8, v8 :: v_dual_cndmask_b32 v9, 0xff800000, v9
	s_load_b128 s[8:11], s[0:1], 0x20
	s_delay_alu instid0(VALU_DEP_3) | instskip(NEXT) | instid1(VALU_DEP_3)
	v_lshlrev_b64 v[5:6], 2, v[0:1]
	v_cmp_le_i32_e32 vcc_lo, s5, v19
	v_cmp_gt_i32_e64 s0, s6, v19
	v_subrev_nc_u32_e32 v15, s5, v19
	v_mul_lo_u32 v2, v12, s12
	v_mul_lo_u32 v13, v12, s4
	s_delay_alu instid0(VALU_DEP_4)
	s_and_b32 s0, vcc_lo, s0
	v_add_co_u32 v5, vcc_lo, s2, v5
	v_add_co_ci_u32_e32 v6, vcc_lo, s3, v6, vcc_lo
	s_and_b32 vcc_lo, s15, s0
	v_dual_mul_f32 v3, 0x3fb8aa3b, v18 :: v_dual_cndmask_b32 v20, 2, v15
	s_cmp_eq_u32 s4, 1
	s_delay_alu instid0(VALU_DEP_1) | instskip(SKIP_1) | instid1(VALU_DEP_1)
	v_rndne_f32_e32 v4, v3
	v_fma_f32 v14, 0x3fb8aa3b, v18, -v3
	v_dual_sub_f32 v3, v3, v4 :: v_dual_fmac_f32 v14, 0x32a5705f, v18
	v_cvt_i32_f32_e32 v17, v4
	s_delay_alu instid0(VALU_DEP_2) | instskip(SKIP_2) | instid1(VALU_DEP_3)
	v_add_f32_e32 v1, v3, v14
	v_ashrrev_i32_e32 v3, 31, v2
	v_ashrrev_i32_e32 v14, 31, v13
	v_exp_f32_e32 v16, v1
	s_delay_alu instid0(VALU_DEP_2) | instskip(NEXT) | instid1(VALU_DEP_2)
	v_lshlrev_b64 v[1:2], 2, v[2:3]
	v_lshlrev_b64 v[3:4], 2, v[13:14]
	s_waitcnt lgkmcnt(0)
	s_delay_alu instid0(VALU_DEP_2) | instskip(NEXT) | instid1(VALU_DEP_3)
	v_add_co_u32 v14, vcc_lo, s8, v1
	v_add_co_ci_u32_e32 v15, vcc_lo, s9, v2, vcc_lo
	s_waitcnt_depctr 0xfff
	v_ldexp_f32 v13, v16, v17
	v_cmp_ngt_f32_e32 vcc_lo, 0xc2ce8ed0, v18
	s_delay_alu instid0(VALU_DEP_2) | instskip(SKIP_3) | instid1(VALU_DEP_4)
	v_cndmask_b32_e32 v13, 0, v13, vcc_lo
	v_add_co_u32 v16, vcc_lo, s10, v3
	v_add_co_ci_u32_e32 v17, vcc_lo, s11, v4, vcc_lo
	v_cmp_nlt_f32_e32 vcc_lo, 0x42b17218, v18
	v_cndmask_b32_e32 v13, 0x7f800000, v13, vcc_lo
	v_cmp_ne_u32_e32 vcc_lo, 1, v19
	global_store_b32 v[14:15], v20, off
	global_store_b32 v[5:6], v13, off
	global_store_b32 v[16:17], v12, off
	v_cndmask_b32_e32 v7, 0xff800000, v7, vcc_lo
	s_cbranch_scc1 .LBB221_8
; %bb.6:
	v_add_co_u32 v3, vcc_lo, v3, s10
	v_add_co_ci_u32_e32 v4, vcc_lo, s11, v4, vcc_lo
	v_add_co_u32 v12, vcc_lo, v1, s8
	v_add_co_ci_u32_e32 v14, vcc_lo, s9, v2, vcc_lo
	s_delay_alu instid0(VALU_DEP_4) | instskip(NEXT) | instid1(VALU_DEP_4)
	v_add_co_u32 v1, vcc_lo, v3, 4
	v_add_co_ci_u32_e32 v2, vcc_lo, 0, v4, vcc_lo
	s_delay_alu instid0(VALU_DEP_4) | instskip(NEXT) | instid1(VALU_DEP_4)
	v_add_co_u32 v3, vcc_lo, v12, 4
	v_add_co_ci_u32_e32 v4, vcc_lo, 0, v14, vcc_lo
	s_add_i32 s16, s16, s14
	v_add_co_u32 v5, vcc_lo, v5, 4
	v_add_co_ci_u32_e32 v6, vcc_lo, 0, v6, vcc_lo
	v_add3_u32 v10, s16, v11, v10
	s_add_i32 s1, s4, -1
.LBB221_7:                              ; =>This Inner Loop Header: Depth=1
	v_cmp_gt_f32_e32 vcc_lo, v7, v9
	s_add_i32 s1, s1, -1
	v_cndmask_b32_e64 v12, 0, 1, vcc_lo
	v_cndmask_b32_e32 v11, v9, v7, vcc_lo
	v_cndmask_b32_e64 v7, v7, 0xff800000, vcc_lo
	v_cndmask_b32_e32 v9, 0xff800000, v9, vcc_lo
	s_delay_alu instid0(VALU_DEP_4) | instskip(SKIP_2) | instid1(VALU_DEP_2)
	v_cmp_le_i32_e32 vcc_lo, s5, v12
	v_cmp_gt_i32_e64 s0, s6, v12
	v_subrev_nc_u32_e32 v12, s5, v12
	s_and_b32 s0, vcc_lo, s0
	s_delay_alu instid0(SALU_CYCLE_1) | instskip(SKIP_1) | instid1(VALU_DEP_1)
	s_and_b32 vcc_lo, s15, s0
	s_cmp_eq_u32 s1, 0
	v_cndmask_b32_e32 v12, 2, v12, vcc_lo
	v_sub_f32_e32 v11, v11, v8
	global_store_b32 v[3:4], v12, off
	global_store_b32 v[1:2], v10, off
	v_mul_f32_e32 v14, 0x3fb8aa3b, v11
	v_add_co_u32 v1, vcc_lo, v1, 4
	v_add_co_ci_u32_e32 v2, vcc_lo, 0, v2, vcc_lo
	s_delay_alu instid0(VALU_DEP_3) | instskip(SKIP_2) | instid1(VALU_DEP_3)
	v_fma_f32 v15, 0x3fb8aa3b, v11, -v14
	v_rndne_f32_e32 v16, v14
	v_add_co_u32 v3, vcc_lo, v3, 4
	v_dual_fmac_f32 v15, 0x32a5705f, v11 :: v_dual_add_nc_u32 v10, s14, v10
	s_delay_alu instid0(VALU_DEP_3) | instskip(SKIP_2) | instid1(VALU_DEP_3)
	v_sub_f32_e32 v14, v14, v16
	v_cvt_i32_f32_e32 v16, v16
	v_add_co_ci_u32_e32 v4, vcc_lo, 0, v4, vcc_lo
	v_add_f32_e32 v12, v14, v15
	v_cmp_ngt_f32_e32 vcc_lo, 0xc2ce8ed0, v11
	s_delay_alu instid0(VALU_DEP_2) | instskip(SKIP_2) | instid1(VALU_DEP_1)
	v_exp_f32_e32 v12, v12
	s_waitcnt_depctr 0xfff
	v_ldexp_f32 v12, v12, v16
	v_cndmask_b32_e32 v12, 0, v12, vcc_lo
	v_cmp_nlt_f32_e32 vcc_lo, 0x42b17218, v11
	s_delay_alu instid0(VALU_DEP_2) | instskip(NEXT) | instid1(VALU_DEP_1)
	v_cndmask_b32_e32 v11, 0x7f800000, v12, vcc_lo
	v_add_f32_e32 v13, v13, v11
	global_store_b32 v[5:6], v11, off
	v_add_co_u32 v5, vcc_lo, v5, 4
	v_add_co_ci_u32_e32 v6, vcc_lo, 0, v6, vcc_lo
	s_cbranch_scc0 .LBB221_7
.LBB221_8:
	s_delay_alu instid0(VALU_DEP_1) | instskip(NEXT) | instid1(VALU_DEP_1)
	v_sub_f32_e32 v2, v7, v8
	v_dual_sub_f32 v1, v9, v8 :: v_dual_mul_f32 v4, 0x3fb8aa3b, v2
	s_delay_alu instid0(VALU_DEP_1) | instskip(SKIP_1) | instid1(VALU_DEP_3)
	v_mul_f32_e32 v3, 0x3fb8aa3b, v1
	v_cmp_ngt_f32_e32 vcc_lo, 0xc2ce8ed0, v1
	v_fma_f32 v7, 0x3fb8aa3b, v2, -v4
	s_delay_alu instid0(VALU_DEP_3) | instskip(SKIP_2) | instid1(VALU_DEP_4)
	v_fma_f32 v5, 0x3fb8aa3b, v1, -v3
	v_rndne_f32_e32 v6, v3
	v_rndne_f32_e32 v8, v4
	v_fmac_f32_e32 v7, 0x32a5705f, v2
	s_delay_alu instid0(VALU_DEP_2) | instskip(NEXT) | instid1(VALU_DEP_1)
	v_dual_fmac_f32 v5, 0x32a5705f, v1 :: v_dual_sub_f32 v4, v4, v8
	v_dual_sub_f32 v3, v3, v6 :: v_dual_add_f32 v4, v4, v7
	s_delay_alu instid0(VALU_DEP_1) | instskip(SKIP_2) | instid1(VALU_DEP_4)
	v_add_f32_e32 v3, v3, v5
	v_cvt_i32_f32_e32 v5, v6
	v_cvt_i32_f32_e32 v6, v8
	v_exp_f32_e32 v4, v4
	s_delay_alu instid0(VALU_DEP_3) | instskip(SKIP_3) | instid1(VALU_DEP_1)
	v_exp_f32_e32 v3, v3
	s_waitcnt_depctr 0xfff
	v_ldexp_f32 v4, v4, v6
	v_ldexp_f32 v3, v3, v5
	v_cndmask_b32_e32 v3, 0, v3, vcc_lo
	v_cmp_ngt_f32_e32 vcc_lo, 0xc2ce8ed0, v2
	s_delay_alu instid0(VALU_DEP_4) | instskip(SKIP_1) | instid1(VALU_DEP_4)
	v_cndmask_b32_e32 v4, 0, v4, vcc_lo
	v_cmp_nlt_f32_e32 vcc_lo, 0x42b17218, v1
	v_cndmask_b32_e32 v1, 0x7f800000, v3, vcc_lo
	v_cmp_nlt_f32_e32 vcc_lo, 0x42b17218, v2
	s_delay_alu instid0(VALU_DEP_4) | instskip(NEXT) | instid1(VALU_DEP_1)
	v_cndmask_b32_e32 v2, 0x7f800000, v4, vcc_lo
	v_add_f32_e32 v1, v1, v2
	s_delay_alu instid0(VALU_DEP_1) | instskip(NEXT) | instid1(VALU_DEP_1)
	v_add_f32_e32 v2, v13, v1
	v_cmp_neq_f32_e32 vcc_lo, 0, v2
	s_and_b32 exec_lo, exec_lo, vcc_lo
	s_cbranch_execz .LBB221_12
; %bb.9:
	s_and_not1_b32 vcc_lo, exec_lo, s7
	s_cbranch_vccnz .LBB221_12
; %bb.10:
	v_div_scale_f32 v1, null, v2, v2, 1.0
	v_div_scale_f32 v5, vcc_lo, 1.0, v2, 1.0
	s_delay_alu instid0(VALU_DEP_2) | instskip(SKIP_2) | instid1(VALU_DEP_1)
	v_rcp_f32_e32 v3, v1
	s_waitcnt_depctr 0xfff
	v_fma_f32 v4, -v1, v3, 1.0
	v_fmac_f32_e32 v3, v4, v3
	s_delay_alu instid0(VALU_DEP_1) | instskip(NEXT) | instid1(VALU_DEP_1)
	v_mul_f32_e32 v4, v5, v3
	v_fma_f32 v6, -v1, v4, v5
	s_delay_alu instid0(VALU_DEP_1) | instskip(NEXT) | instid1(VALU_DEP_1)
	v_fmac_f32_e32 v4, v6, v3
	v_fma_f32 v5, -v1, v4, v5
	v_ashrrev_i32_e32 v1, 31, v0
	s_delay_alu instid0(VALU_DEP_2) | instskip(NEXT) | instid1(VALU_DEP_2)
	v_div_fmas_f32 v3, v5, v3, v4
	v_lshlrev_b64 v[0:1], 2, v[0:1]
	s_delay_alu instid0(VALU_DEP_2) | instskip(NEXT) | instid1(VALU_DEP_2)
	v_div_fixup_f32 v2, v3, v2, 1.0
	v_add_co_u32 v0, vcc_lo, s2, v0
	s_delay_alu instid0(VALU_DEP_3)
	v_add_co_ci_u32_e32 v1, vcc_lo, s3, v1, vcc_lo
.LBB221_11:                             ; =>This Inner Loop Header: Depth=1
	global_load_b32 v3, v[0:1], off
	s_add_i32 s4, s4, -1
	s_delay_alu instid0(SALU_CYCLE_1)
	s_cmp_lg_u32 s4, 0
	s_waitcnt vmcnt(0)
	v_mul_f32_e32 v3, v2, v3
	global_store_b32 v[0:1], v3, off
	v_add_co_u32 v0, vcc_lo, v0, 4
	v_add_co_ci_u32_e32 v1, vcc_lo, 0, v1, vcc_lo
	s_cbranch_scc1 .LBB221_11
.LBB221_12:
	s_nop 0
	s_sendmsg sendmsg(MSG_DEALLOC_VGPRS)
	s_endpgm
	.section	.rodata,"a",@progbits
	.p2align	6, 0x0
	.amdhsa_kernel _ZN4vllm3moe17topkGatingSoftmaxItLi2ELi2ELi8ELi4ELb0ELi1ELNS0_23SharedExpertScoringFuncE1EEEvPKT_PKbPfiPiS9_iiiiii
		.amdhsa_group_segment_fixed_size 0
		.amdhsa_private_segment_fixed_size 0
		.amdhsa_kernarg_size 72
		.amdhsa_user_sgpr_count 15
		.amdhsa_user_sgpr_dispatch_ptr 0
		.amdhsa_user_sgpr_queue_ptr 0
		.amdhsa_user_sgpr_kernarg_segment_ptr 1
		.amdhsa_user_sgpr_dispatch_id 0
		.amdhsa_user_sgpr_private_segment_size 0
		.amdhsa_wavefront_size32 1
		.amdhsa_uses_dynamic_stack 0
		.amdhsa_enable_private_segment 0
		.amdhsa_system_sgpr_workgroup_id_x 1
		.amdhsa_system_sgpr_workgroup_id_y 0
		.amdhsa_system_sgpr_workgroup_id_z 0
		.amdhsa_system_sgpr_workgroup_info 0
		.amdhsa_system_vgpr_workitem_id 1
		.amdhsa_next_free_vgpr 21
		.amdhsa_next_free_sgpr 17
		.amdhsa_reserve_vcc 1
		.amdhsa_float_round_mode_32 0
		.amdhsa_float_round_mode_16_64 0
		.amdhsa_float_denorm_mode_32 3
		.amdhsa_float_denorm_mode_16_64 3
		.amdhsa_dx10_clamp 1
		.amdhsa_ieee_mode 1
		.amdhsa_fp16_overflow 0
		.amdhsa_workgroup_processor_mode 1
		.amdhsa_memory_ordered 1
		.amdhsa_forward_progress 0
		.amdhsa_shared_vgpr_count 0
		.amdhsa_exception_fp_ieee_invalid_op 0
		.amdhsa_exception_fp_denorm_src 0
		.amdhsa_exception_fp_ieee_div_zero 0
		.amdhsa_exception_fp_ieee_overflow 0
		.amdhsa_exception_fp_ieee_underflow 0
		.amdhsa_exception_fp_ieee_inexact 0
		.amdhsa_exception_int_div_zero 0
	.end_amdhsa_kernel
	.section	.text._ZN4vllm3moe17topkGatingSoftmaxItLi2ELi2ELi8ELi4ELb0ELi1ELNS0_23SharedExpertScoringFuncE1EEEvPKT_PKbPfiPiS9_iiiiii,"axG",@progbits,_ZN4vllm3moe17topkGatingSoftmaxItLi2ELi2ELi8ELi4ELb0ELi1ELNS0_23SharedExpertScoringFuncE1EEEvPKT_PKbPfiPiS9_iiiiii,comdat
.Lfunc_end221:
	.size	_ZN4vllm3moe17topkGatingSoftmaxItLi2ELi2ELi8ELi4ELb0ELi1ELNS0_23SharedExpertScoringFuncE1EEEvPKT_PKbPfiPiS9_iiiiii, .Lfunc_end221-_ZN4vllm3moe17topkGatingSoftmaxItLi2ELi2ELi8ELi4ELb0ELi1ELNS0_23SharedExpertScoringFuncE1EEEvPKT_PKbPfiPiS9_iiiiii
                                        ; -- End function
	.section	.AMDGPU.csdata,"",@progbits
; Kernel info:
; codeLenInByte = 1644
; NumSgprs: 19
; NumVgprs: 21
; ScratchSize: 0
; MemoryBound: 0
; FloatMode: 240
; IeeeMode: 1
; LDSByteSize: 0 bytes/workgroup (compile time only)
; SGPRBlocks: 2
; VGPRBlocks: 2
; NumSGPRsForWavesPerEU: 19
; NumVGPRsForWavesPerEU: 21
; Occupancy: 16
; WaveLimiterHint : 0
; COMPUTE_PGM_RSRC2:SCRATCH_EN: 0
; COMPUTE_PGM_RSRC2:USER_SGPR: 15
; COMPUTE_PGM_RSRC2:TRAP_HANDLER: 0
; COMPUTE_PGM_RSRC2:TGID_X_EN: 1
; COMPUTE_PGM_RSRC2:TGID_Y_EN: 0
; COMPUTE_PGM_RSRC2:TGID_Z_EN: 0
; COMPUTE_PGM_RSRC2:TIDIG_COMP_CNT: 1
	.section	.text._ZN4vllm3moe17topkGatingSoftmaxItLi2ELi2ELi8ELi4ELb1ELi2ELNS0_23SharedExpertScoringFuncE1EEEvPKT_PKbPfiPiS9_iiiiii,"axG",@progbits,_ZN4vllm3moe17topkGatingSoftmaxItLi2ELi2ELi8ELi4ELb1ELi2ELNS0_23SharedExpertScoringFuncE1EEEvPKT_PKbPfiPiS9_iiiiii,comdat
	.protected	_ZN4vllm3moe17topkGatingSoftmaxItLi2ELi2ELi8ELi4ELb1ELi2ELNS0_23SharedExpertScoringFuncE1EEEvPKT_PKbPfiPiS9_iiiiii ; -- Begin function _ZN4vllm3moe17topkGatingSoftmaxItLi2ELi2ELi8ELi4ELb1ELi2ELNS0_23SharedExpertScoringFuncE1EEEvPKT_PKbPfiPiS9_iiiiii
	.globl	_ZN4vllm3moe17topkGatingSoftmaxItLi2ELi2ELi8ELi4ELb1ELi2ELNS0_23SharedExpertScoringFuncE1EEEvPKT_PKbPfiPiS9_iiiiii
	.p2align	8
	.type	_ZN4vllm3moe17topkGatingSoftmaxItLi2ELi2ELi8ELi4ELb1ELi2ELNS0_23SharedExpertScoringFuncE1EEEvPKT_PKbPfiPiS9_iiiiii,@function
_ZN4vllm3moe17topkGatingSoftmaxItLi2ELi2ELi8ELi4ELb1ELi2ELNS0_23SharedExpertScoringFuncE1EEEvPKT_PKbPfiPiS9_iiiiii: ; @_ZN4vllm3moe17topkGatingSoftmaxItLi2ELi2ELi8ELi4ELb1ELi2ELNS0_23SharedExpertScoringFuncE1EEEvPKT_PKbPfiPiS9_iiiiii
; %bb.0:
	s_load_b32 s3, s[0:1], 0x18
	v_bfe_u32 v1, v0, 10, 10
	v_and_b32_e32 v8, 0x3ff, v0
	s_lshl_b32 s15, s15, 8
	s_mov_b32 s2, exec_lo
	s_delay_alu instid0(VALU_DEP_2) | instskip(NEXT) | instid1(VALU_DEP_1)
	v_lshlrev_b32_e32 v7, 5, v1
	v_add3_u32 v9, v7, v8, s15
	s_waitcnt lgkmcnt(0)
	s_delay_alu instid0(VALU_DEP_1)
	v_cmpx_gt_i32_e64 s3, v9
	s_cbranch_execz .LBB222_12
; %bb.1:
	s_clause 0x1
	s_load_b128 s[4:7], s[0:1], 0x0
	s_load_b64 s[12:13], s[0:1], 0x10
	s_waitcnt lgkmcnt(0)
	s_cmp_eq_u64 s[6:7], 0
	s_cbranch_scc1 .LBB222_3
; %bb.2:
	v_ashrrev_i32_e32 v1, 31, v9
	v_add_co_u32 v0, vcc_lo, s6, v9
	s_delay_alu instid0(VALU_DEP_2) | instskip(SKIP_3) | instid1(VALU_DEP_1)
	v_add_co_ci_u32_e32 v1, vcc_lo, s7, v1, vcc_lo
	global_load_u8 v0, v[0:1], off
	s_waitcnt vmcnt(0)
	v_and_b32_e32 v0, 1, v0
	v_cmp_eq_u32_e32 vcc_lo, 1, v0
	s_xor_b32 s2, vcc_lo, -1
	s_delay_alu instid0(SALU_CYCLE_1)
	s_or_not1_b32 s14, s2, exec_lo
	s_branch .LBB222_4
.LBB222_3:
	s_mov_b32 s14, -1
.LBB222_4:
	s_load_b64 s[8:9], s[0:1], 0x40
	s_waitcnt lgkmcnt(0)
	v_mul_lo_u32 v0, v9, s9
	s_delay_alu instid0(VALU_DEP_1) | instskip(NEXT) | instid1(VALU_DEP_1)
	v_ashrrev_i32_e32 v1, 31, v0
	v_lshlrev_b64 v[0:1], 1, v[0:1]
	s_delay_alu instid0(VALU_DEP_1) | instskip(NEXT) | instid1(VALU_DEP_2)
	v_add_co_u32 v0, vcc_lo, s4, v0
	v_add_co_ci_u32_e32 v1, vcc_lo, s5, v1, vcc_lo
	s_load_b128 s[4:7], s[0:1], 0x30
	global_load_b64 v[1:2], v[0:1], off
	s_waitcnt lgkmcnt(0)
	s_cmp_gt_i32 s4, 0
	s_waitcnt vmcnt(0)
	v_and_b32_e32 v0, 0xffff, v2
	v_lshrrev_b32_e32 v2, 16, v2
	s_delay_alu instid0(VALU_DEP_2) | instskip(NEXT) | instid1(VALU_DEP_2)
	v_cvt_f32_u32_e32 v0, v0
	v_cvt_f32_u32_e32 v2, v2
	s_delay_alu instid0(VALU_DEP_1) | instskip(SKIP_1) | instid1(VALU_DEP_2)
	v_dual_mul_f32 v3, 0xbfb8aa3b, v0 :: v_dual_mul_f32 v4, 0xbfb8aa3b, v2
	v_cmp_nlt_f32_e32 vcc_lo, 0x42ce8ed0, v0
	v_fma_f32 v5, 0xbfb8aa3b, v0, -v3
	v_rndne_f32_e32 v6, v3
	s_delay_alu instid0(VALU_DEP_4) | instskip(SKIP_1) | instid1(VALU_DEP_4)
	v_fma_f32 v10, 0xbfb8aa3b, v2, -v4
	v_rndne_f32_e32 v11, v4
	v_fmac_f32_e32 v5, 0xb2a5705f, v0
	s_delay_alu instid0(VALU_DEP_4) | instskip(NEXT) | instid1(VALU_DEP_4)
	v_sub_f32_e32 v3, v3, v6
	v_fmac_f32_e32 v10, 0xb2a5705f, v2
	s_delay_alu instid0(VALU_DEP_2) | instskip(SKIP_2) | instid1(VALU_DEP_3)
	v_dual_sub_f32 v4, v4, v11 :: v_dual_add_f32 v3, v3, v5
	v_cvt_i32_f32_e32 v5, v6
	v_cvt_i32_f32_e32 v6, v11
	v_exp_f32_e32 v3, v3
	s_waitcnt_depctr 0xfff
	v_ldexp_f32 v3, v3, v5
	s_delay_alu instid0(VALU_DEP_1) | instskip(NEXT) | instid1(VALU_DEP_1)
	v_dual_add_f32 v4, v4, v10 :: v_dual_cndmask_b32 v3, 0, v3
	v_exp_f32_e32 v4, v4
	v_cmp_nlt_f32_e32 vcc_lo, 0x42ce8ed0, v2
	s_waitcnt_depctr 0xfff
	v_ldexp_f32 v4, v4, v6
	s_delay_alu instid0(VALU_DEP_1) | instskip(SKIP_3) | instid1(VALU_DEP_4)
	v_cndmask_b32_e32 v4, 0, v4, vcc_lo
	v_cmp_ngt_f32_e32 vcc_lo, 0xc2b17218, v0
	v_cndmask_b32_e32 v0, 0x7f800000, v3, vcc_lo
	v_cmp_ngt_f32_e32 vcc_lo, 0xc2b17218, v2
	v_cndmask_b32_e32 v2, 0x7f800000, v4, vcc_lo
	s_delay_alu instid0(VALU_DEP_3) | instskip(NEXT) | instid1(VALU_DEP_1)
	v_add_f32_e32 v4, 1.0, v0
	v_div_scale_f32 v6, null, v4, v4, 1.0
	v_div_scale_f32 v13, vcc_lo, 1.0, v4, 1.0
	s_delay_alu instid0(VALU_DEP_2) | instskip(SKIP_2) | instid1(VALU_DEP_1)
	v_rcp_f32_e32 v11, v6
	s_waitcnt_depctr 0xfff
	v_fma_f32 v0, -v6, v11, 1.0
	v_fmac_f32_e32 v11, v0, v11
	v_add_f32_e32 v5, 1.0, v2
	v_mul_lo_u32 v0, v9, s7
	s_delay_alu instid0(VALU_DEP_3) | instskip(NEXT) | instid1(VALU_DEP_3)
	v_mul_f32_e32 v15, v13, v11
	v_div_scale_f32 v10, null, v5, v5, 1.0
	v_div_scale_f32 v14, s2, 1.0, v5, 1.0
	s_delay_alu instid0(VALU_DEP_3) | instskip(NEXT) | instid1(VALU_DEP_3)
	v_fma_f32 v3, -v6, v15, v13
	v_rcp_f32_e32 v12, v10
	s_delay_alu instid0(VALU_DEP_1) | instskip(NEXT) | instid1(VALU_DEP_1)
	v_fmac_f32_e32 v15, v3, v11
	v_fma_f32 v6, -v6, v15, v13
	s_waitcnt_depctr 0xfff
	v_fma_f32 v2, -v10, v12, 1.0
	v_div_fmas_f32 v6, v6, v11, v15
	s_delay_alu instid0(VALU_DEP_2)
	v_fmac_f32_e32 v12, v2, v12
	v_add_nc_u32_e32 v2, s4, v0
	s_mov_b32 vcc_lo, s2
	v_mov_b32_e32 v11, 0
	s_cselect_b32 s2, -1, 0
	v_mul_f32_e32 v16, v14, v12
	v_ashrrev_i32_e32 v3, 31, v2
	s_cmp_lt_i32 s4, 1
	v_div_fixup_f32 v4, v6, v4, 1.0
	s_delay_alu instid0(VALU_DEP_3) | instskip(NEXT) | instid1(VALU_DEP_3)
	v_fma_f32 v17, -v10, v16, v14
	v_lshlrev_b64 v[2:3], 2, v[2:3]
	s_delay_alu instid0(VALU_DEP_2) | instskip(NEXT) | instid1(VALU_DEP_1)
	v_fmac_f32_e32 v16, v17, v12
	v_fma_f32 v10, -v10, v16, v14
	s_delay_alu instid0(VALU_DEP_1) | instskip(NEXT) | instid1(VALU_DEP_4)
	v_div_fmas_f32 v10, v10, v12, v16
	v_add_co_u32 v2, vcc_lo, s12, v2
	v_add_co_ci_u32_e32 v3, vcc_lo, s13, v3, vcc_lo
	s_delay_alu instid0(VALU_DEP_3)
	v_div_fixup_f32 v5, v10, v5, 1.0
	global_store_b64 v[2:3], v[4:5], off
	s_cbranch_scc1 .LBB222_8
; %bb.5:
	v_lshrrev_b32_e32 v2, 16, v1
	v_mul_lo_u32 v15, v9, s4
	s_delay_alu instid0(VALU_DEP_2) | instskip(SKIP_3) | instid1(VALU_DEP_4)
	v_cvt_f32_u32_e32 v12, v2
	v_and_b32_e32 v1, 0xffff, v1
	v_mul_lo_u32 v2, v9, s8
	s_load_b128 s[8:11], s[0:1], 0x20
	v_ashrrev_i32_e32 v16, 31, v15
	s_delay_alu instid0(VALU_DEP_3) | instskip(NEXT) | instid1(VALU_DEP_1)
	v_cvt_f32_u32_e32 v13, v1
	v_cmp_lt_f32_e32 vcc_lo, v13, v12
	v_cndmask_b32_e32 v10, v13, v12, vcc_lo
	s_delay_alu instid0(VALU_DEP_1) | instskip(NEXT) | instid1(VALU_DEP_1)
	v_sub_f32_e32 v11, v10, v10
	v_mul_f32_e32 v1, 0x3fb8aa3b, v11
	s_delay_alu instid0(VALU_DEP_1) | instskip(SKIP_1) | instid1(VALU_DEP_2)
	v_fma_f32 v3, 0x3fb8aa3b, v11, -v1
	v_rndne_f32_e32 v4, v1
	v_fmac_f32_e32 v3, 0x32a5705f, v11
	s_delay_alu instid0(VALU_DEP_2) | instskip(SKIP_2) | instid1(VALU_DEP_3)
	v_sub_f32_e32 v5, v1, v4
	v_ashrrev_i32_e32 v1, 31, v0
	v_cvt_i32_f32_e32 v4, v4
	v_add_f32_e32 v14, v5, v3
	s_delay_alu instid0(VALU_DEP_3) | instskip(SKIP_1) | instid1(VALU_DEP_3)
	v_lshlrev_b64 v[5:6], 2, v[0:1]
	v_ashrrev_i32_e32 v3, 31, v2
	v_exp_f32_e32 v17, v14
	v_cndmask_b32_e64 v14, 0, 1, vcc_lo
	s_delay_alu instid0(VALU_DEP_3) | instskip(NEXT) | instid1(VALU_DEP_1)
	v_add_co_u32 v5, s0, s12, v5
	v_add_co_ci_u32_e64 v6, s0, s13, v6, s0
	s_delay_alu instid0(VALU_DEP_3) | instskip(SKIP_3) | instid1(TRANS32_DEP_1)
	v_cmp_le_i32_e64 s0, s5, v14
	v_cmp_gt_i32_e64 s1, s6, v14
	v_lshlrev_b64 v[1:2], 2, v[2:3]
	v_subrev_nc_u32_e32 v18, s5, v14
	v_ldexp_f32 v17, v17, v4
	v_lshlrev_b64 v[3:4], 2, v[15:16]
	s_and_b32 s1, s0, s1
	v_cmp_ngt_f32_e64 s0, 0xc2ce8ed0, v11
	s_delay_alu instid0(VALU_DEP_1) | instskip(SKIP_2) | instid1(VALU_DEP_1)
	v_cndmask_b32_e64 v17, 0, v17, s0
	s_waitcnt lgkmcnt(0)
	v_add_co_u32 v15, s0, s8, v1
	v_add_co_ci_u32_e64 v16, s0, s9, v2, s0
	s_and_b32 s0, s14, s1
	s_cmp_eq_u32 s4, 1
	v_cndmask_b32_e64 v19, 2, v18, s0
	v_cmp_nlt_f32_e64 s0, 0x42b17218, v11
	s_delay_alu instid0(VALU_DEP_1) | instskip(SKIP_1) | instid1(VALU_DEP_1)
	v_cndmask_b32_e64 v11, 0x7f800000, v17, s0
	v_add_co_u32 v17, s0, s10, v3
	v_add_co_ci_u32_e64 v18, s0, s11, v4, s0
	global_store_b32 v[15:16], v19, off
	global_store_b32 v[5:6], v11, off
	;; [unrolled: 1-line block ×3, first 2 shown]
	s_cbranch_scc1 .LBB222_8
; %bb.6:
	v_cndmask_b32_e32 v9, 0xff800000, v13, vcc_lo
	v_cmp_ne_u32_e32 vcc_lo, 1, v14
	s_add_i32 s15, s15, s3
	s_add_i32 s1, s4, -1
	v_add3_u32 v7, s15, v8, v7
	v_cndmask_b32_e32 v12, 0xff800000, v12, vcc_lo
	v_add_co_u32 v3, vcc_lo, v3, s10
	v_add_co_ci_u32_e32 v4, vcc_lo, s11, v4, vcc_lo
	v_add_co_u32 v13, vcc_lo, v1, s8
	v_add_co_ci_u32_e32 v14, vcc_lo, s9, v2, vcc_lo
	s_delay_alu instid0(VALU_DEP_4) | instskip(NEXT) | instid1(VALU_DEP_4)
	v_add_co_u32 v1, vcc_lo, v3, 4
	v_add_co_ci_u32_e32 v2, vcc_lo, 0, v4, vcc_lo
	s_delay_alu instid0(VALU_DEP_4) | instskip(NEXT) | instid1(VALU_DEP_4)
	v_add_co_u32 v3, vcc_lo, v13, 4
	v_add_co_ci_u32_e32 v4, vcc_lo, 0, v14, vcc_lo
	v_add_co_u32 v5, vcc_lo, v5, 4
	v_add_co_ci_u32_e32 v6, vcc_lo, 0, v6, vcc_lo
.LBB222_7:                              ; =>This Inner Loop Header: Depth=1
	v_cmp_gt_f32_e32 vcc_lo, v12, v9
	s_add_i32 s1, s1, -1
	v_cndmask_b32_e64 v13, 0, 1, vcc_lo
	v_cndmask_b32_e32 v8, v9, v12, vcc_lo
	v_cndmask_b32_e64 v12, v12, 0xff800000, vcc_lo
	v_cndmask_b32_e32 v9, 0xff800000, v9, vcc_lo
	s_delay_alu instid0(VALU_DEP_4) | instskip(SKIP_2) | instid1(VALU_DEP_2)
	v_cmp_le_i32_e32 vcc_lo, s5, v13
	v_cmp_gt_i32_e64 s0, s6, v13
	v_subrev_nc_u32_e32 v13, s5, v13
	s_and_b32 s0, vcc_lo, s0
	s_delay_alu instid0(SALU_CYCLE_1) | instskip(SKIP_1) | instid1(VALU_DEP_1)
	s_and_b32 vcc_lo, s14, s0
	s_cmp_eq_u32 s1, 0
	v_dual_cndmask_b32 v13, 2, v13 :: v_dual_sub_f32 v8, v8, v10
	global_store_b32 v[3:4], v13, off
	global_store_b32 v[1:2], v7, off
	v_dual_mul_f32 v14, 0x3fb8aa3b, v8 :: v_dual_add_nc_u32 v7, s3, v7
	v_add_co_u32 v1, vcc_lo, v1, 4
	v_add_co_ci_u32_e32 v2, vcc_lo, 0, v2, vcc_lo
	s_delay_alu instid0(VALU_DEP_3) | instskip(SKIP_3) | instid1(VALU_DEP_4)
	v_fma_f32 v15, 0x3fb8aa3b, v8, -v14
	v_rndne_f32_e32 v16, v14
	v_add_co_u32 v3, vcc_lo, v3, 4
	v_add_co_ci_u32_e32 v4, vcc_lo, 0, v4, vcc_lo
	v_fmac_f32_e32 v15, 0x32a5705f, v8
	s_delay_alu instid0(VALU_DEP_4) | instskip(SKIP_1) | instid1(VALU_DEP_2)
	v_sub_f32_e32 v14, v14, v16
	v_cvt_i32_f32_e32 v16, v16
	v_add_f32_e32 v13, v14, v15
	v_cmp_ngt_f32_e32 vcc_lo, 0xc2ce8ed0, v8
	s_delay_alu instid0(VALU_DEP_2) | instskip(SKIP_2) | instid1(VALU_DEP_1)
	v_exp_f32_e32 v13, v13
	s_waitcnt_depctr 0xfff
	v_ldexp_f32 v13, v13, v16
	v_cndmask_b32_e32 v13, 0, v13, vcc_lo
	v_cmp_nlt_f32_e32 vcc_lo, 0x42b17218, v8
	s_delay_alu instid0(VALU_DEP_2)
	v_cndmask_b32_e32 v8, 0x7f800000, v13, vcc_lo
	global_store_b32 v[5:6], v8, off
	v_add_co_u32 v5, vcc_lo, v5, 4
	v_add_f32_e32 v11, v11, v8
	v_add_co_ci_u32_e32 v6, vcc_lo, 0, v6, vcc_lo
	s_cbranch_scc0 .LBB222_7
.LBB222_8:
	s_delay_alu instid0(VALU_DEP_2)
	v_cmp_neq_f32_e32 vcc_lo, 0, v11
	s_and_b32 exec_lo, exec_lo, vcc_lo
	s_cbranch_execz .LBB222_12
; %bb.9:
	s_and_not1_b32 vcc_lo, exec_lo, s2
	s_cbranch_vccnz .LBB222_12
; %bb.10:
	v_div_scale_f32 v1, null, v11, v11, 1.0
	v_div_scale_f32 v4, vcc_lo, 1.0, v11, 1.0
	s_delay_alu instid0(VALU_DEP_2) | instskip(SKIP_2) | instid1(VALU_DEP_1)
	v_rcp_f32_e32 v2, v1
	s_waitcnt_depctr 0xfff
	v_fma_f32 v3, -v1, v2, 1.0
	v_fmac_f32_e32 v2, v3, v2
	s_delay_alu instid0(VALU_DEP_1) | instskip(NEXT) | instid1(VALU_DEP_1)
	v_mul_f32_e32 v3, v4, v2
	v_fma_f32 v5, -v1, v3, v4
	s_delay_alu instid0(VALU_DEP_1) | instskip(NEXT) | instid1(VALU_DEP_1)
	v_fmac_f32_e32 v3, v5, v2
	v_fma_f32 v4, -v1, v3, v4
	v_ashrrev_i32_e32 v1, 31, v0
	s_delay_alu instid0(VALU_DEP_2) | instskip(NEXT) | instid1(VALU_DEP_2)
	v_div_fmas_f32 v2, v4, v2, v3
	v_lshlrev_b64 v[0:1], 2, v[0:1]
	s_delay_alu instid0(VALU_DEP_2) | instskip(NEXT) | instid1(VALU_DEP_2)
	v_div_fixup_f32 v2, v2, v11, 1.0
	v_add_co_u32 v0, vcc_lo, s12, v0
	s_delay_alu instid0(VALU_DEP_3)
	v_add_co_ci_u32_e32 v1, vcc_lo, s13, v1, vcc_lo
.LBB222_11:                             ; =>This Inner Loop Header: Depth=1
	global_load_b32 v3, v[0:1], off
	s_add_i32 s4, s4, -1
	s_delay_alu instid0(SALU_CYCLE_1)
	s_cmp_lg_u32 s4, 0
	s_waitcnt vmcnt(0)
	v_mul_f32_e32 v3, v2, v3
	global_store_b32 v[0:1], v3, off
	v_add_co_u32 v0, vcc_lo, v0, 4
	v_add_co_ci_u32_e32 v1, vcc_lo, 0, v1, vcc_lo
	s_cbranch_scc1 .LBB222_11
.LBB222_12:
	s_nop 0
	s_sendmsg sendmsg(MSG_DEALLOC_VGPRS)
	s_endpgm
	.section	.rodata,"a",@progbits
	.p2align	6, 0x0
	.amdhsa_kernel _ZN4vllm3moe17topkGatingSoftmaxItLi2ELi2ELi8ELi4ELb1ELi2ELNS0_23SharedExpertScoringFuncE1EEEvPKT_PKbPfiPiS9_iiiiii
		.amdhsa_group_segment_fixed_size 0
		.amdhsa_private_segment_fixed_size 0
		.amdhsa_kernarg_size 72
		.amdhsa_user_sgpr_count 15
		.amdhsa_user_sgpr_dispatch_ptr 0
		.amdhsa_user_sgpr_queue_ptr 0
		.amdhsa_user_sgpr_kernarg_segment_ptr 1
		.amdhsa_user_sgpr_dispatch_id 0
		.amdhsa_user_sgpr_private_segment_size 0
		.amdhsa_wavefront_size32 1
		.amdhsa_uses_dynamic_stack 0
		.amdhsa_enable_private_segment 0
		.amdhsa_system_sgpr_workgroup_id_x 1
		.amdhsa_system_sgpr_workgroup_id_y 0
		.amdhsa_system_sgpr_workgroup_id_z 0
		.amdhsa_system_sgpr_workgroup_info 0
		.amdhsa_system_vgpr_workitem_id 1
		.amdhsa_next_free_vgpr 20
		.amdhsa_next_free_sgpr 16
		.amdhsa_reserve_vcc 1
		.amdhsa_float_round_mode_32 0
		.amdhsa_float_round_mode_16_64 0
		.amdhsa_float_denorm_mode_32 3
		.amdhsa_float_denorm_mode_16_64 3
		.amdhsa_dx10_clamp 1
		.amdhsa_ieee_mode 1
		.amdhsa_fp16_overflow 0
		.amdhsa_workgroup_processor_mode 1
		.amdhsa_memory_ordered 1
		.amdhsa_forward_progress 0
		.amdhsa_shared_vgpr_count 0
		.amdhsa_exception_fp_ieee_invalid_op 0
		.amdhsa_exception_fp_denorm_src 0
		.amdhsa_exception_fp_ieee_div_zero 0
		.amdhsa_exception_fp_ieee_overflow 0
		.amdhsa_exception_fp_ieee_underflow 0
		.amdhsa_exception_fp_ieee_inexact 0
		.amdhsa_exception_int_div_zero 0
	.end_amdhsa_kernel
	.section	.text._ZN4vllm3moe17topkGatingSoftmaxItLi2ELi2ELi8ELi4ELb1ELi2ELNS0_23SharedExpertScoringFuncE1EEEvPKT_PKbPfiPiS9_iiiiii,"axG",@progbits,_ZN4vllm3moe17topkGatingSoftmaxItLi2ELi2ELi8ELi4ELb1ELi2ELNS0_23SharedExpertScoringFuncE1EEEvPKT_PKbPfiPiS9_iiiiii,comdat
.Lfunc_end222:
	.size	_ZN4vllm3moe17topkGatingSoftmaxItLi2ELi2ELi8ELi4ELb1ELi2ELNS0_23SharedExpertScoringFuncE1EEEvPKT_PKbPfiPiS9_iiiiii, .Lfunc_end222-_ZN4vllm3moe17topkGatingSoftmaxItLi2ELi2ELi8ELi4ELb1ELi2ELNS0_23SharedExpertScoringFuncE1EEEvPKT_PKbPfiPiS9_iiiiii
                                        ; -- End function
	.section	.AMDGPU.csdata,"",@progbits
; Kernel info:
; codeLenInByte = 1660
; NumSgprs: 18
; NumVgprs: 20
; ScratchSize: 0
; MemoryBound: 0
; FloatMode: 240
; IeeeMode: 1
; LDSByteSize: 0 bytes/workgroup (compile time only)
; SGPRBlocks: 2
; VGPRBlocks: 2
; NumSGPRsForWavesPerEU: 18
; NumVGPRsForWavesPerEU: 20
; Occupancy: 16
; WaveLimiterHint : 0
; COMPUTE_PGM_RSRC2:SCRATCH_EN: 0
; COMPUTE_PGM_RSRC2:USER_SGPR: 15
; COMPUTE_PGM_RSRC2:TRAP_HANDLER: 0
; COMPUTE_PGM_RSRC2:TGID_X_EN: 1
; COMPUTE_PGM_RSRC2:TGID_Y_EN: 0
; COMPUTE_PGM_RSRC2:TGID_Z_EN: 0
; COMPUTE_PGM_RSRC2:TIDIG_COMP_CNT: 1
	.section	.text._ZN4vllm3moe17topkGatingSoftmaxItLi2ELi2ELi8ELi4ELb0ELi2ELNS0_23SharedExpertScoringFuncE1EEEvPKT_PKbPfiPiS9_iiiiii,"axG",@progbits,_ZN4vllm3moe17topkGatingSoftmaxItLi2ELi2ELi8ELi4ELb0ELi2ELNS0_23SharedExpertScoringFuncE1EEEvPKT_PKbPfiPiS9_iiiiii,comdat
	.protected	_ZN4vllm3moe17topkGatingSoftmaxItLi2ELi2ELi8ELi4ELb0ELi2ELNS0_23SharedExpertScoringFuncE1EEEvPKT_PKbPfiPiS9_iiiiii ; -- Begin function _ZN4vllm3moe17topkGatingSoftmaxItLi2ELi2ELi8ELi4ELb0ELi2ELNS0_23SharedExpertScoringFuncE1EEEvPKT_PKbPfiPiS9_iiiiii
	.globl	_ZN4vllm3moe17topkGatingSoftmaxItLi2ELi2ELi8ELi4ELb0ELi2ELNS0_23SharedExpertScoringFuncE1EEEvPKT_PKbPfiPiS9_iiiiii
	.p2align	8
	.type	_ZN4vllm3moe17topkGatingSoftmaxItLi2ELi2ELi8ELi4ELb0ELi2ELNS0_23SharedExpertScoringFuncE1EEEvPKT_PKbPfiPiS9_iiiiii,@function
_ZN4vllm3moe17topkGatingSoftmaxItLi2ELi2ELi8ELi4ELb0ELi2ELNS0_23SharedExpertScoringFuncE1EEEvPKT_PKbPfiPiS9_iiiiii: ; @_ZN4vllm3moe17topkGatingSoftmaxItLi2ELi2ELi8ELi4ELb0ELi2ELNS0_23SharedExpertScoringFuncE1EEEvPKT_PKbPfiPiS9_iiiiii
; %bb.0:
	s_load_b32 s3, s[0:1], 0x18
	v_bfe_u32 v1, v0, 10, 10
	v_and_b32_e32 v8, 0x3ff, v0
	s_lshl_b32 s17, s15, 8
	s_mov_b32 s2, exec_lo
	s_delay_alu instid0(VALU_DEP_2) | instskip(NEXT) | instid1(VALU_DEP_1)
	v_lshlrev_b32_e32 v7, 5, v1
	v_add3_u32 v10, v7, v8, s17
	s_waitcnt lgkmcnt(0)
	s_delay_alu instid0(VALU_DEP_1)
	v_cmpx_gt_i32_e64 s3, v10
	s_cbranch_execz .LBB223_12
; %bb.1:
	s_clause 0x1
	s_load_b128 s[4:7], s[0:1], 0x0
	s_load_b64 s[12:13], s[0:1], 0x10
	s_waitcnt lgkmcnt(0)
	s_cmp_eq_u64 s[6:7], 0
	s_cbranch_scc1 .LBB223_3
; %bb.2:
	v_ashrrev_i32_e32 v1, 31, v10
	v_add_co_u32 v0, vcc_lo, s6, v10
	s_delay_alu instid0(VALU_DEP_2) | instskip(SKIP_3) | instid1(VALU_DEP_1)
	v_add_co_ci_u32_e32 v1, vcc_lo, s7, v1, vcc_lo
	global_load_u8 v0, v[0:1], off
	s_waitcnt vmcnt(0)
	v_and_b32_e32 v0, 1, v0
	v_cmp_eq_u32_e32 vcc_lo, 1, v0
	s_xor_b32 s2, vcc_lo, -1
	s_delay_alu instid0(SALU_CYCLE_1)
	s_or_not1_b32 s16, s2, exec_lo
	s_branch .LBB223_4
.LBB223_3:
	s_mov_b32 s16, -1
.LBB223_4:
	s_load_b64 s[14:15], s[0:1], 0x40
	s_waitcnt lgkmcnt(0)
	v_mul_lo_u32 v0, v10, s15
	s_delay_alu instid0(VALU_DEP_1) | instskip(NEXT) | instid1(VALU_DEP_1)
	v_ashrrev_i32_e32 v1, 31, v0
	v_lshlrev_b64 v[0:1], 1, v[0:1]
	s_delay_alu instid0(VALU_DEP_1) | instskip(NEXT) | instid1(VALU_DEP_2)
	v_add_co_u32 v0, vcc_lo, s4, v0
	v_add_co_ci_u32_e32 v1, vcc_lo, s5, v1, vcc_lo
	s_load_b128 s[4:7], s[0:1], 0x30
	global_load_b64 v[1:2], v[0:1], off
	s_waitcnt lgkmcnt(0)
	s_cmp_gt_i32 s4, 0
	s_waitcnt vmcnt(0)
	v_and_b32_e32 v0, 0xffff, v2
	v_lshrrev_b32_e32 v2, 16, v2
	v_lshrrev_b32_e32 v19, 16, v1
	v_and_b32_e32 v20, 0xffff, v1
	s_delay_alu instid0(VALU_DEP_4) | instskip(NEXT) | instid1(VALU_DEP_4)
	v_cvt_f32_u32_e32 v0, v0
	v_cvt_f32_u32_e32 v2, v2
	s_delay_alu instid0(VALU_DEP_1) | instskip(SKIP_1) | instid1(VALU_DEP_2)
	v_dual_mul_f32 v3, 0xbfb8aa3b, v0 :: v_dual_mul_f32 v4, 0xbfb8aa3b, v2
	v_cmp_nlt_f32_e32 vcc_lo, 0x42ce8ed0, v0
	v_fma_f32 v5, 0xbfb8aa3b, v0, -v3
	v_rndne_f32_e32 v6, v3
	s_delay_alu instid0(VALU_DEP_4) | instskip(SKIP_1) | instid1(VALU_DEP_4)
	v_fma_f32 v9, 0xbfb8aa3b, v2, -v4
	v_rndne_f32_e32 v11, v4
	v_fmac_f32_e32 v5, 0xb2a5705f, v0
	s_delay_alu instid0(VALU_DEP_2) | instskip(NEXT) | instid1(VALU_DEP_1)
	v_dual_fmac_f32 v9, 0xb2a5705f, v2 :: v_dual_sub_f32 v4, v4, v11
	v_dual_sub_f32 v3, v3, v6 :: v_dual_add_f32 v4, v4, v9
	s_delay_alu instid0(VALU_DEP_1) | instskip(SKIP_2) | instid1(VALU_DEP_4)
	v_add_f32_e32 v3, v3, v5
	v_cvt_i32_f32_e32 v5, v6
	v_cvt_i32_f32_e32 v6, v11
	v_exp_f32_e32 v4, v4
	s_delay_alu instid0(VALU_DEP_3) | instskip(SKIP_3) | instid1(VALU_DEP_1)
	v_exp_f32_e32 v3, v3
	s_waitcnt_depctr 0xfff
	v_ldexp_f32 v4, v4, v6
	v_ldexp_f32 v3, v3, v5
	v_cndmask_b32_e32 v3, 0, v3, vcc_lo
	v_cmp_nlt_f32_e32 vcc_lo, 0x42ce8ed0, v2
	s_delay_alu instid0(VALU_DEP_4) | instskip(SKIP_1) | instid1(VALU_DEP_4)
	v_cndmask_b32_e32 v4, 0, v4, vcc_lo
	v_cmp_ngt_f32_e32 vcc_lo, 0xc2b17218, v0
	v_cndmask_b32_e32 v0, 0x7f800000, v3, vcc_lo
	v_cmp_ngt_f32_e32 vcc_lo, 0xc2b17218, v2
	s_delay_alu instid0(VALU_DEP_4) | instskip(NEXT) | instid1(VALU_DEP_1)
	v_cndmask_b32_e32 v2, 0x7f800000, v4, vcc_lo
	v_dual_add_f32 v5, 1.0, v2 :: v_dual_add_f32 v4, 1.0, v0
	v_mul_lo_u32 v0, v10, s7
	s_delay_alu instid0(VALU_DEP_2) | instskip(NEXT) | instid1(VALU_DEP_3)
	v_div_scale_f32 v11, null, v5, v5, 1.0
	v_div_scale_f32 v6, null, v4, v4, 1.0
	v_div_scale_f32 v15, s2, 1.0, v5, 1.0
	s_delay_alu instid0(VALU_DEP_3) | instskip(NEXT) | instid1(VALU_DEP_2)
	v_rcp_f32_e32 v14, v11
	v_rcp_f32_e32 v13, v6
	v_div_scale_f32 v12, vcc_lo, 1.0, v4, 1.0
	s_waitcnt_depctr 0xfff
	v_fma_f32 v3, -v11, v14, 1.0
	v_fma_f32 v2, -v6, v13, 1.0
	s_delay_alu instid0(VALU_DEP_1) | instskip(NEXT) | instid1(VALU_DEP_1)
	v_dual_fmac_f32 v14, v3, v14 :: v_dual_fmac_f32 v13, v2, v13
	v_mul_f32_e32 v17, v15, v14
	s_delay_alu instid0(VALU_DEP_1) | instskip(NEXT) | instid1(VALU_DEP_1)
	v_fma_f32 v18, -v11, v17, v15
	v_dual_mul_f32 v16, v12, v13 :: v_dual_fmac_f32 v17, v18, v14
	s_delay_alu instid0(VALU_DEP_1) | instskip(NEXT) | instid1(VALU_DEP_1)
	v_fma_f32 v9, -v6, v16, v12
	v_fmac_f32_e32 v16, v9, v13
	v_cvt_f32_u32_e32 v9, v19
	v_add_nc_u32_e32 v2, s4, v0
	s_delay_alu instid0(VALU_DEP_1) | instskip(NEXT) | instid1(VALU_DEP_1)
	v_ashrrev_i32_e32 v3, 31, v2
	v_lshlrev_b64 v[1:2], 2, v[2:3]
	v_fma_f32 v3, -v6, v16, v12
	v_fma_f32 v6, -v11, v17, v15
	v_cvt_f32_u32_e32 v12, v20
	s_delay_alu instid0(VALU_DEP_3)
	v_div_fmas_f32 v3, v3, v13, v16
	s_mov_b32 vcc_lo, s2
	v_mov_b32_e32 v13, 0
	v_div_fmas_f32 v6, v6, v14, v17
	v_add_co_u32 v1, vcc_lo, s12, v1
	v_add_co_ci_u32_e32 v2, vcc_lo, s13, v2, vcc_lo
	v_cmp_lt_f32_e32 vcc_lo, v12, v9
	v_div_fixup_f32 v3, v3, v4, 1.0
	v_div_fixup_f32 v4, v6, v5, 1.0
	s_cselect_b32 s2, -1, 0
	s_cmp_lt_i32 s4, 1
	v_cndmask_b32_e32 v11, v12, v9, vcc_lo
	global_store_b64 v[1:2], v[3:4], off
	s_cbranch_scc1 .LBB223_8
; %bb.5:
	v_ashrrev_i32_e32 v1, 31, v0
	v_cndmask_b32_e64 v19, 0, 1, vcc_lo
	s_load_b128 s[8:11], s[0:1], 0x20
	v_cndmask_b32_e32 v12, 0xff800000, v12, vcc_lo
	v_sub_f32_e32 v18, v11, v11
	v_lshlrev_b64 v[5:6], 2, v[0:1]
	v_cmp_le_i32_e32 vcc_lo, s5, v19
	v_cmp_gt_i32_e64 s0, s6, v19
	v_subrev_nc_u32_e32 v15, s5, v19
	v_mul_lo_u32 v2, v10, s14
	v_mul_lo_u32 v13, v10, s4
	s_delay_alu instid0(VALU_DEP_4)
	s_and_b32 s0, vcc_lo, s0
	v_add_co_u32 v5, vcc_lo, s12, v5
	v_add_co_ci_u32_e32 v6, vcc_lo, s13, v6, vcc_lo
	s_and_b32 vcc_lo, s16, s0
	v_dual_mul_f32 v3, 0x3fb8aa3b, v18 :: v_dual_cndmask_b32 v20, 2, v15
	s_cmp_eq_u32 s4, 1
	s_delay_alu instid0(VALU_DEP_1) | instskip(SKIP_1) | instid1(VALU_DEP_1)
	v_rndne_f32_e32 v4, v3
	v_fma_f32 v14, 0x3fb8aa3b, v18, -v3
	v_dual_sub_f32 v3, v3, v4 :: v_dual_fmac_f32 v14, 0x32a5705f, v18
	v_cvt_i32_f32_e32 v17, v4
	s_delay_alu instid0(VALU_DEP_2) | instskip(SKIP_2) | instid1(VALU_DEP_3)
	v_add_f32_e32 v1, v3, v14
	v_ashrrev_i32_e32 v3, 31, v2
	v_ashrrev_i32_e32 v14, 31, v13
	v_exp_f32_e32 v16, v1
	s_delay_alu instid0(VALU_DEP_2) | instskip(NEXT) | instid1(VALU_DEP_2)
	v_lshlrev_b64 v[1:2], 2, v[2:3]
	v_lshlrev_b64 v[3:4], 2, v[13:14]
	s_waitcnt lgkmcnt(0)
	s_delay_alu instid0(VALU_DEP_2) | instskip(NEXT) | instid1(VALU_DEP_3)
	v_add_co_u32 v14, vcc_lo, s8, v1
	v_add_co_ci_u32_e32 v15, vcc_lo, s9, v2, vcc_lo
	s_waitcnt_depctr 0xfff
	v_ldexp_f32 v13, v16, v17
	v_cmp_ngt_f32_e32 vcc_lo, 0xc2ce8ed0, v18
	s_delay_alu instid0(VALU_DEP_2) | instskip(SKIP_3) | instid1(VALU_DEP_4)
	v_cndmask_b32_e32 v13, 0, v13, vcc_lo
	v_add_co_u32 v16, vcc_lo, s10, v3
	v_add_co_ci_u32_e32 v17, vcc_lo, s11, v4, vcc_lo
	v_cmp_nlt_f32_e32 vcc_lo, 0x42b17218, v18
	v_cndmask_b32_e32 v13, 0x7f800000, v13, vcc_lo
	v_cmp_ne_u32_e32 vcc_lo, 1, v19
	global_store_b32 v[14:15], v20, off
	global_store_b32 v[5:6], v13, off
	;; [unrolled: 1-line block ×3, first 2 shown]
	v_cndmask_b32_e32 v9, 0xff800000, v9, vcc_lo
	s_cbranch_scc1 .LBB223_8
; %bb.6:
	v_add_co_u32 v3, vcc_lo, v3, s10
	v_add_co_ci_u32_e32 v4, vcc_lo, s11, v4, vcc_lo
	v_add_co_u32 v10, vcc_lo, v1, s8
	v_add_co_ci_u32_e32 v14, vcc_lo, s9, v2, vcc_lo
	s_delay_alu instid0(VALU_DEP_4) | instskip(NEXT) | instid1(VALU_DEP_4)
	v_add_co_u32 v1, vcc_lo, v3, 4
	v_add_co_ci_u32_e32 v2, vcc_lo, 0, v4, vcc_lo
	s_delay_alu instid0(VALU_DEP_4) | instskip(NEXT) | instid1(VALU_DEP_4)
	v_add_co_u32 v3, vcc_lo, v10, 4
	v_add_co_ci_u32_e32 v4, vcc_lo, 0, v14, vcc_lo
	s_add_i32 s17, s17, s3
	v_add_co_u32 v5, vcc_lo, v5, 4
	v_add_co_ci_u32_e32 v6, vcc_lo, 0, v6, vcc_lo
	v_add3_u32 v7, s17, v8, v7
	s_add_i32 s1, s4, -1
.LBB223_7:                              ; =>This Inner Loop Header: Depth=1
	v_cmp_gt_f32_e32 vcc_lo, v9, v12
	s_add_i32 s1, s1, -1
	v_cndmask_b32_e64 v10, 0, 1, vcc_lo
	v_cndmask_b32_e32 v8, v12, v9, vcc_lo
	v_cndmask_b32_e64 v9, v9, 0xff800000, vcc_lo
	v_cndmask_b32_e32 v12, 0xff800000, v12, vcc_lo
	s_delay_alu instid0(VALU_DEP_4) | instskip(SKIP_2) | instid1(VALU_DEP_2)
	v_cmp_le_i32_e32 vcc_lo, s5, v10
	v_cmp_gt_i32_e64 s0, s6, v10
	v_subrev_nc_u32_e32 v10, s5, v10
	s_and_b32 s0, vcc_lo, s0
	s_delay_alu instid0(SALU_CYCLE_1) | instskip(SKIP_1) | instid1(VALU_DEP_1)
	s_and_b32 vcc_lo, s16, s0
	s_cmp_eq_u32 s1, 0
	v_cndmask_b32_e32 v10, 2, v10, vcc_lo
	global_store_b32 v[3:4], v10, off
	global_store_b32 v[1:2], v7, off
	v_add_nc_u32_e32 v7, s3, v7
	v_sub_f32_e32 v8, v8, v11
	v_add_co_u32 v1, vcc_lo, v1, 4
	v_add_co_ci_u32_e32 v2, vcc_lo, 0, v2, vcc_lo
	s_delay_alu instid0(VALU_DEP_3) | instskip(SKIP_2) | instid1(VALU_DEP_3)
	v_mul_f32_e32 v14, 0x3fb8aa3b, v8
	v_add_co_u32 v3, vcc_lo, v3, 4
	v_add_co_ci_u32_e32 v4, vcc_lo, 0, v4, vcc_lo
	v_fma_f32 v15, 0x3fb8aa3b, v8, -v14
	v_rndne_f32_e32 v16, v14
	v_cmp_ngt_f32_e32 vcc_lo, 0xc2ce8ed0, v8
	s_delay_alu instid0(VALU_DEP_3) | instskip(NEXT) | instid1(VALU_DEP_3)
	v_fmac_f32_e32 v15, 0x32a5705f, v8
	v_sub_f32_e32 v14, v14, v16
	v_cvt_i32_f32_e32 v16, v16
	s_delay_alu instid0(VALU_DEP_2) | instskip(NEXT) | instid1(VALU_DEP_1)
	v_add_f32_e32 v10, v14, v15
	v_exp_f32_e32 v10, v10
	s_waitcnt_depctr 0xfff
	v_ldexp_f32 v10, v10, v16
	s_delay_alu instid0(VALU_DEP_1) | instskip(SKIP_1) | instid1(VALU_DEP_2)
	v_cndmask_b32_e32 v10, 0, v10, vcc_lo
	v_cmp_nlt_f32_e32 vcc_lo, 0x42b17218, v8
	v_cndmask_b32_e32 v8, 0x7f800000, v10, vcc_lo
	s_delay_alu instid0(VALU_DEP_1)
	v_add_f32_e32 v13, v13, v8
	global_store_b32 v[5:6], v8, off
	v_add_co_u32 v5, vcc_lo, v5, 4
	v_add_co_ci_u32_e32 v6, vcc_lo, 0, v6, vcc_lo
	s_cbranch_scc0 .LBB223_7
.LBB223_8:
	s_delay_alu instid0(VALU_DEP_1) | instskip(NEXT) | instid1(VALU_DEP_1)
	v_sub_f32_e32 v2, v9, v11
	v_dual_sub_f32 v1, v12, v11 :: v_dual_mul_f32 v4, 0x3fb8aa3b, v2
	s_delay_alu instid0(VALU_DEP_1) | instskip(SKIP_1) | instid1(VALU_DEP_3)
	v_mul_f32_e32 v3, 0x3fb8aa3b, v1
	v_cmp_ngt_f32_e32 vcc_lo, 0xc2ce8ed0, v1
	v_fma_f32 v7, 0x3fb8aa3b, v2, -v4
	s_delay_alu instid0(VALU_DEP_3) | instskip(SKIP_2) | instid1(VALU_DEP_4)
	v_fma_f32 v5, 0x3fb8aa3b, v1, -v3
	v_rndne_f32_e32 v6, v3
	v_rndne_f32_e32 v8, v4
	v_fmac_f32_e32 v7, 0x32a5705f, v2
	s_delay_alu instid0(VALU_DEP_2) | instskip(NEXT) | instid1(VALU_DEP_1)
	v_dual_fmac_f32 v5, 0x32a5705f, v1 :: v_dual_sub_f32 v4, v4, v8
	v_dual_sub_f32 v3, v3, v6 :: v_dual_add_f32 v4, v4, v7
	s_delay_alu instid0(VALU_DEP_1) | instskip(SKIP_2) | instid1(VALU_DEP_4)
	v_add_f32_e32 v3, v3, v5
	v_cvt_i32_f32_e32 v5, v6
	v_cvt_i32_f32_e32 v6, v8
	v_exp_f32_e32 v4, v4
	s_delay_alu instid0(VALU_DEP_3) | instskip(SKIP_3) | instid1(VALU_DEP_1)
	v_exp_f32_e32 v3, v3
	s_waitcnt_depctr 0xfff
	v_ldexp_f32 v4, v4, v6
	v_ldexp_f32 v3, v3, v5
	v_cndmask_b32_e32 v3, 0, v3, vcc_lo
	v_cmp_ngt_f32_e32 vcc_lo, 0xc2ce8ed0, v2
	s_delay_alu instid0(VALU_DEP_4) | instskip(SKIP_1) | instid1(VALU_DEP_4)
	v_cndmask_b32_e32 v4, 0, v4, vcc_lo
	v_cmp_nlt_f32_e32 vcc_lo, 0x42b17218, v1
	v_cndmask_b32_e32 v1, 0x7f800000, v3, vcc_lo
	v_cmp_nlt_f32_e32 vcc_lo, 0x42b17218, v2
	s_delay_alu instid0(VALU_DEP_4) | instskip(NEXT) | instid1(VALU_DEP_1)
	v_cndmask_b32_e32 v2, 0x7f800000, v4, vcc_lo
	v_add_f32_e32 v1, v1, v2
	s_delay_alu instid0(VALU_DEP_1) | instskip(NEXT) | instid1(VALU_DEP_1)
	v_add_f32_e32 v2, v13, v1
	v_cmp_neq_f32_e32 vcc_lo, 0, v2
	s_and_b32 exec_lo, exec_lo, vcc_lo
	s_cbranch_execz .LBB223_12
; %bb.9:
	s_and_not1_b32 vcc_lo, exec_lo, s2
	s_cbranch_vccnz .LBB223_12
; %bb.10:
	v_div_scale_f32 v1, null, v2, v2, 1.0
	v_div_scale_f32 v5, vcc_lo, 1.0, v2, 1.0
	s_delay_alu instid0(VALU_DEP_2) | instskip(SKIP_2) | instid1(VALU_DEP_1)
	v_rcp_f32_e32 v3, v1
	s_waitcnt_depctr 0xfff
	v_fma_f32 v4, -v1, v3, 1.0
	v_fmac_f32_e32 v3, v4, v3
	s_delay_alu instid0(VALU_DEP_1) | instskip(NEXT) | instid1(VALU_DEP_1)
	v_mul_f32_e32 v4, v5, v3
	v_fma_f32 v6, -v1, v4, v5
	s_delay_alu instid0(VALU_DEP_1) | instskip(NEXT) | instid1(VALU_DEP_1)
	v_fmac_f32_e32 v4, v6, v3
	v_fma_f32 v5, -v1, v4, v5
	v_ashrrev_i32_e32 v1, 31, v0
	s_delay_alu instid0(VALU_DEP_2) | instskip(NEXT) | instid1(VALU_DEP_2)
	v_div_fmas_f32 v3, v5, v3, v4
	v_lshlrev_b64 v[0:1], 2, v[0:1]
	s_delay_alu instid0(VALU_DEP_2) | instskip(NEXT) | instid1(VALU_DEP_2)
	v_div_fixup_f32 v2, v3, v2, 1.0
	v_add_co_u32 v0, vcc_lo, s12, v0
	s_delay_alu instid0(VALU_DEP_3)
	v_add_co_ci_u32_e32 v1, vcc_lo, s13, v1, vcc_lo
.LBB223_11:                             ; =>This Inner Loop Header: Depth=1
	global_load_b32 v3, v[0:1], off
	s_add_i32 s4, s4, -1
	s_delay_alu instid0(SALU_CYCLE_1)
	s_cmp_lg_u32 s4, 0
	s_waitcnt vmcnt(0)
	v_mul_f32_e32 v3, v2, v3
	global_store_b32 v[0:1], v3, off
	v_add_co_u32 v0, vcc_lo, v0, 4
	v_add_co_ci_u32_e32 v1, vcc_lo, 0, v1, vcc_lo
	s_cbranch_scc1 .LBB223_11
.LBB223_12:
	s_nop 0
	s_sendmsg sendmsg(MSG_DEALLOC_VGPRS)
	s_endpgm
	.section	.rodata,"a",@progbits
	.p2align	6, 0x0
	.amdhsa_kernel _ZN4vllm3moe17topkGatingSoftmaxItLi2ELi2ELi8ELi4ELb0ELi2ELNS0_23SharedExpertScoringFuncE1EEEvPKT_PKbPfiPiS9_iiiiii
		.amdhsa_group_segment_fixed_size 0
		.amdhsa_private_segment_fixed_size 0
		.amdhsa_kernarg_size 72
		.amdhsa_user_sgpr_count 15
		.amdhsa_user_sgpr_dispatch_ptr 0
		.amdhsa_user_sgpr_queue_ptr 0
		.amdhsa_user_sgpr_kernarg_segment_ptr 1
		.amdhsa_user_sgpr_dispatch_id 0
		.amdhsa_user_sgpr_private_segment_size 0
		.amdhsa_wavefront_size32 1
		.amdhsa_uses_dynamic_stack 0
		.amdhsa_enable_private_segment 0
		.amdhsa_system_sgpr_workgroup_id_x 1
		.amdhsa_system_sgpr_workgroup_id_y 0
		.amdhsa_system_sgpr_workgroup_id_z 0
		.amdhsa_system_sgpr_workgroup_info 0
		.amdhsa_system_vgpr_workitem_id 1
		.amdhsa_next_free_vgpr 21
		.amdhsa_next_free_sgpr 18
		.amdhsa_reserve_vcc 1
		.amdhsa_float_round_mode_32 0
		.amdhsa_float_round_mode_16_64 0
		.amdhsa_float_denorm_mode_32 3
		.amdhsa_float_denorm_mode_16_64 3
		.amdhsa_dx10_clamp 1
		.amdhsa_ieee_mode 1
		.amdhsa_fp16_overflow 0
		.amdhsa_workgroup_processor_mode 1
		.amdhsa_memory_ordered 1
		.amdhsa_forward_progress 0
		.amdhsa_shared_vgpr_count 0
		.amdhsa_exception_fp_ieee_invalid_op 0
		.amdhsa_exception_fp_denorm_src 0
		.amdhsa_exception_fp_ieee_div_zero 0
		.amdhsa_exception_fp_ieee_overflow 0
		.amdhsa_exception_fp_ieee_underflow 0
		.amdhsa_exception_fp_ieee_inexact 0
		.amdhsa_exception_int_div_zero 0
	.end_amdhsa_kernel
	.section	.text._ZN4vllm3moe17topkGatingSoftmaxItLi2ELi2ELi8ELi4ELb0ELi2ELNS0_23SharedExpertScoringFuncE1EEEvPKT_PKbPfiPiS9_iiiiii,"axG",@progbits,_ZN4vllm3moe17topkGatingSoftmaxItLi2ELi2ELi8ELi4ELb0ELi2ELNS0_23SharedExpertScoringFuncE1EEEvPKT_PKbPfiPiS9_iiiiii,comdat
.Lfunc_end223:
	.size	_ZN4vllm3moe17topkGatingSoftmaxItLi2ELi2ELi8ELi4ELb0ELi2ELNS0_23SharedExpertScoringFuncE1EEEvPKT_PKbPfiPiS9_iiiiii, .Lfunc_end223-_ZN4vllm3moe17topkGatingSoftmaxItLi2ELi2ELi8ELi4ELb0ELi2ELNS0_23SharedExpertScoringFuncE1EEEvPKT_PKbPfiPiS9_iiiiii
                                        ; -- End function
	.section	.AMDGPU.csdata,"",@progbits
; Kernel info:
; codeLenInByte = 1820
; NumSgprs: 20
; NumVgprs: 21
; ScratchSize: 0
; MemoryBound: 0
; FloatMode: 240
; IeeeMode: 1
; LDSByteSize: 0 bytes/workgroup (compile time only)
; SGPRBlocks: 2
; VGPRBlocks: 2
; NumSGPRsForWavesPerEU: 20
; NumVGPRsForWavesPerEU: 21
; Occupancy: 16
; WaveLimiterHint : 0
; COMPUTE_PGM_RSRC2:SCRATCH_EN: 0
; COMPUTE_PGM_RSRC2:USER_SGPR: 15
; COMPUTE_PGM_RSRC2:TRAP_HANDLER: 0
; COMPUTE_PGM_RSRC2:TGID_X_EN: 1
; COMPUTE_PGM_RSRC2:TGID_Y_EN: 0
; COMPUTE_PGM_RSRC2:TGID_Z_EN: 0
; COMPUTE_PGM_RSRC2:TIDIG_COMP_CNT: 1
	.section	.text._ZN4vllm3moe17topkGatingSoftmaxItLi2ELi2ELi8ELi4ELb1ELi4ELNS0_23SharedExpertScoringFuncE1EEEvPKT_PKbPfiPiS9_iiiiii,"axG",@progbits,_ZN4vllm3moe17topkGatingSoftmaxItLi2ELi2ELi8ELi4ELb1ELi4ELNS0_23SharedExpertScoringFuncE1EEEvPKT_PKbPfiPiS9_iiiiii,comdat
	.protected	_ZN4vllm3moe17topkGatingSoftmaxItLi2ELi2ELi8ELi4ELb1ELi4ELNS0_23SharedExpertScoringFuncE1EEEvPKT_PKbPfiPiS9_iiiiii ; -- Begin function _ZN4vllm3moe17topkGatingSoftmaxItLi2ELi2ELi8ELi4ELb1ELi4ELNS0_23SharedExpertScoringFuncE1EEEvPKT_PKbPfiPiS9_iiiiii
	.globl	_ZN4vllm3moe17topkGatingSoftmaxItLi2ELi2ELi8ELi4ELb1ELi4ELNS0_23SharedExpertScoringFuncE1EEEvPKT_PKbPfiPiS9_iiiiii
	.p2align	8
	.type	_ZN4vllm3moe17topkGatingSoftmaxItLi2ELi2ELi8ELi4ELb1ELi4ELNS0_23SharedExpertScoringFuncE1EEEvPKT_PKbPfiPiS9_iiiiii,@function
_ZN4vllm3moe17topkGatingSoftmaxItLi2ELi2ELi8ELi4ELb1ELi4ELNS0_23SharedExpertScoringFuncE1EEEvPKT_PKbPfiPiS9_iiiiii: ; @_ZN4vllm3moe17topkGatingSoftmaxItLi2ELi2ELi8ELi4ELb1ELi4ELNS0_23SharedExpertScoringFuncE1EEEvPKT_PKbPfiPiS9_iiiiii
; %bb.0:
	s_load_b32 s14, s[0:1], 0x18
	v_bfe_u32 v1, v0, 10, 10
	v_and_b32_e32 v9, 0x3ff, v0
	s_lshl_b32 s16, s15, 8
	s_mov_b32 s2, exec_lo
	s_delay_alu instid0(VALU_DEP_2) | instskip(NEXT) | instid1(VALU_DEP_1)
	v_lshlrev_b32_e32 v8, 5, v1
	v_add3_u32 v10, v8, v9, s16
	s_waitcnt lgkmcnt(0)
	s_delay_alu instid0(VALU_DEP_1)
	v_cmpx_gt_i32_e64 s14, v10
	s_cbranch_execz .LBB224_12
; %bb.1:
	s_clause 0x1
	s_load_b128 s[4:7], s[0:1], 0x0
	s_load_b64 s[12:13], s[0:1], 0x10
	s_waitcnt lgkmcnt(0)
	s_cmp_eq_u64 s[6:7], 0
	s_cbranch_scc1 .LBB224_3
; %bb.2:
	v_ashrrev_i32_e32 v1, 31, v10
	v_add_co_u32 v0, vcc_lo, s6, v10
	s_delay_alu instid0(VALU_DEP_2) | instskip(SKIP_3) | instid1(VALU_DEP_1)
	v_add_co_ci_u32_e32 v1, vcc_lo, s7, v1, vcc_lo
	global_load_u8 v0, v[0:1], off
	s_waitcnt vmcnt(0)
	v_and_b32_e32 v0, 1, v0
	v_cmp_eq_u32_e32 vcc_lo, 1, v0
	s_xor_b32 s2, vcc_lo, -1
	s_delay_alu instid0(SALU_CYCLE_1)
	s_or_not1_b32 s15, s2, exec_lo
	s_branch .LBB224_4
.LBB224_3:
	s_mov_b32 s15, -1
.LBB224_4:
	s_clause 0x1
	s_load_b64 s[6:7], s[0:1], 0x40
	s_load_b128 s[8:11], s[0:1], 0x30
	s_waitcnt lgkmcnt(0)
	v_mul_lo_u32 v0, v10, s7
	s_cmp_gt_i32 s8, 0
	s_delay_alu instid0(VALU_DEP_1) | instskip(NEXT) | instid1(VALU_DEP_1)
	v_ashrrev_i32_e32 v1, 31, v0
	v_lshlrev_b64 v[0:1], 1, v[0:1]
	s_delay_alu instid0(VALU_DEP_1) | instskip(NEXT) | instid1(VALU_DEP_2)
	v_add_co_u32 v0, vcc_lo, s4, v0
	v_add_co_ci_u32_e32 v1, vcc_lo, s5, v1, vcc_lo
	global_load_b96 v[0:2], v[0:1], off
	s_waitcnt vmcnt(0)
	v_and_b32_e32 v3, 0xffff, v1
	v_lshrrev_b32_e32 v1, 16, v1
	s_delay_alu instid0(VALU_DEP_1) | instskip(NEXT) | instid1(VALU_DEP_1)
	v_cvt_f32_u32_e32 v1, v1
	v_mul_f32_e32 v6, 0xbfb8aa3b, v1
	s_delay_alu instid0(VALU_DEP_1) | instskip(SKIP_1) | instid1(VALU_DEP_2)
	v_rndne_f32_e32 v15, v6
	v_fma_f32 v14, 0xbfb8aa3b, v1, -v6
	v_sub_f32_e32 v6, v6, v15
	v_cvt_f32_u32_e32 v3, v3
	s_delay_alu instid0(VALU_DEP_3) | instskip(NEXT) | instid1(VALU_DEP_1)
	v_fmac_f32_e32 v14, 0xb2a5705f, v1
	v_dual_mul_f32 v5, 0xbfb8aa3b, v3 :: v_dual_add_f32 v6, v6, v14
	v_cmp_nlt_f32_e32 vcc_lo, 0x42ce8ed0, v3
	s_delay_alu instid0(VALU_DEP_2)
	v_rndne_f32_e32 v13, v5
	v_and_b32_e32 v4, 0xffff, v2
	v_lshrrev_b32_e32 v2, 16, v2
	v_fma_f32 v12, 0xbfb8aa3b, v3, -v5
	v_exp_f32_e32 v6, v6
	v_sub_f32_e32 v5, v5, v13
	v_cvt_f32_u32_e32 v4, v4
	v_cvt_f32_u32_e32 v2, v2
	s_delay_alu instid0(VALU_DEP_2) | instskip(NEXT) | instid1(VALU_DEP_2)
	v_mul_f32_e32 v7, 0xbfb8aa3b, v4
	v_mul_f32_e32 v11, 0xbfb8aa3b, v2
	s_delay_alu instid0(VALU_DEP_2) | instskip(NEXT) | instid1(VALU_DEP_2)
	v_rndne_f32_e32 v17, v7
	v_fma_f32 v18, 0xbfb8aa3b, v2, -v11
	v_fmac_f32_e32 v12, 0xb2a5705f, v3
	v_fma_f32 v16, 0xbfb8aa3b, v4, -v7
	v_rndne_f32_e32 v19, v11
	s_delay_alu instid0(VALU_DEP_4) | instskip(NEXT) | instid1(VALU_DEP_4)
	v_dual_sub_f32 v7, v7, v17 :: v_dual_fmac_f32 v18, 0xb2a5705f, v2
	v_add_f32_e32 v5, v5, v12
	v_cvt_i32_f32_e32 v12, v13
	s_delay_alu instid0(VALU_DEP_4) | instskip(SKIP_1) | instid1(VALU_DEP_4)
	v_dual_sub_f32 v11, v11, v19 :: v_dual_fmac_f32 v16, 0xb2a5705f, v4
	v_cvt_i32_f32_e32 v13, v15
	v_exp_f32_e32 v5, v5
	v_cvt_i32_f32_e32 v14, v17
	s_delay_alu instid0(VALU_DEP_3) | instskip(SKIP_2) | instid1(VALU_DEP_3)
	v_add_f32_e32 v11, v11, v18
	v_cvt_i32_f32_e32 v15, v19
	v_ldexp_f32 v6, v6, v13
	v_exp_f32_e32 v11, v11
	s_waitcnt_depctr 0xfff
	v_ldexp_f32 v5, v5, v12
	s_delay_alu instid0(VALU_DEP_1) | instskip(SKIP_4) | instid1(VALU_DEP_3)
	v_cndmask_b32_e32 v5, 0, v5, vcc_lo
	v_cmp_nlt_f32_e32 vcc_lo, 0x42ce8ed0, v1
	v_add_f32_e32 v7, v7, v16
	v_ldexp_f32 v11, v11, v15
	v_cndmask_b32_e32 v6, 0, v6, vcc_lo
	v_exp_f32_e32 v7, v7
	v_cmp_nlt_f32_e32 vcc_lo, 0x42ce8ed0, v4
	s_waitcnt_depctr 0xfff
	v_ldexp_f32 v7, v7, v14
	s_delay_alu instid0(VALU_DEP_1)
	v_cndmask_b32_e32 v7, 0, v7, vcc_lo
	v_cmp_nlt_f32_e32 vcc_lo, 0x42ce8ed0, v2
	v_cndmask_b32_e32 v11, 0, v11, vcc_lo
	v_cmp_ngt_f32_e32 vcc_lo, 0xc2b17218, v3
	v_cndmask_b32_e32 v3, 0x7f800000, v5, vcc_lo
	v_cmp_ngt_f32_e32 vcc_lo, 0xc2b17218, v1
	;; [unrolled: 2-line block ×4, first 2 shown]
	s_delay_alu instid0(VALU_DEP_2) | instskip(NEXT) | instid1(VALU_DEP_1)
	v_add_f32_e32 v4, 1.0, v4
	v_div_scale_f32 v13, null, v4, v4, 1.0
	v_div_scale_f32 v21, s3, 1.0, v4, 1.0
	s_delay_alu instid0(VALU_DEP_2) | instskip(SKIP_2) | instid1(VALU_DEP_1)
	v_rcp_f32_e32 v17, v13
	s_waitcnt_depctr 0xfff
	v_fma_f32 v22, -v13, v17, 1.0
	v_dual_cndmask_b32 v2, 0x7f800000, v11 :: v_dual_fmac_f32 v17, v22, v17
	s_delay_alu instid0(VALU_DEP_1) | instskip(NEXT) | instid1(VALU_DEP_1)
	v_dual_add_f32 v12, 1.0, v2 :: v_dual_mul_f32 v25, v21, v17
	v_div_scale_f32 v14, null, v12, v12, 1.0
	v_div_scale_f32 v24, s4, 1.0, v12, 1.0
	s_delay_alu instid0(VALU_DEP_3) | instskip(NEXT) | instid1(VALU_DEP_3)
	v_fma_f32 v29, -v13, v25, v21
	v_rcp_f32_e32 v18, v14
	s_delay_alu instid0(VALU_DEP_1) | instskip(NEXT) | instid1(VALU_DEP_1)
	v_fmac_f32_e32 v25, v29, v17
	v_fma_f32 v13, -v13, v25, v21
	s_waitcnt_depctr 0xfff
	v_fma_f32 v23, -v14, v18, 1.0
	s_delay_alu instid0(VALU_DEP_1) | instskip(NEXT) | instid1(VALU_DEP_1)
	v_dual_fmac_f32 v18, v23, v18 :: v_dual_add_f32 v5, 1.0, v3
	v_mul_f32_e32 v26, v24, v18
	s_delay_alu instid0(VALU_DEP_2) | instskip(SKIP_1) | instid1(VALU_DEP_3)
	v_div_scale_f32 v6, null, v5, v5, 1.0
	v_div_scale_f32 v19, vcc_lo, 1.0, v5, 1.0
	v_fma_f32 v30, -v14, v26, v24
	s_delay_alu instid0(VALU_DEP_3) | instskip(NEXT) | instid1(VALU_DEP_1)
	v_rcp_f32_e32 v15, v6
	v_fmac_f32_e32 v26, v30, v18
	s_delay_alu instid0(VALU_DEP_1) | instskip(SKIP_2) | instid1(VALU_DEP_1)
	v_fma_f32 v14, -v14, v26, v24
	s_waitcnt_depctr 0xfff
	v_fma_f32 v2, -v6, v15, 1.0
	v_fmac_f32_e32 v15, v2, v15
	s_delay_alu instid0(VALU_DEP_1) | instskip(NEXT) | instid1(VALU_DEP_1)
	v_mul_f32_e32 v22, v19, v15
	v_fma_f32 v27, -v6, v22, v19
	s_delay_alu instid0(VALU_DEP_1) | instskip(SKIP_1) | instid1(VALU_DEP_2)
	v_dual_fmac_f32 v22, v27, v15 :: v_dual_add_f32 v11, 1.0, v1
	v_mul_lo_u32 v1, v10, s11
	v_fma_f32 v6, -v6, v22, v19
	s_delay_alu instid0(VALU_DEP_3) | instskip(SKIP_1) | instid1(VALU_DEP_4)
	v_div_scale_f32 v7, null, v11, v11, 1.0
	v_div_scale_f32 v20, s2, 1.0, v11, 1.0
	v_add_nc_u32_e32 v2, s8, v1
	s_delay_alu instid0(VALU_DEP_3)
	v_rcp_f32_e32 v16, v7
	v_div_fmas_f32 v15, v6, v15, v22
	s_mov_b32 vcc_lo, s2
	s_cselect_b32 s2, -1, 0
	s_cmp_lt_i32 s8, 1
	s_waitcnt_depctr 0xfff
	v_fma_f32 v3, -v7, v16, 1.0
	s_delay_alu instid0(VALU_DEP_1) | instskip(SKIP_1) | instid1(VALU_DEP_2)
	v_fmac_f32_e32 v16, v3, v16
	v_ashrrev_i32_e32 v3, 31, v2
	v_mul_f32_e32 v23, v20, v16
	s_delay_alu instid0(VALU_DEP_2) | instskip(NEXT) | instid1(VALU_DEP_2)
	v_lshlrev_b64 v[2:3], 2, v[2:3]
	v_fma_f32 v28, -v7, v23, v20
	s_delay_alu instid0(VALU_DEP_1) | instskip(NEXT) | instid1(VALU_DEP_1)
	v_fmac_f32_e32 v23, v28, v16
	v_fma_f32 v7, -v7, v23, v20
	s_delay_alu instid0(VALU_DEP_1)
	v_div_fmas_f32 v16, v7, v16, v23
	s_mov_b32 vcc_lo, s3
	v_div_fmas_f32 v13, v13, v17, v25
	s_mov_b32 vcc_lo, s4
	v_div_fmas_f32 v14, v14, v18, v26
	v_add_co_u32 v6, vcc_lo, s12, v2
	v_add_co_ci_u32_e32 v7, vcc_lo, s13, v3, vcc_lo
	v_div_fixup_f32 v2, v15, v5, 1.0
	v_div_fixup_f32 v3, v16, v11, 1.0
	v_div_fixup_f32 v4, v13, v4, 1.0
	v_div_fixup_f32 v5, v14, v12, 1.0
	v_mov_b32_e32 v11, 0
	global_store_b128 v[6:7], v[2:5], off
	s_cbranch_scc1 .LBB224_8
; %bb.5:
	v_lshrrev_b32_e32 v2, 16, v0
	v_and_b32_e32 v0, 0xffff, v0
	v_mul_lo_u32 v3, v10, s6
	s_load_b128 s[4:7], s[0:1], 0x20
	v_mul_lo_u32 v15, v10, s8
	v_cvt_f32_u32_e32 v12, v2
	v_cvt_f32_u32_e32 v13, v0
	s_delay_alu instid0(VALU_DEP_1) | instskip(NEXT) | instid1(VALU_DEP_4)
	v_cmp_lt_f32_e32 vcc_lo, v13, v12
	v_ashrrev_i32_e32 v16, 31, v15
	v_cndmask_b32_e32 v0, v13, v12, vcc_lo
	s_delay_alu instid0(VALU_DEP_1) | instskip(NEXT) | instid1(VALU_DEP_1)
	v_sub_f32_e32 v11, v0, v0
	v_mul_f32_e32 v2, 0x3fb8aa3b, v11
	s_delay_alu instid0(VALU_DEP_1) | instskip(NEXT) | instid1(VALU_DEP_1)
	v_rndne_f32_e32 v5, v2
	v_sub_f32_e32 v6, v2, v5
	v_fma_f32 v4, 0x3fb8aa3b, v11, -v2
	v_ashrrev_i32_e32 v2, 31, v1
	v_cvt_i32_f32_e32 v5, v5
	s_delay_alu instid0(VALU_DEP_3) | instskip(NEXT) | instid1(VALU_DEP_1)
	v_fmac_f32_e32 v4, 0x32a5705f, v11
	v_add_f32_e32 v14, v6, v4
	s_delay_alu instid0(VALU_DEP_4) | instskip(SKIP_1) | instid1(VALU_DEP_3)
	v_lshlrev_b64 v[6:7], 2, v[1:2]
	v_ashrrev_i32_e32 v4, 31, v3
	v_exp_f32_e32 v17, v14
	v_cndmask_b32_e64 v14, 0, 1, vcc_lo
	s_delay_alu instid0(VALU_DEP_3) | instskip(NEXT) | instid1(VALU_DEP_1)
	v_add_co_u32 v6, s0, s12, v6
	v_add_co_ci_u32_e64 v7, s0, s13, v7, s0
	s_delay_alu instid0(VALU_DEP_3) | instskip(SKIP_3) | instid1(TRANS32_DEP_1)
	v_cmp_le_i32_e64 s0, s9, v14
	v_cmp_gt_i32_e64 s1, s10, v14
	v_lshlrev_b64 v[2:3], 2, v[3:4]
	v_subrev_nc_u32_e32 v18, s9, v14
	v_ldexp_f32 v17, v17, v5
	v_lshlrev_b64 v[4:5], 2, v[15:16]
	s_and_b32 s1, s0, s1
	v_cmp_ngt_f32_e64 s0, 0xc2ce8ed0, v11
	s_delay_alu instid0(VALU_DEP_1) | instskip(SKIP_2) | instid1(VALU_DEP_1)
	v_cndmask_b32_e64 v17, 0, v17, s0
	s_waitcnt lgkmcnt(0)
	v_add_co_u32 v15, s0, s4, v2
	v_add_co_ci_u32_e64 v16, s0, s5, v3, s0
	s_and_b32 s0, s15, s1
	s_cmp_eq_u32 s8, 1
	v_cndmask_b32_e64 v19, 2, v18, s0
	v_cmp_nlt_f32_e64 s0, 0x42b17218, v11
	s_delay_alu instid0(VALU_DEP_1) | instskip(SKIP_1) | instid1(VALU_DEP_1)
	v_cndmask_b32_e64 v11, 0x7f800000, v17, s0
	v_add_co_u32 v17, s0, s6, v4
	v_add_co_ci_u32_e64 v18, s0, s7, v5, s0
	global_store_b32 v[15:16], v19, off
	global_store_b32 v[6:7], v11, off
	;; [unrolled: 1-line block ×3, first 2 shown]
	s_cbranch_scc1 .LBB224_8
; %bb.6:
	v_cndmask_b32_e32 v10, 0xff800000, v13, vcc_lo
	v_cmp_ne_u32_e32 vcc_lo, 1, v14
	s_add_i32 s16, s16, s14
	s_add_i32 s1, s8, -1
	v_add3_u32 v8, s16, v9, v8
	v_cndmask_b32_e32 v12, 0xff800000, v12, vcc_lo
	v_add_co_u32 v4, vcc_lo, v4, s6
	v_add_co_ci_u32_e32 v5, vcc_lo, s7, v5, vcc_lo
	v_add_co_u32 v13, vcc_lo, v2, s4
	v_add_co_ci_u32_e32 v14, vcc_lo, s5, v3, vcc_lo
	s_delay_alu instid0(VALU_DEP_4) | instskip(NEXT) | instid1(VALU_DEP_4)
	v_add_co_u32 v2, vcc_lo, v4, 4
	v_add_co_ci_u32_e32 v3, vcc_lo, 0, v5, vcc_lo
	s_delay_alu instid0(VALU_DEP_4) | instskip(NEXT) | instid1(VALU_DEP_4)
	v_add_co_u32 v4, vcc_lo, v13, 4
	v_add_co_ci_u32_e32 v5, vcc_lo, 0, v14, vcc_lo
	v_add_co_u32 v6, vcc_lo, v6, 4
	v_add_co_ci_u32_e32 v7, vcc_lo, 0, v7, vcc_lo
.LBB224_7:                              ; =>This Inner Loop Header: Depth=1
	v_cmp_gt_f32_e32 vcc_lo, v12, v10
	s_add_i32 s1, s1, -1
	v_cndmask_b32_e32 v9, v10, v12, vcc_lo
	v_cndmask_b32_e64 v13, 0, 1, vcc_lo
	v_cndmask_b32_e64 v12, v12, 0xff800000, vcc_lo
	s_delay_alu instid0(VALU_DEP_3) | instskip(NEXT) | instid1(VALU_DEP_3)
	v_dual_cndmask_b32 v10, 0xff800000, v10 :: v_dual_sub_f32 v9, v9, v0
	v_cmp_le_i32_e32 vcc_lo, s9, v13
	v_cmp_gt_i32_e64 s0, s10, v13
	v_subrev_nc_u32_e32 v13, s9, v13
	s_delay_alu instid0(VALU_DEP_4) | instskip(NEXT) | instid1(VALU_DEP_3)
	v_mul_f32_e32 v14, 0x3fb8aa3b, v9
	s_and_b32 s0, vcc_lo, s0
	s_delay_alu instid0(SALU_CYCLE_1) | instskip(NEXT) | instid1(VALU_DEP_1)
	s_and_b32 vcc_lo, s15, s0
	v_fma_f32 v15, 0x3fb8aa3b, v9, -v14
	v_rndne_f32_e32 v16, v14
	v_cndmask_b32_e32 v13, 2, v13, vcc_lo
	s_cmp_eq_u32 s1, 0
	s_delay_alu instid0(VALU_DEP_2)
	v_dual_fmac_f32 v15, 0x32a5705f, v9 :: v_dual_sub_f32 v14, v14, v16
	global_store_b32 v[4:5], v13, off
	global_store_b32 v[2:3], v8, off
	v_add_nc_u32_e32 v8, s14, v8
	v_add_co_u32 v2, vcc_lo, v2, 4
	v_add_f32_e32 v13, v14, v15
	v_cvt_i32_f32_e32 v16, v16
	v_add_co_ci_u32_e32 v3, vcc_lo, 0, v3, vcc_lo
	v_add_co_u32 v4, vcc_lo, v4, 4
	s_delay_alu instid0(VALU_DEP_4) | instskip(SKIP_4) | instid1(VALU_DEP_1)
	v_exp_f32_e32 v13, v13
	v_add_co_ci_u32_e32 v5, vcc_lo, 0, v5, vcc_lo
	v_cmp_ngt_f32_e32 vcc_lo, 0xc2ce8ed0, v9
	s_waitcnt_depctr 0xfff
	v_ldexp_f32 v13, v13, v16
	v_cndmask_b32_e32 v13, 0, v13, vcc_lo
	v_cmp_nlt_f32_e32 vcc_lo, 0x42b17218, v9
	s_delay_alu instid0(VALU_DEP_2)
	v_cndmask_b32_e32 v9, 0x7f800000, v13, vcc_lo
	global_store_b32 v[6:7], v9, off
	v_add_co_u32 v6, vcc_lo, v6, 4
	v_add_f32_e32 v11, v11, v9
	v_add_co_ci_u32_e32 v7, vcc_lo, 0, v7, vcc_lo
	s_cbranch_scc0 .LBB224_7
.LBB224_8:
	s_delay_alu instid0(VALU_DEP_2)
	v_cmp_neq_f32_e32 vcc_lo, 0, v11
	s_and_b32 exec_lo, exec_lo, vcc_lo
	s_cbranch_execz .LBB224_12
; %bb.9:
	s_and_not1_b32 vcc_lo, exec_lo, s2
	s_cbranch_vccnz .LBB224_12
; %bb.10:
	v_div_scale_f32 v0, null, v11, v11, 1.0
	v_div_scale_f32 v4, vcc_lo, 1.0, v11, 1.0
	s_delay_alu instid0(VALU_DEP_2) | instskip(SKIP_2) | instid1(VALU_DEP_1)
	v_rcp_f32_e32 v3, v0
	s_waitcnt_depctr 0xfff
	v_fma_f32 v2, -v0, v3, 1.0
	v_fmac_f32_e32 v3, v2, v3
	s_delay_alu instid0(VALU_DEP_1) | instskip(NEXT) | instid1(VALU_DEP_1)
	v_mul_f32_e32 v5, v4, v3
	v_fma_f32 v2, -v0, v5, v4
	s_delay_alu instid0(VALU_DEP_1) | instskip(SKIP_1) | instid1(VALU_DEP_2)
	v_fmac_f32_e32 v5, v2, v3
	v_ashrrev_i32_e32 v2, 31, v1
	v_fma_f32 v0, -v0, v5, v4
	s_delay_alu instid0(VALU_DEP_1) | instskip(NEXT) | instid1(VALU_DEP_3)
	v_div_fmas_f32 v3, v0, v3, v5
	v_lshlrev_b64 v[0:1], 2, v[1:2]
	s_delay_alu instid0(VALU_DEP_2) | instskip(NEXT) | instid1(VALU_DEP_2)
	v_div_fixup_f32 v2, v3, v11, 1.0
	v_add_co_u32 v0, vcc_lo, s12, v0
	s_delay_alu instid0(VALU_DEP_3)
	v_add_co_ci_u32_e32 v1, vcc_lo, s13, v1, vcc_lo
.LBB224_11:                             ; =>This Inner Loop Header: Depth=1
	global_load_b32 v3, v[0:1], off
	s_add_i32 s8, s8, -1
	s_delay_alu instid0(SALU_CYCLE_1)
	s_cmp_lg_u32 s8, 0
	s_waitcnt vmcnt(0)
	v_mul_f32_e32 v3, v2, v3
	global_store_b32 v[0:1], v3, off
	v_add_co_u32 v0, vcc_lo, v0, 4
	v_add_co_ci_u32_e32 v1, vcc_lo, 0, v1, vcc_lo
	s_cbranch_scc1 .LBB224_11
.LBB224_12:
	s_nop 0
	s_sendmsg sendmsg(MSG_DEALLOC_VGPRS)
	s_endpgm
	.section	.rodata,"a",@progbits
	.p2align	6, 0x0
	.amdhsa_kernel _ZN4vllm3moe17topkGatingSoftmaxItLi2ELi2ELi8ELi4ELb1ELi4ELNS0_23SharedExpertScoringFuncE1EEEvPKT_PKbPfiPiS9_iiiiii
		.amdhsa_group_segment_fixed_size 0
		.amdhsa_private_segment_fixed_size 0
		.amdhsa_kernarg_size 72
		.amdhsa_user_sgpr_count 15
		.amdhsa_user_sgpr_dispatch_ptr 0
		.amdhsa_user_sgpr_queue_ptr 0
		.amdhsa_user_sgpr_kernarg_segment_ptr 1
		.amdhsa_user_sgpr_dispatch_id 0
		.amdhsa_user_sgpr_private_segment_size 0
		.amdhsa_wavefront_size32 1
		.amdhsa_uses_dynamic_stack 0
		.amdhsa_enable_private_segment 0
		.amdhsa_system_sgpr_workgroup_id_x 1
		.amdhsa_system_sgpr_workgroup_id_y 0
		.amdhsa_system_sgpr_workgroup_id_z 0
		.amdhsa_system_sgpr_workgroup_info 0
		.amdhsa_system_vgpr_workitem_id 1
		.amdhsa_next_free_vgpr 31
		.amdhsa_next_free_sgpr 17
		.amdhsa_reserve_vcc 1
		.amdhsa_float_round_mode_32 0
		.amdhsa_float_round_mode_16_64 0
		.amdhsa_float_denorm_mode_32 3
		.amdhsa_float_denorm_mode_16_64 3
		.amdhsa_dx10_clamp 1
		.amdhsa_ieee_mode 1
		.amdhsa_fp16_overflow 0
		.amdhsa_workgroup_processor_mode 1
		.amdhsa_memory_ordered 1
		.amdhsa_forward_progress 0
		.amdhsa_shared_vgpr_count 0
		.amdhsa_exception_fp_ieee_invalid_op 0
		.amdhsa_exception_fp_denorm_src 0
		.amdhsa_exception_fp_ieee_div_zero 0
		.amdhsa_exception_fp_ieee_overflow 0
		.amdhsa_exception_fp_ieee_underflow 0
		.amdhsa_exception_fp_ieee_inexact 0
		.amdhsa_exception_int_div_zero 0
	.end_amdhsa_kernel
	.section	.text._ZN4vllm3moe17topkGatingSoftmaxItLi2ELi2ELi8ELi4ELb1ELi4ELNS0_23SharedExpertScoringFuncE1EEEvPKT_PKbPfiPiS9_iiiiii,"axG",@progbits,_ZN4vllm3moe17topkGatingSoftmaxItLi2ELi2ELi8ELi4ELb1ELi4ELNS0_23SharedExpertScoringFuncE1EEEvPKT_PKbPfiPiS9_iiiiii,comdat
.Lfunc_end224:
	.size	_ZN4vllm3moe17topkGatingSoftmaxItLi2ELi2ELi8ELi4ELb1ELi4ELNS0_23SharedExpertScoringFuncE1EEEvPKT_PKbPfiPiS9_iiiiii, .Lfunc_end224-_ZN4vllm3moe17topkGatingSoftmaxItLi2ELi2ELi8ELi4ELb1ELi4ELNS0_23SharedExpertScoringFuncE1EEEvPKT_PKbPfiPiS9_iiiiii
                                        ; -- End function
	.section	.AMDGPU.csdata,"",@progbits
; Kernel info:
; codeLenInByte = 2060
; NumSgprs: 19
; NumVgprs: 31
; ScratchSize: 0
; MemoryBound: 0
; FloatMode: 240
; IeeeMode: 1
; LDSByteSize: 0 bytes/workgroup (compile time only)
; SGPRBlocks: 2
; VGPRBlocks: 3
; NumSGPRsForWavesPerEU: 19
; NumVGPRsForWavesPerEU: 31
; Occupancy: 16
; WaveLimiterHint : 0
; COMPUTE_PGM_RSRC2:SCRATCH_EN: 0
; COMPUTE_PGM_RSRC2:USER_SGPR: 15
; COMPUTE_PGM_RSRC2:TRAP_HANDLER: 0
; COMPUTE_PGM_RSRC2:TGID_X_EN: 1
; COMPUTE_PGM_RSRC2:TGID_Y_EN: 0
; COMPUTE_PGM_RSRC2:TGID_Z_EN: 0
; COMPUTE_PGM_RSRC2:TIDIG_COMP_CNT: 1
	.section	.text._ZN4vllm3moe17topkGatingSoftmaxItLi2ELi2ELi8ELi4ELb0ELi4ELNS0_23SharedExpertScoringFuncE1EEEvPKT_PKbPfiPiS9_iiiiii,"axG",@progbits,_ZN4vllm3moe17topkGatingSoftmaxItLi2ELi2ELi8ELi4ELb0ELi4ELNS0_23SharedExpertScoringFuncE1EEEvPKT_PKbPfiPiS9_iiiiii,comdat
	.protected	_ZN4vllm3moe17topkGatingSoftmaxItLi2ELi2ELi8ELi4ELb0ELi4ELNS0_23SharedExpertScoringFuncE1EEEvPKT_PKbPfiPiS9_iiiiii ; -- Begin function _ZN4vllm3moe17topkGatingSoftmaxItLi2ELi2ELi8ELi4ELb0ELi4ELNS0_23SharedExpertScoringFuncE1EEEvPKT_PKbPfiPiS9_iiiiii
	.globl	_ZN4vllm3moe17topkGatingSoftmaxItLi2ELi2ELi8ELi4ELb0ELi4ELNS0_23SharedExpertScoringFuncE1EEEvPKT_PKbPfiPiS9_iiiiii
	.p2align	8
	.type	_ZN4vllm3moe17topkGatingSoftmaxItLi2ELi2ELi8ELi4ELb0ELi4ELNS0_23SharedExpertScoringFuncE1EEEvPKT_PKbPfiPiS9_iiiiii,@function
_ZN4vllm3moe17topkGatingSoftmaxItLi2ELi2ELi8ELi4ELb0ELi4ELNS0_23SharedExpertScoringFuncE1EEEvPKT_PKbPfiPiS9_iiiiii: ; @_ZN4vllm3moe17topkGatingSoftmaxItLi2ELi2ELi8ELi4ELb0ELi4ELNS0_23SharedExpertScoringFuncE1EEEvPKT_PKbPfiPiS9_iiiiii
; %bb.0:
	s_load_b32 s16, s[0:1], 0x18
	v_bfe_u32 v1, v0, 10, 10
	v_and_b32_e32 v8, 0x3ff, v0
	s_lshl_b32 s18, s15, 8
	s_mov_b32 s2, exec_lo
	s_delay_alu instid0(VALU_DEP_2) | instskip(NEXT) | instid1(VALU_DEP_1)
	v_lshlrev_b32_e32 v7, 5, v1
	v_add3_u32 v9, v7, v8, s18
	s_waitcnt lgkmcnt(0)
	s_delay_alu instid0(VALU_DEP_1)
	v_cmpx_gt_i32_e64 s16, v9
	s_cbranch_execz .LBB225_12
; %bb.1:
	s_clause 0x1
	s_load_b128 s[4:7], s[0:1], 0x0
	s_load_b64 s[12:13], s[0:1], 0x10
	s_waitcnt lgkmcnt(0)
	s_cmp_eq_u64 s[6:7], 0
	s_cbranch_scc1 .LBB225_3
; %bb.2:
	v_ashrrev_i32_e32 v1, 31, v9
	v_add_co_u32 v0, vcc_lo, s6, v9
	s_delay_alu instid0(VALU_DEP_2) | instskip(SKIP_3) | instid1(VALU_DEP_1)
	v_add_co_ci_u32_e32 v1, vcc_lo, s7, v1, vcc_lo
	global_load_u8 v0, v[0:1], off
	s_waitcnt vmcnt(0)
	v_and_b32_e32 v0, 1, v0
	v_cmp_eq_u32_e32 vcc_lo, 1, v0
	s_xor_b32 s2, vcc_lo, -1
	s_delay_alu instid0(SALU_CYCLE_1)
	s_or_not1_b32 s17, s2, exec_lo
	s_branch .LBB225_4
.LBB225_3:
	s_mov_b32 s17, -1
.LBB225_4:
	s_clause 0x1
	s_load_b64 s[14:15], s[0:1], 0x40
	s_load_b128 s[8:11], s[0:1], 0x30
	s_waitcnt lgkmcnt(0)
	v_mul_lo_u32 v0, v9, s15
	s_cmp_gt_i32 s8, 0
	s_delay_alu instid0(VALU_DEP_1) | instskip(NEXT) | instid1(VALU_DEP_1)
	v_ashrrev_i32_e32 v1, 31, v0
	v_lshlrev_b64 v[0:1], 1, v[0:1]
	s_delay_alu instid0(VALU_DEP_1) | instskip(NEXT) | instid1(VALU_DEP_2)
	v_add_co_u32 v0, vcc_lo, s4, v0
	v_add_co_ci_u32_e32 v1, vcc_lo, s5, v1, vcc_lo
	global_load_b96 v[1:3], v[0:1], off
	s_waitcnt vmcnt(0)
	v_and_b32_e32 v4, 0xffff, v3
	v_lshrrev_b32_e32 v3, 16, v3
	s_delay_alu instid0(VALU_DEP_2) | instskip(NEXT) | instid1(VALU_DEP_2)
	v_cvt_f32_u32_e32 v4, v4
	v_cvt_f32_u32_e32 v10, v3
	s_delay_alu instid0(VALU_DEP_2) | instskip(NEXT) | instid1(VALU_DEP_2)
	v_mul_f32_e32 v3, 0xbfb8aa3b, v4
	v_mul_f32_e32 v11, 0xbfb8aa3b, v10
	s_delay_alu instid0(VALU_DEP_2)
	v_rndne_f32_e32 v17, v3
	v_and_b32_e32 v0, 0xffff, v2
	v_fma_f32 v16, 0xbfb8aa3b, v4, -v3
	v_lshrrev_b32_e32 v2, 16, v2
	v_fma_f32 v18, 0xbfb8aa3b, v10, -v11
	v_sub_f32_e32 v3, v3, v17
	v_cvt_f32_u32_e32 v5, v0
	v_rndne_f32_e32 v19, v11
	v_cvt_f32_u32_e32 v6, v2
	v_cvt_i32_f32_e32 v17, v17
	v_fmac_f32_e32 v18, 0xb2a5705f, v10
	s_delay_alu instid0(VALU_DEP_4) | instskip(NEXT) | instid1(VALU_DEP_4)
	v_dual_mul_f32 v0, 0xbfb8aa3b, v5 :: v_dual_sub_f32 v11, v11, v19
	v_mul_f32_e32 v2, 0xbfb8aa3b, v6
	v_cmp_nlt_f32_e32 vcc_lo, 0x42ce8ed0, v5
	s_delay_alu instid0(VALU_DEP_3) | instskip(SKIP_1) | instid1(VALU_DEP_4)
	v_fma_f32 v12, 0xbfb8aa3b, v5, -v0
	v_rndne_f32_e32 v13, v0
	v_fma_f32 v14, 0xbfb8aa3b, v6, -v2
	v_rndne_f32_e32 v15, v2
	s_delay_alu instid0(VALU_DEP_4) | instskip(NEXT) | instid1(VALU_DEP_4)
	v_dual_add_f32 v11, v11, v18 :: v_dual_fmac_f32 v12, 0xb2a5705f, v5
	v_sub_f32_e32 v20, v0, v13
	v_cvt_i32_f32_e32 v13, v13
	v_cvt_i32_f32_e32 v18, v19
	v_mul_lo_u32 v0, v9, s11
	v_exp_f32_e32 v11, v11
	v_add_f32_e32 v12, v20, v12
	s_delay_alu instid0(VALU_DEP_1) | instskip(SKIP_4) | instid1(VALU_DEP_2)
	v_exp_f32_e32 v12, v12
	s_waitcnt_depctr 0xfff
	v_ldexp_f32 v11, v11, v18
	v_fmac_f32_e32 v16, 0xb2a5705f, v4
	v_ldexp_f32 v12, v12, v13
	v_add_f32_e32 v3, v3, v16
	s_delay_alu instid0(VALU_DEP_2)
	v_cndmask_b32_e32 v12, 0, v12, vcc_lo
	v_sub_f32_e32 v2, v2, v15
	v_cmp_nlt_f32_e32 vcc_lo, 0x42ce8ed0, v6
	v_fmac_f32_e32 v14, 0xb2a5705f, v6
	v_exp_f32_e32 v16, v3
	v_cvt_i32_f32_e32 v15, v15
	s_delay_alu instid0(VALU_DEP_2) | instskip(NEXT) | instid1(VALU_DEP_1)
	v_add_f32_e32 v2, v2, v14
	v_exp_f32_e32 v14, v2
	s_waitcnt_depctr 0xfff
	v_ldexp_f32 v13, v14, v15
	v_ldexp_f32 v14, v16, v17
	s_delay_alu instid0(VALU_DEP_2) | instskip(SKIP_1) | instid1(VALU_DEP_3)
	v_cndmask_b32_e32 v13, 0, v13, vcc_lo
	v_cmp_nlt_f32_e32 vcc_lo, 0x42ce8ed0, v4
	v_cndmask_b32_e32 v14, 0, v14, vcc_lo
	v_cmp_nlt_f32_e32 vcc_lo, 0x42ce8ed0, v10
	v_cndmask_b32_e32 v11, 0, v11, vcc_lo
	v_cmp_ngt_f32_e32 vcc_lo, 0xc2b17218, v5
	v_cndmask_b32_e32 v5, 0x7f800000, v12, vcc_lo
	v_cmp_ngt_f32_e32 vcc_lo, 0xc2b17218, v6
	;; [unrolled: 2-line block ×3, first 2 shown]
	s_delay_alu instid0(VALU_DEP_4) | instskip(SKIP_1) | instid1(VALU_DEP_2)
	v_dual_add_f32 v13, 1.0, v5 :: v_dual_cndmask_b32 v4, 0x7f800000, v14
	v_cmp_ngt_f32_e32 vcc_lo, 0xc2b17218, v10
	v_div_scale_f32 v12, null, v13, v13, 1.0
	v_add_f32_e32 v14, 1.0, v6
	s_delay_alu instid0(VALU_DEP_4) | instskip(SKIP_1) | instid1(VALU_DEP_2)
	v_add_f32_e32 v4, 1.0, v4
	v_cndmask_b32_e32 v10, 0x7f800000, v11, vcc_lo
	v_div_scale_f32 v17, null, v4, v4, 1.0
	s_delay_alu instid0(VALU_DEP_2) | instskip(SKIP_1) | instid1(VALU_DEP_3)
	v_add_f32_e32 v15, 1.0, v10
	v_div_scale_f32 v23, s3, 1.0, v4, 1.0
	v_rcp_f32_e32 v19, v17
	s_delay_alu instid0(VALU_DEP_2) | instskip(SKIP_1) | instid1(VALU_DEP_2)
	v_div_scale_f32 v18, null, v15, v15, 1.0
	v_div_scale_f32 v26, s4, 1.0, v15, 1.0
	v_rcp_f32_e32 v20, v18
	s_waitcnt_depctr 0xfff
	v_fma_f32 v24, -v17, v19, 1.0
	s_delay_alu instid0(VALU_DEP_1) | instskip(NEXT) | instid1(VALU_DEP_1)
	v_dual_fmac_f32 v19, v24, v19 :: v_dual_add_nc_u32 v2, s8, v0
	v_ashrrev_i32_e32 v3, 31, v2
	v_fma_f32 v25, -v18, v20, 1.0
	s_delay_alu instid0(VALU_DEP_3) | instskip(NEXT) | instid1(VALU_DEP_3)
	v_mul_f32_e32 v27, v23, v19
	v_lshlrev_b64 v[2:3], 2, v[2:3]
	s_delay_alu instid0(VALU_DEP_3) | instskip(NEXT) | instid1(VALU_DEP_3)
	v_fmac_f32_e32 v20, v25, v20
	v_fma_f32 v30, -v17, v27, v23
	s_delay_alu instid0(VALU_DEP_3) | instskip(SKIP_1) | instid1(VALU_DEP_4)
	v_add_co_u32 v5, vcc_lo, s12, v2
	v_rcp_f32_e32 v2, v12
	v_add_co_ci_u32_e32 v6, vcc_lo, s13, v3, vcc_lo
	v_div_scale_f32 v21, vcc_lo, 1.0, v13, 1.0
	v_mul_f32_e32 v28, v26, v20
	v_fmac_f32_e32 v27, v30, v19
	s_waitcnt_depctr 0xfff
	v_fma_f32 v10, -v12, v2, 1.0
	v_fma_f32 v31, -v18, v28, v26
	s_delay_alu instid0(VALU_DEP_2)
	v_fmac_f32_e32 v2, v10, v2
	v_lshrrev_b32_e32 v10, 16, v1
	v_and_b32_e32 v1, 0xffff, v1
	v_div_scale_f32 v16, null, v14, v14, 1.0
	v_div_scale_f32 v22, s2, 1.0, v14, 1.0
	v_mul_f32_e32 v24, v21, v2
	s_delay_alu instid0(VALU_DEP_3) | instskip(SKIP_4) | instid1(VALU_DEP_1)
	v_rcp_f32_e32 v3, v16
	v_fmac_f32_e32 v28, v31, v20
	v_cvt_f32_u32_e32 v10, v10
	s_waitcnt_depctr 0xfff
	v_fma_f32 v11, -v16, v3, 1.0
	v_fmac_f32_e32 v3, v11, v3
	v_fma_f32 v11, -v12, v24, v21
	s_delay_alu instid0(VALU_DEP_1) | instskip(SKIP_1) | instid1(VALU_DEP_2)
	v_dual_mul_f32 v25, v22, v3 :: v_dual_fmac_f32 v24, v11, v2
	v_cvt_f32_u32_e32 v11, v1
	v_fma_f32 v29, -v16, v25, v22
	s_delay_alu instid0(VALU_DEP_3) | instskip(NEXT) | instid1(VALU_DEP_2)
	v_fma_f32 v1, -v12, v24, v21
	v_fmac_f32_e32 v25, v29, v3
	s_delay_alu instid0(VALU_DEP_2)
	v_div_fmas_f32 v1, v1, v2, v24
	s_mov_b32 vcc_lo, s2
	s_cselect_b32 s2, -1, 0
	s_cmp_lt_i32 s8, 1
	v_fma_f32 v12, -v16, v25, v22
	v_fma_f32 v16, -v17, v27, v23
	;; [unrolled: 1-line block ×3, first 2 shown]
	v_div_fixup_f32 v1, v1, v13, 1.0
	v_mov_b32_e32 v13, 0
	v_div_fmas_f32 v2, v12, v3, v25
	s_mov_b32 vcc_lo, s3
	v_div_fmas_f32 v3, v16, v19, v27
	s_mov_b32 vcc_lo, s4
	s_delay_alu instid0(VALU_DEP_2) | instskip(SKIP_3) | instid1(VALU_DEP_3)
	v_div_fixup_f32 v2, v2, v14, 1.0
	v_div_fmas_f32 v16, v17, v20, v28
	v_cmp_lt_f32_e32 vcc_lo, v11, v10
	v_div_fixup_f32 v3, v3, v4, 1.0
	v_div_fixup_f32 v4, v16, v15, 1.0
	v_cndmask_b32_e32 v12, v11, v10, vcc_lo
	global_store_b128 v[5:6], v[1:4], off
	s_cbranch_scc1 .LBB225_8
; %bb.5:
	v_ashrrev_i32_e32 v1, 31, v0
	v_cndmask_b32_e64 v19, 0, 1, vcc_lo
	v_dual_sub_f32 v18, v12, v12 :: v_dual_cndmask_b32 v11, 0xff800000, v11
	s_load_b128 s[4:7], s[0:1], 0x20
	s_delay_alu instid0(VALU_DEP_3) | instskip(NEXT) | instid1(VALU_DEP_3)
	v_lshlrev_b64 v[5:6], 2, v[0:1]
	v_cmp_le_i32_e32 vcc_lo, s9, v19
	v_cmp_gt_i32_e64 s0, s10, v19
	v_subrev_nc_u32_e32 v15, s9, v19
	v_mul_lo_u32 v2, v9, s14
	v_mul_lo_u32 v13, v9, s8
	s_delay_alu instid0(VALU_DEP_4)
	s_and_b32 s0, vcc_lo, s0
	v_add_co_u32 v5, vcc_lo, s12, v5
	v_add_co_ci_u32_e32 v6, vcc_lo, s13, v6, vcc_lo
	s_and_b32 vcc_lo, s17, s0
	v_dual_mul_f32 v3, 0x3fb8aa3b, v18 :: v_dual_cndmask_b32 v20, 2, v15
	s_cmp_eq_u32 s8, 1
	s_delay_alu instid0(VALU_DEP_1) | instskip(SKIP_1) | instid1(VALU_DEP_1)
	v_rndne_f32_e32 v4, v3
	v_fma_f32 v14, 0x3fb8aa3b, v18, -v3
	v_dual_sub_f32 v3, v3, v4 :: v_dual_fmac_f32 v14, 0x32a5705f, v18
	v_cvt_i32_f32_e32 v17, v4
	s_delay_alu instid0(VALU_DEP_2) | instskip(SKIP_2) | instid1(VALU_DEP_3)
	v_add_f32_e32 v1, v3, v14
	v_ashrrev_i32_e32 v3, 31, v2
	v_ashrrev_i32_e32 v14, 31, v13
	v_exp_f32_e32 v16, v1
	s_delay_alu instid0(VALU_DEP_2) | instskip(NEXT) | instid1(VALU_DEP_2)
	v_lshlrev_b64 v[1:2], 2, v[2:3]
	v_lshlrev_b64 v[3:4], 2, v[13:14]
	s_waitcnt lgkmcnt(0)
	s_delay_alu instid0(VALU_DEP_2) | instskip(NEXT) | instid1(VALU_DEP_3)
	v_add_co_u32 v14, vcc_lo, s4, v1
	v_add_co_ci_u32_e32 v15, vcc_lo, s5, v2, vcc_lo
	s_waitcnt_depctr 0xfff
	v_ldexp_f32 v13, v16, v17
	v_cmp_ngt_f32_e32 vcc_lo, 0xc2ce8ed0, v18
	s_delay_alu instid0(VALU_DEP_2) | instskip(SKIP_3) | instid1(VALU_DEP_4)
	v_cndmask_b32_e32 v13, 0, v13, vcc_lo
	v_add_co_u32 v16, vcc_lo, s6, v3
	v_add_co_ci_u32_e32 v17, vcc_lo, s7, v4, vcc_lo
	v_cmp_nlt_f32_e32 vcc_lo, 0x42b17218, v18
	v_cndmask_b32_e32 v13, 0x7f800000, v13, vcc_lo
	v_cmp_ne_u32_e32 vcc_lo, 1, v19
	global_store_b32 v[14:15], v20, off
	global_store_b32 v[5:6], v13, off
	;; [unrolled: 1-line block ×3, first 2 shown]
	v_cndmask_b32_e32 v10, 0xff800000, v10, vcc_lo
	s_cbranch_scc1 .LBB225_8
; %bb.6:
	v_add_co_u32 v3, vcc_lo, v3, s6
	v_add_co_ci_u32_e32 v4, vcc_lo, s7, v4, vcc_lo
	v_add_co_u32 v9, vcc_lo, v1, s4
	v_add_co_ci_u32_e32 v14, vcc_lo, s5, v2, vcc_lo
	s_delay_alu instid0(VALU_DEP_4) | instskip(NEXT) | instid1(VALU_DEP_4)
	v_add_co_u32 v1, vcc_lo, v3, 4
	v_add_co_ci_u32_e32 v2, vcc_lo, 0, v4, vcc_lo
	s_delay_alu instid0(VALU_DEP_4) | instskip(NEXT) | instid1(VALU_DEP_4)
	v_add_co_u32 v3, vcc_lo, v9, 4
	v_add_co_ci_u32_e32 v4, vcc_lo, 0, v14, vcc_lo
	s_add_i32 s18, s18, s16
	v_add_co_u32 v5, vcc_lo, v5, 4
	v_add_co_ci_u32_e32 v6, vcc_lo, 0, v6, vcc_lo
	v_add3_u32 v7, s18, v8, v7
	s_add_i32 s1, s8, -1
.LBB225_7:                              ; =>This Inner Loop Header: Depth=1
	v_cmp_gt_f32_e32 vcc_lo, v10, v11
	s_add_i32 s1, s1, -1
	v_cndmask_b32_e64 v9, 0, 1, vcc_lo
	v_cndmask_b32_e32 v8, v11, v10, vcc_lo
	v_cndmask_b32_e64 v10, v10, 0xff800000, vcc_lo
	v_cndmask_b32_e32 v11, 0xff800000, v11, vcc_lo
	s_delay_alu instid0(VALU_DEP_4) | instskip(SKIP_2) | instid1(VALU_DEP_2)
	v_cmp_le_i32_e32 vcc_lo, s9, v9
	v_cmp_gt_i32_e64 s0, s10, v9
	v_subrev_nc_u32_e32 v9, s9, v9
	s_and_b32 s0, vcc_lo, s0
	s_delay_alu instid0(SALU_CYCLE_1) | instskip(SKIP_1) | instid1(VALU_DEP_1)
	s_and_b32 vcc_lo, s17, s0
	s_cmp_eq_u32 s1, 0
	v_dual_cndmask_b32 v9, 2, v9 :: v_dual_sub_f32 v8, v8, v12
	global_store_b32 v[3:4], v9, off
	global_store_b32 v[1:2], v7, off
	v_dual_mul_f32 v14, 0x3fb8aa3b, v8 :: v_dual_add_nc_u32 v7, s16, v7
	v_add_co_u32 v1, vcc_lo, v1, 4
	v_add_co_ci_u32_e32 v2, vcc_lo, 0, v2, vcc_lo
	s_delay_alu instid0(VALU_DEP_3) | instskip(SKIP_3) | instid1(VALU_DEP_4)
	v_fma_f32 v15, 0x3fb8aa3b, v8, -v14
	v_rndne_f32_e32 v16, v14
	v_add_co_u32 v3, vcc_lo, v3, 4
	v_add_co_ci_u32_e32 v4, vcc_lo, 0, v4, vcc_lo
	v_fmac_f32_e32 v15, 0x32a5705f, v8
	s_delay_alu instid0(VALU_DEP_4) | instskip(SKIP_1) | instid1(VALU_DEP_2)
	v_sub_f32_e32 v14, v14, v16
	v_cvt_i32_f32_e32 v16, v16
	v_add_f32_e32 v9, v14, v15
	v_cmp_ngt_f32_e32 vcc_lo, 0xc2ce8ed0, v8
	s_delay_alu instid0(VALU_DEP_2) | instskip(SKIP_2) | instid1(VALU_DEP_1)
	v_exp_f32_e32 v9, v9
	s_waitcnt_depctr 0xfff
	v_ldexp_f32 v9, v9, v16
	v_cndmask_b32_e32 v9, 0, v9, vcc_lo
	v_cmp_nlt_f32_e32 vcc_lo, 0x42b17218, v8
	s_delay_alu instid0(VALU_DEP_2)
	v_cndmask_b32_e32 v8, 0x7f800000, v9, vcc_lo
	global_store_b32 v[5:6], v8, off
	v_add_co_u32 v5, vcc_lo, v5, 4
	v_add_f32_e32 v13, v13, v8
	v_add_co_ci_u32_e32 v6, vcc_lo, 0, v6, vcc_lo
	s_cbranch_scc0 .LBB225_7
.LBB225_8:
	s_delay_alu instid0(VALU_DEP_1) | instskip(NEXT) | instid1(VALU_DEP_1)
	v_sub_f32_e32 v2, v10, v12
	v_dual_sub_f32 v1, v11, v12 :: v_dual_mul_f32 v4, 0x3fb8aa3b, v2
	s_delay_alu instid0(VALU_DEP_1) | instskip(SKIP_1) | instid1(VALU_DEP_3)
	v_mul_f32_e32 v3, 0x3fb8aa3b, v1
	v_cmp_ngt_f32_e32 vcc_lo, 0xc2ce8ed0, v1
	v_fma_f32 v7, 0x3fb8aa3b, v2, -v4
	s_delay_alu instid0(VALU_DEP_3) | instskip(SKIP_2) | instid1(VALU_DEP_4)
	v_fma_f32 v5, 0x3fb8aa3b, v1, -v3
	v_rndne_f32_e32 v6, v3
	v_rndne_f32_e32 v8, v4
	v_fmac_f32_e32 v7, 0x32a5705f, v2
	s_delay_alu instid0(VALU_DEP_2) | instskip(NEXT) | instid1(VALU_DEP_1)
	v_dual_fmac_f32 v5, 0x32a5705f, v1 :: v_dual_sub_f32 v4, v4, v8
	v_dual_sub_f32 v3, v3, v6 :: v_dual_add_f32 v4, v4, v7
	s_delay_alu instid0(VALU_DEP_1) | instskip(SKIP_2) | instid1(VALU_DEP_4)
	v_add_f32_e32 v3, v3, v5
	v_cvt_i32_f32_e32 v5, v6
	v_cvt_i32_f32_e32 v6, v8
	v_exp_f32_e32 v4, v4
	s_delay_alu instid0(VALU_DEP_3) | instskip(SKIP_3) | instid1(VALU_DEP_1)
	v_exp_f32_e32 v3, v3
	s_waitcnt_depctr 0xfff
	v_ldexp_f32 v4, v4, v6
	v_ldexp_f32 v3, v3, v5
	v_cndmask_b32_e32 v3, 0, v3, vcc_lo
	v_cmp_ngt_f32_e32 vcc_lo, 0xc2ce8ed0, v2
	s_delay_alu instid0(VALU_DEP_4) | instskip(SKIP_1) | instid1(VALU_DEP_4)
	v_cndmask_b32_e32 v4, 0, v4, vcc_lo
	v_cmp_nlt_f32_e32 vcc_lo, 0x42b17218, v1
	v_cndmask_b32_e32 v1, 0x7f800000, v3, vcc_lo
	v_cmp_nlt_f32_e32 vcc_lo, 0x42b17218, v2
	s_delay_alu instid0(VALU_DEP_4) | instskip(NEXT) | instid1(VALU_DEP_1)
	v_cndmask_b32_e32 v2, 0x7f800000, v4, vcc_lo
	v_add_f32_e32 v1, v1, v2
	s_delay_alu instid0(VALU_DEP_1) | instskip(NEXT) | instid1(VALU_DEP_1)
	v_add_f32_e32 v2, v13, v1
	v_cmp_neq_f32_e32 vcc_lo, 0, v2
	s_and_b32 exec_lo, exec_lo, vcc_lo
	s_cbranch_execz .LBB225_12
; %bb.9:
	s_and_not1_b32 vcc_lo, exec_lo, s2
	s_cbranch_vccnz .LBB225_12
; %bb.10:
	v_div_scale_f32 v1, null, v2, v2, 1.0
	v_div_scale_f32 v5, vcc_lo, 1.0, v2, 1.0
	s_delay_alu instid0(VALU_DEP_2) | instskip(SKIP_2) | instid1(VALU_DEP_1)
	v_rcp_f32_e32 v3, v1
	s_waitcnt_depctr 0xfff
	v_fma_f32 v4, -v1, v3, 1.0
	v_fmac_f32_e32 v3, v4, v3
	s_delay_alu instid0(VALU_DEP_1) | instskip(NEXT) | instid1(VALU_DEP_1)
	v_mul_f32_e32 v4, v5, v3
	v_fma_f32 v6, -v1, v4, v5
	s_delay_alu instid0(VALU_DEP_1) | instskip(NEXT) | instid1(VALU_DEP_1)
	v_fmac_f32_e32 v4, v6, v3
	v_fma_f32 v5, -v1, v4, v5
	v_ashrrev_i32_e32 v1, 31, v0
	s_delay_alu instid0(VALU_DEP_2) | instskip(NEXT) | instid1(VALU_DEP_2)
	v_div_fmas_f32 v3, v5, v3, v4
	v_lshlrev_b64 v[0:1], 2, v[0:1]
	s_delay_alu instid0(VALU_DEP_2) | instskip(NEXT) | instid1(VALU_DEP_2)
	v_div_fixup_f32 v2, v3, v2, 1.0
	v_add_co_u32 v0, vcc_lo, s12, v0
	s_delay_alu instid0(VALU_DEP_3)
	v_add_co_ci_u32_e32 v1, vcc_lo, s13, v1, vcc_lo
.LBB225_11:                             ; =>This Inner Loop Header: Depth=1
	global_load_b32 v3, v[0:1], off
	s_add_i32 s8, s8, -1
	s_delay_alu instid0(SALU_CYCLE_1)
	s_cmp_lg_u32 s8, 0
	s_waitcnt vmcnt(0)
	v_mul_f32_e32 v3, v2, v3
	global_store_b32 v[0:1], v3, off
	v_add_co_u32 v0, vcc_lo, v0, 4
	v_add_co_ci_u32_e32 v1, vcc_lo, 0, v1, vcc_lo
	s_cbranch_scc1 .LBB225_11
.LBB225_12:
	s_nop 0
	s_sendmsg sendmsg(MSG_DEALLOC_VGPRS)
	s_endpgm
	.section	.rodata,"a",@progbits
	.p2align	6, 0x0
	.amdhsa_kernel _ZN4vllm3moe17topkGatingSoftmaxItLi2ELi2ELi8ELi4ELb0ELi4ELNS0_23SharedExpertScoringFuncE1EEEvPKT_PKbPfiPiS9_iiiiii
		.amdhsa_group_segment_fixed_size 0
		.amdhsa_private_segment_fixed_size 0
		.amdhsa_kernarg_size 72
		.amdhsa_user_sgpr_count 15
		.amdhsa_user_sgpr_dispatch_ptr 0
		.amdhsa_user_sgpr_queue_ptr 0
		.amdhsa_user_sgpr_kernarg_segment_ptr 1
		.amdhsa_user_sgpr_dispatch_id 0
		.amdhsa_user_sgpr_private_segment_size 0
		.amdhsa_wavefront_size32 1
		.amdhsa_uses_dynamic_stack 0
		.amdhsa_enable_private_segment 0
		.amdhsa_system_sgpr_workgroup_id_x 1
		.amdhsa_system_sgpr_workgroup_id_y 0
		.amdhsa_system_sgpr_workgroup_id_z 0
		.amdhsa_system_sgpr_workgroup_info 0
		.amdhsa_system_vgpr_workitem_id 1
		.amdhsa_next_free_vgpr 32
		.amdhsa_next_free_sgpr 19
		.amdhsa_reserve_vcc 1
		.amdhsa_float_round_mode_32 0
		.amdhsa_float_round_mode_16_64 0
		.amdhsa_float_denorm_mode_32 3
		.amdhsa_float_denorm_mode_16_64 3
		.amdhsa_dx10_clamp 1
		.amdhsa_ieee_mode 1
		.amdhsa_fp16_overflow 0
		.amdhsa_workgroup_processor_mode 1
		.amdhsa_memory_ordered 1
		.amdhsa_forward_progress 0
		.amdhsa_shared_vgpr_count 0
		.amdhsa_exception_fp_ieee_invalid_op 0
		.amdhsa_exception_fp_denorm_src 0
		.amdhsa_exception_fp_ieee_div_zero 0
		.amdhsa_exception_fp_ieee_overflow 0
		.amdhsa_exception_fp_ieee_underflow 0
		.amdhsa_exception_fp_ieee_inexact 0
		.amdhsa_exception_int_div_zero 0
	.end_amdhsa_kernel
	.section	.text._ZN4vllm3moe17topkGatingSoftmaxItLi2ELi2ELi8ELi4ELb0ELi4ELNS0_23SharedExpertScoringFuncE1EEEvPKT_PKbPfiPiS9_iiiiii,"axG",@progbits,_ZN4vllm3moe17topkGatingSoftmaxItLi2ELi2ELi8ELi4ELb0ELi4ELNS0_23SharedExpertScoringFuncE1EEEvPKT_PKbPfiPiS9_iiiiii,comdat
.Lfunc_end225:
	.size	_ZN4vllm3moe17topkGatingSoftmaxItLi2ELi2ELi8ELi4ELb0ELi4ELNS0_23SharedExpertScoringFuncE1EEEvPKT_PKbPfiPiS9_iiiiii, .Lfunc_end225-_ZN4vllm3moe17topkGatingSoftmaxItLi2ELi2ELi8ELi4ELb0ELi4ELNS0_23SharedExpertScoringFuncE1EEEvPKT_PKbPfiPiS9_iiiiii
                                        ; -- End function
	.section	.AMDGPU.csdata,"",@progbits
; Kernel info:
; codeLenInByte = 2220
; NumSgprs: 21
; NumVgprs: 32
; ScratchSize: 0
; MemoryBound: 0
; FloatMode: 240
; IeeeMode: 1
; LDSByteSize: 0 bytes/workgroup (compile time only)
; SGPRBlocks: 2
; VGPRBlocks: 3
; NumSGPRsForWavesPerEU: 21
; NumVGPRsForWavesPerEU: 32
; Occupancy: 16
; WaveLimiterHint : 0
; COMPUTE_PGM_RSRC2:SCRATCH_EN: 0
; COMPUTE_PGM_RSRC2:USER_SGPR: 15
; COMPUTE_PGM_RSRC2:TRAP_HANDLER: 0
; COMPUTE_PGM_RSRC2:TGID_X_EN: 1
; COMPUTE_PGM_RSRC2:TGID_Y_EN: 0
; COMPUTE_PGM_RSRC2:TGID_Z_EN: 0
; COMPUTE_PGM_RSRC2:TIDIG_COMP_CNT: 1
	.section	.text._ZN4vllm3moe17topkGatingSoftmaxItLi2ELi2ELi8ELi4ELb1ELi8ELNS0_23SharedExpertScoringFuncE1EEEvPKT_PKbPfiPiS9_iiiiii,"axG",@progbits,_ZN4vllm3moe17topkGatingSoftmaxItLi2ELi2ELi8ELi4ELb1ELi8ELNS0_23SharedExpertScoringFuncE1EEEvPKT_PKbPfiPiS9_iiiiii,comdat
	.protected	_ZN4vllm3moe17topkGatingSoftmaxItLi2ELi2ELi8ELi4ELb1ELi8ELNS0_23SharedExpertScoringFuncE1EEEvPKT_PKbPfiPiS9_iiiiii ; -- Begin function _ZN4vllm3moe17topkGatingSoftmaxItLi2ELi2ELi8ELi4ELb1ELi8ELNS0_23SharedExpertScoringFuncE1EEEvPKT_PKbPfiPiS9_iiiiii
	.globl	_ZN4vllm3moe17topkGatingSoftmaxItLi2ELi2ELi8ELi4ELb1ELi8ELNS0_23SharedExpertScoringFuncE1EEEvPKT_PKbPfiPiS9_iiiiii
	.p2align	8
	.type	_ZN4vllm3moe17topkGatingSoftmaxItLi2ELi2ELi8ELi4ELb1ELi8ELNS0_23SharedExpertScoringFuncE1EEEvPKT_PKbPfiPiS9_iiiiii,@function
_ZN4vllm3moe17topkGatingSoftmaxItLi2ELi2ELi8ELi4ELb1ELi8ELNS0_23SharedExpertScoringFuncE1EEEvPKT_PKbPfiPiS9_iiiiii: ; @_ZN4vllm3moe17topkGatingSoftmaxItLi2ELi2ELi8ELi4ELb1ELi8ELNS0_23SharedExpertScoringFuncE1EEEvPKT_PKbPfiPiS9_iiiiii
; %bb.0:
	s_load_b32 s9, s[0:1], 0x18
	v_bfe_u32 v1, v0, 10, 10
	v_and_b32_e32 v8, 0x3ff, v0
	s_lshl_b32 s19, s15, 8
	s_mov_b32 s2, exec_lo
	s_delay_alu instid0(VALU_DEP_2) | instskip(NEXT) | instid1(VALU_DEP_1)
	v_lshlrev_b32_e32 v7, 5, v1
	v_add3_u32 v9, v7, v8, s19
	s_waitcnt lgkmcnt(0)
	s_delay_alu instid0(VALU_DEP_1)
	v_cmpx_gt_i32_e64 s9, v9
	s_cbranch_execz .LBB226_12
; %bb.1:
	s_clause 0x1
	s_load_b128 s[4:7], s[0:1], 0x0
	s_load_b64 s[10:11], s[0:1], 0x10
	s_waitcnt lgkmcnt(0)
	s_cmp_eq_u64 s[6:7], 0
	s_cbranch_scc1 .LBB226_3
; %bb.2:
	v_ashrrev_i32_e32 v1, 31, v9
	v_add_co_u32 v0, vcc_lo, s6, v9
	s_delay_alu instid0(VALU_DEP_2) | instskip(SKIP_3) | instid1(VALU_DEP_1)
	v_add_co_ci_u32_e32 v1, vcc_lo, s7, v1, vcc_lo
	global_load_u8 v0, v[0:1], off
	s_waitcnt vmcnt(0)
	v_and_b32_e32 v0, 1, v0
	v_cmp_eq_u32_e32 vcc_lo, 1, v0
	s_xor_b32 s2, vcc_lo, -1
	s_delay_alu instid0(SALU_CYCLE_1)
	s_or_not1_b32 s18, s2, exec_lo
	s_branch .LBB226_4
.LBB226_3:
	s_mov_b32 s18, -1
.LBB226_4:
	s_clause 0x1
	s_load_b64 s[16:17], s[0:1], 0x40
	s_load_b128 s[12:15], s[0:1], 0x30
	s_waitcnt lgkmcnt(0)
	v_mul_lo_u32 v0, v9, s17
	s_cmp_gt_i32 s12, 0
	s_delay_alu instid0(VALU_DEP_1) | instskip(NEXT) | instid1(VALU_DEP_1)
	v_ashrrev_i32_e32 v1, 31, v0
	v_lshlrev_b64 v[0:1], 1, v[0:1]
	s_delay_alu instid0(VALU_DEP_1) | instskip(NEXT) | instid1(VALU_DEP_2)
	v_add_co_u32 v4, vcc_lo, s4, v0
	v_add_co_ci_u32_e32 v5, vcc_lo, s5, v1, vcc_lo
	s_clause 0x1
	global_load_b128 v[0:3], v[4:5], off
	global_load_b32 v10, v[4:5], off offset:16
	v_mul_lo_u32 v4, v9, s15
	s_waitcnt vmcnt(1)
	v_lshrrev_b32_e32 v11, 16, v1
	v_lshrrev_b32_e32 v12, 16, v2
	;; [unrolled: 1-line block ×3, first 2 shown]
	s_waitcnt vmcnt(0)
	v_lshrrev_b32_e32 v14, 16, v10
	v_cvt_f32_u32_e32 v11, v11
	v_add_nc_u32_e32 v5, s12, v4
	v_cvt_f32_u32_e32 v12, v12
	v_cvt_f32_u32_e32 v13, v13
	;; [unrolled: 1-line block ×3, first 2 shown]
	v_mul_f32_e32 v16, 0xbfb8aa3b, v11
	v_ashrrev_i32_e32 v6, 31, v5
	v_mul_f32_e32 v18, 0xbfb8aa3b, v12
	v_mul_f32_e32 v20, 0xbfb8aa3b, v13
	;; [unrolled: 1-line block ×3, first 2 shown]
	v_rndne_f32_e32 v26, v16
	v_and_b32_e32 v1, 0xffff, v1
	v_fma_f32 v25, 0xbfb8aa3b, v11, -v16
	v_rndne_f32_e32 v30, v18
	s_delay_alu instid0(VALU_DEP_4) | instskip(NEXT) | instid1(VALU_DEP_4)
	v_dual_sub_f32 v16, v16, v26 :: v_dual_and_b32 v3, 0xffff, v3
	v_cvt_f32_u32_e32 v1, v1
	v_fma_f32 v29, 0xbfb8aa3b, v12, -v18
	s_delay_alu instid0(VALU_DEP_4) | instskip(NEXT) | instid1(VALU_DEP_4)
	v_sub_f32_e32 v18, v18, v30
	v_cvt_f32_u32_e32 v3, v3
	v_lshlrev_b64 v[5:6], 2, v[5:6]
	v_mul_f32_e32 v15, 0xbfb8aa3b, v1
	v_cvt_i32_f32_e32 v26, v26
	v_cvt_i32_f32_e32 v30, v30
	v_mul_f32_e32 v19, 0xbfb8aa3b, v3
	v_rndne_f32_e32 v34, v20
	v_rndne_f32_e32 v24, v15
	v_and_b32_e32 v2, 0xffff, v2
	v_fma_f32 v23, 0xbfb8aa3b, v1, -v15
	v_fma_f32 v33, 0xbfb8aa3b, v13, -v20
	v_rndne_f32_e32 v38, v22
	v_sub_f32_e32 v15, v15, v24
	v_cvt_f32_u32_e32 v2, v2
	v_dual_fmac_f32 v23, 0xb2a5705f, v1 :: v_dual_sub_f32 v20, v20, v34
	v_fmac_f32_e32 v25, 0xb2a5705f, v11
	v_fma_f32 v37, 0xbfb8aa3b, v14, -v22
	v_sub_f32_e32 v22, v22, v38
	v_mul_f32_e32 v17, 0xbfb8aa3b, v2
	v_add_f32_e32 v15, v15, v23
	v_cvt_i32_f32_e32 v24, v24
	v_add_co_u32 v5, vcc_lo, s10, v5
	s_delay_alu instid0(VALU_DEP_4) | instskip(SKIP_3) | instid1(VALU_DEP_4)
	v_rndne_f32_e32 v28, v17
	v_and_b32_e32 v10, 0xffff, v10
	v_fma_f32 v27, 0xbfb8aa3b, v2, -v17
	v_add_co_ci_u32_e32 v6, vcc_lo, s11, v6, vcc_lo
	v_sub_f32_e32 v17, v17, v28
	s_delay_alu instid0(VALU_DEP_4)
	v_cvt_f32_u32_e32 v10, v10
	v_add_f32_e32 v16, v16, v25
	v_exp_f32_e32 v15, v15
	v_cmp_nlt_f32_e32 vcc_lo, 0x42ce8ed0, v1
	v_cvt_i32_f32_e32 v28, v28
	v_mul_f32_e32 v21, 0xbfb8aa3b, v10
	v_exp_f32_e32 v16, v16
	v_fma_f32 v31, 0xbfb8aa3b, v3, -v19
	v_rndne_f32_e32 v32, v19
	v_fmac_f32_e32 v37, 0xb2a5705f, v14
	v_fma_f32 v35, 0xbfb8aa3b, v10, -v21
	v_rndne_f32_e32 v36, v21
	v_ldexp_f32 v15, v15, v24
	s_delay_alu instid0(VALU_DEP_4) | instskip(SKIP_1) | instid1(TRANS32_DEP_1)
	v_dual_fmac_f32 v31, 0xb2a5705f, v3 :: v_dual_add_f32 v22, v22, v37
	v_cvt_i32_f32_e32 v34, v34
	v_ldexp_f32 v16, v16, v26
	s_delay_alu instid0(VALU_DEP_4)
	v_cndmask_b32_e32 v15, 0, v15, vcc_lo
	v_cmp_nlt_f32_e32 vcc_lo, 0x42ce8ed0, v11
	v_fmac_f32_e32 v33, 0xb2a5705f, v13
	v_exp_f32_e32 v22, v22
	v_cvt_i32_f32_e32 v25, v38
	v_cvt_i32_f32_e32 v23, v36
	v_cndmask_b32_e32 v16, 0, v16, vcc_lo
	v_dual_fmac_f32 v29, 0xb2a5705f, v12 :: v_dual_add_f32 v20, v20, v33
	v_fmac_f32_e32 v27, 0xb2a5705f, v2
	v_cmp_nlt_f32_e32 vcc_lo, 0x42ce8ed0, v2
	s_delay_alu instid0(VALU_DEP_3) | instskip(NEXT) | instid1(VALU_DEP_4)
	v_add_f32_e32 v18, v18, v29
	v_exp_f32_e32 v20, v20
	s_delay_alu instid0(VALU_DEP_3) | instskip(SKIP_3) | instid1(VALU_DEP_3)
	v_add_f32_e32 v17, v17, v27
	v_ldexp_f32 v22, v22, v25
	v_sub_f32_e32 v21, v21, v36
	v_exp_f32_e32 v18, v18
	v_exp_f32_e32 v17, v17
	s_delay_alu instid0(TRANS32_DEP_3) | instskip(SKIP_3) | instid1(VALU_DEP_1)
	v_ldexp_f32 v20, v20, v34
	s_waitcnt_depctr 0xfff
	v_ldexp_f32 v18, v18, v30
	v_ldexp_f32 v17, v17, v28
	v_cndmask_b32_e32 v17, 0, v17, vcc_lo
	v_cmp_nlt_f32_e32 vcc_lo, 0x42ce8ed0, v12
	v_sub_f32_e32 v19, v19, v32
	v_cvt_i32_f32_e32 v32, v32
	s_delay_alu instid0(VALU_DEP_2) | instskip(SKIP_1) | instid1(VALU_DEP_2)
	v_dual_cndmask_b32 v18, 0, v18 :: v_dual_add_f32 v19, v19, v31
	v_cmp_nlt_f32_e32 vcc_lo, 0x42ce8ed0, v3
	v_exp_f32_e32 v19, v19
	s_waitcnt_depctr 0xfff
	v_ldexp_f32 v19, v19, v32
	s_delay_alu instid0(VALU_DEP_1) | instskip(SKIP_2) | instid1(VALU_DEP_1)
	v_cndmask_b32_e32 v19, 0, v19, vcc_lo
	v_cmp_nlt_f32_e32 vcc_lo, 0x42ce8ed0, v13
	v_dual_fmac_f32 v35, 0xb2a5705f, v10 :: v_dual_cndmask_b32 v20, 0, v20
	v_add_f32_e32 v21, v21, v35
	v_cmp_nlt_f32_e32 vcc_lo, 0x42ce8ed0, v10
	s_delay_alu instid0(VALU_DEP_2) | instskip(SKIP_2) | instid1(VALU_DEP_1)
	v_exp_f32_e32 v21, v21
	s_waitcnt_depctr 0xfff
	v_ldexp_f32 v21, v21, v23
	v_cndmask_b32_e32 v21, 0, v21, vcc_lo
	v_cmp_nlt_f32_e32 vcc_lo, 0x42ce8ed0, v14
	v_cndmask_b32_e32 v22, 0, v22, vcc_lo
	v_cmp_ngt_f32_e32 vcc_lo, 0xc2b17218, v1
	v_cndmask_b32_e32 v1, 0x7f800000, v15, vcc_lo
	v_cmp_ngt_f32_e32 vcc_lo, 0xc2b17218, v11
	s_delay_alu instid0(VALU_DEP_2) | instskip(SKIP_4) | instid1(VALU_DEP_2)
	v_add_f32_e32 v1, 1.0, v1
	v_cndmask_b32_e32 v11, 0x7f800000, v16, vcc_lo
	v_cmp_ngt_f32_e32 vcc_lo, 0xc2b17218, v2
	v_cndmask_b32_e32 v2, 0x7f800000, v17, vcc_lo
	v_cmp_ngt_f32_e32 vcc_lo, 0xc2b17218, v12
	v_add_f32_e32 v2, 1.0, v2
	v_cndmask_b32_e32 v12, 0x7f800000, v18, vcc_lo
	v_cmp_ngt_f32_e32 vcc_lo, 0xc2b17218, v3
	s_delay_alu instid0(VALU_DEP_3) | instskip(NEXT) | instid1(VALU_DEP_3)
	v_div_scale_f32 v18, null, v2, v2, 1.0
	v_add_f32_e32 v15, 1.0, v12
	v_div_scale_f32 v12, null, v1, v1, 1.0
	s_delay_alu instid0(VALU_DEP_3) | instskip(NEXT) | instid1(VALU_DEP_1)
	v_rcp_f32_e32 v32, v18
	v_rcp_f32_e32 v30, v12
	s_waitcnt_depctr 0xfff
	v_fma_f32 v41, -v18, v32, 1.0
	v_fma_f32 v39, -v12, v30, 1.0
	s_delay_alu instid0(VALU_DEP_2) | instskip(NEXT) | instid1(VALU_DEP_2)
	v_fmac_f32_e32 v32, v41, v32
	v_dual_fmac_f32 v30, v39, v30 :: v_dual_cndmask_b32 v3, 0x7f800000, v19
	v_cmp_ngt_f32_e32 vcc_lo, 0xc2b17218, v13
	s_delay_alu instid0(VALU_DEP_2) | instskip(SKIP_3) | instid1(VALU_DEP_4)
	v_add_f32_e32 v3, 1.0, v3
	v_cndmask_b32_e32 v13, 0x7f800000, v20, vcc_lo
	v_cmp_ngt_f32_e32 vcc_lo, 0xc2b17218, v10
	v_div_scale_f32 v20, s3, 1.0, v2, 1.0
	v_div_scale_f32 v23, null, v3, v3, 1.0
	s_delay_alu instid0(VALU_DEP_4) | instskip(NEXT) | instid1(VALU_DEP_3)
	v_add_f32_e32 v17, 1.0, v13
	v_mul_f32_e32 v41, v20, v32
	s_delay_alu instid0(VALU_DEP_3) | instskip(NEXT) | instid1(VALU_DEP_2)
	v_rcp_f32_e32 v34, v23
	v_div_scale_f32 v25, null, v17, v17, 1.0
	v_div_scale_f32 v26, s6, 1.0, v17, 1.0
	s_delay_alu instid0(VALU_DEP_3) | instskip(NEXT) | instid1(VALU_DEP_3)
	v_fma_f32 v49, -v18, v41, v20
	v_rcp_f32_e32 v35, v25
	s_waitcnt_depctr 0xfff
	v_fma_f32 v43, -v23, v34, 1.0
	s_delay_alu instid0(VALU_DEP_1) | instskip(SKIP_4) | instid1(VALU_DEP_4)
	v_dual_fmac_f32 v41, v49, v32 :: v_dual_fmac_f32 v34, v43, v34
	v_cndmask_b32_e32 v10, 0x7f800000, v21, vcc_lo
	v_cmp_ngt_f32_e32 vcc_lo, 0xc2b17218, v14
	v_div_scale_f32 v21, null, v15, v15, 1.0
	v_fma_f32 v44, -v25, v35, 1.0
	v_add_f32_e32 v10, 1.0, v10
	v_cndmask_b32_e32 v14, 0x7f800000, v22, vcc_lo
	s_delay_alu instid0(VALU_DEP_4) | instskip(SKIP_1) | instid1(VALU_DEP_3)
	v_rcp_f32_e32 v33, v21
	v_div_scale_f32 v22, s4, 1.0, v15, 1.0
	v_div_scale_f32 v27, null, v10, v10, 1.0
	s_delay_alu instid0(VALU_DEP_3) | instskip(SKIP_2) | instid1(VALU_DEP_4)
	v_add_f32_e32 v19, 1.0, v14
	v_fmac_f32_e32 v35, v44, v35
	v_div_scale_f32 v28, s7, 1.0, v10, 1.0
	v_rcp_f32_e32 v36, v27
	s_delay_alu instid0(VALU_DEP_3) | instskip(SKIP_1) | instid1(TRANS32_DEP_2)
	v_div_scale_f32 v29, null, v19, v19, 1.0
	v_div_scale_f32 v38, s8, 1.0, v19, 1.0
	v_fma_f32 v42, -v21, v33, 1.0
	s_delay_alu instid0(VALU_DEP_3) | instskip(SKIP_1) | instid1(VALU_DEP_2)
	v_rcp_f32_e32 v37, v29
	v_mul_f32_e32 v44, v26, v35
	v_fmac_f32_e32 v33, v42, v33
	s_delay_alu instid0(TRANS32_DEP_2) | instskip(NEXT) | instid1(VALU_DEP_3)
	v_fma_f32 v45, -v27, v36, 1.0
	v_fma_f32 v52, -v25, v44, v26
	s_delay_alu instid0(VALU_DEP_3)
	v_mul_f32_e32 v42, v22, v33
	s_waitcnt_depctr 0xfff
	v_fma_f32 v46, -v29, v37, 1.0
	v_fmac_f32_e32 v44, v52, v35
	v_fmac_f32_e32 v36, v45, v36
	v_fma_f32 v50, -v21, v42, v22
	s_delay_alu instid0(VALU_DEP_4) | instskip(SKIP_1) | instid1(VALU_DEP_3)
	v_fmac_f32_e32 v37, v46, v37
	v_add_f32_e32 v11, 1.0, v11
	v_dual_mul_f32 v45, v28, v36 :: v_dual_fmac_f32 v42, v50, v33
	s_delay_alu instid0(VALU_DEP_3) | instskip(NEXT) | instid1(VALU_DEP_3)
	v_mul_f32_e32 v46, v38, v37
	v_div_scale_f32 v14, null, v11, v11, 1.0
	v_div_scale_f32 v16, s2, 1.0, v11, 1.0
	s_delay_alu instid0(VALU_DEP_3) | instskip(NEXT) | instid1(VALU_DEP_3)
	v_fma_f32 v54, -v29, v46, v38
	v_rcp_f32_e32 v31, v14
	v_fma_f32 v53, -v27, v45, v28
	s_delay_alu instid0(VALU_DEP_2) | instskip(SKIP_1) | instid1(VALU_DEP_3)
	v_fmac_f32_e32 v46, v54, v37
	v_div_scale_f32 v24, s5, 1.0, v3, 1.0
	v_fmac_f32_e32 v45, v53, v36
	s_waitcnt_depctr 0xfff
	v_fma_f32 v40, -v14, v31, 1.0
	v_mul_f32_e32 v43, v24, v34
	s_delay_alu instid0(VALU_DEP_2) | instskip(NEXT) | instid1(VALU_DEP_2)
	v_fmac_f32_e32 v31, v40, v31
	v_fma_f32 v51, -v23, v43, v24
	s_delay_alu instid0(VALU_DEP_1) | instskip(NEXT) | instid1(VALU_DEP_1)
	v_dual_mul_f32 v40, v16, v31 :: v_dual_fmac_f32 v43, v51, v34
	v_fma_f32 v48, -v14, v40, v16
	s_delay_alu instid0(VALU_DEP_1) | instskip(SKIP_1) | instid1(VALU_DEP_1)
	v_fmac_f32_e32 v40, v48, v31
	v_div_scale_f32 v13, vcc_lo, 1.0, v1, 1.0
	v_mul_f32_e32 v39, v13, v30
	s_delay_alu instid0(VALU_DEP_1) | instskip(NEXT) | instid1(VALU_DEP_1)
	v_fma_f32 v47, -v12, v39, v13
	v_fmac_f32_e32 v39, v47, v30
	s_delay_alu instid0(VALU_DEP_1)
	v_fma_f32 v12, -v12, v39, v13
	v_fma_f32 v13, -v14, v40, v16
	;; [unrolled: 1-line block ×5, first 2 shown]
	v_div_fmas_f32 v12, v12, v30, v39
	s_mov_b32 vcc_lo, s2
	v_fma_f32 v20, -v25, v44, v26
	v_div_fmas_f32 v13, v13, v31, v40
	s_mov_b32 vcc_lo, s3
	v_div_fixup_f32 v12, v12, v1, 1.0
	v_div_fmas_f32 v14, v14, v32, v41
	s_mov_b32 vcc_lo, s4
	v_fma_f32 v21, -v27, v45, v28
	v_div_fmas_f32 v1, v16, v33, v42
	s_mov_b32 vcc_lo, s5
	v_div_fixup_f32 v13, v13, v11, 1.0
	v_div_fmas_f32 v11, v18, v34, v43
	s_mov_b32 vcc_lo, s6
	v_fma_f32 v22, -v29, v46, v38
	v_div_fixup_f32 v14, v14, v2, 1.0
	v_div_fmas_f32 v2, v20, v35, v44
	s_mov_b32 vcc_lo, s7
	v_div_fixup_f32 v15, v1, v15, 1.0
	v_div_fmas_f32 v18, v21, v36, v45
	s_mov_b32 vcc_lo, s8
	v_div_fixup_f32 v16, v11, v3, 1.0
	v_div_fmas_f32 v20, v22, v37, v46
	v_mov_b32_e32 v11, 0
	v_div_fixup_f32 v17, v2, v17, 1.0
	v_div_fixup_f32 v18, v18, v10, 1.0
	s_cselect_b32 s2, -1, 0
	v_div_fixup_f32 v19, v20, v19, 1.0
	s_cmp_lt_i32 s12, 1
	s_clause 0x1
	global_store_b128 v[5:6], v[12:15], off
	global_store_b128 v[5:6], v[16:19], off offset:16
	s_cbranch_scc1 .LBB226_8
; %bb.5:
	v_lshrrev_b32_e32 v1, 16, v0
	v_and_b32_e32 v0, 0xffff, v0
	v_ashrrev_i32_e32 v5, 31, v4
	s_load_b128 s[4:7], s[0:1], 0x20
	v_mul_lo_u32 v2, v9, s12
	v_cvt_f32_u32_e32 v12, v1
	v_cvt_f32_u32_e32 v13, v0
	v_mul_lo_u32 v0, v9, s16
	v_lshlrev_b64 v[5:6], 2, v[4:5]
	s_delay_alu instid0(VALU_DEP_3) | instskip(NEXT) | instid1(VALU_DEP_2)
	v_cmp_lt_f32_e32 vcc_lo, v13, v12
	v_add_co_u32 v5, s0, s10, v5
	v_cndmask_b32_e32 v10, v13, v12, vcc_lo
	s_delay_alu instid0(VALU_DEP_4) | instskip(NEXT) | instid1(VALU_DEP_2)
	v_add_co_ci_u32_e64 v6, s0, s11, v6, s0
	v_sub_f32_e32 v11, v10, v10
	s_delay_alu instid0(VALU_DEP_1) | instskip(NEXT) | instid1(VALU_DEP_1)
	v_mul_f32_e32 v1, 0x3fb8aa3b, v11
	v_fma_f32 v3, 0x3fb8aa3b, v11, -v1
	v_rndne_f32_e32 v15, v1
	s_delay_alu instid0(VALU_DEP_2) | instskip(NEXT) | instid1(VALU_DEP_2)
	v_fmac_f32_e32 v3, 0x32a5705f, v11
	v_sub_f32_e32 v1, v1, v15
	v_cvt_i32_f32_e32 v15, v15
	s_delay_alu instid0(VALU_DEP_2) | instskip(SKIP_2) | instid1(VALU_DEP_3)
	v_add_f32_e32 v14, v1, v3
	v_ashrrev_i32_e32 v1, 31, v0
	v_ashrrev_i32_e32 v3, 31, v2
	v_exp_f32_e32 v16, v14
	v_cndmask_b32_e64 v14, 0, 1, vcc_lo
	s_delay_alu instid0(VALU_DEP_3) | instskip(NEXT) | instid1(VALU_DEP_3)
	v_lshlrev_b64 v[0:1], 2, v[0:1]
	v_lshlrev_b64 v[2:3], 2, v[2:3]
	s_delay_alu instid0(VALU_DEP_3) | instskip(SKIP_2) | instid1(TRANS32_DEP_1)
	v_cmp_le_i32_e64 s0, s13, v14
	v_cmp_gt_i32_e64 s1, s14, v14
	v_subrev_nc_u32_e32 v17, s13, v14
	v_ldexp_f32 v15, v16, v15
	s_delay_alu instid0(VALU_DEP_3) | instskip(SKIP_1) | instid1(VALU_DEP_1)
	s_and_b32 s1, s0, s1
	v_cmp_ngt_f32_e64 s0, 0xc2ce8ed0, v11
	v_cndmask_b32_e64 v18, 0, v15, s0
	s_waitcnt lgkmcnt(0)
	v_add_co_u32 v15, s0, s4, v0
	s_delay_alu instid0(VALU_DEP_1) | instskip(SKIP_4) | instid1(VALU_DEP_1)
	v_add_co_ci_u32_e64 v16, s0, s5, v1, s0
	s_and_b32 s0, s18, s1
	s_cmp_eq_u32 s12, 1
	v_cndmask_b32_e64 v19, 2, v17, s0
	v_cmp_nlt_f32_e64 s0, 0x42b17218, v11
	v_cndmask_b32_e64 v11, 0x7f800000, v18, s0
	v_add_co_u32 v17, s0, s6, v2
	s_delay_alu instid0(VALU_DEP_1)
	v_add_co_ci_u32_e64 v18, s0, s7, v3, s0
	global_store_b32 v[15:16], v19, off
	global_store_b32 v[5:6], v11, off
	;; [unrolled: 1-line block ×3, first 2 shown]
	s_cbranch_scc1 .LBB226_8
; %bb.6:
	v_cndmask_b32_e32 v9, 0xff800000, v13, vcc_lo
	v_cmp_ne_u32_e32 vcc_lo, 1, v14
	s_add_i32 s19, s19, s9
	s_add_i32 s1, s12, -1
	v_add3_u32 v7, s19, v8, v7
	v_cndmask_b32_e32 v12, 0xff800000, v12, vcc_lo
	v_add_co_u32 v2, vcc_lo, v2, s6
	v_add_co_ci_u32_e32 v3, vcc_lo, s7, v3, vcc_lo
	v_add_co_u32 v13, vcc_lo, v0, s4
	v_add_co_ci_u32_e32 v14, vcc_lo, s5, v1, vcc_lo
	s_delay_alu instid0(VALU_DEP_4) | instskip(NEXT) | instid1(VALU_DEP_4)
	v_add_co_u32 v0, vcc_lo, v2, 4
	v_add_co_ci_u32_e32 v1, vcc_lo, 0, v3, vcc_lo
	s_delay_alu instid0(VALU_DEP_4) | instskip(NEXT) | instid1(VALU_DEP_4)
	v_add_co_u32 v2, vcc_lo, v13, 4
	v_add_co_ci_u32_e32 v3, vcc_lo, 0, v14, vcc_lo
	v_add_co_u32 v5, vcc_lo, v5, 4
	v_add_co_ci_u32_e32 v6, vcc_lo, 0, v6, vcc_lo
.LBB226_7:                              ; =>This Inner Loop Header: Depth=1
	v_cmp_gt_f32_e32 vcc_lo, v12, v9
	s_add_i32 s1, s1, -1
	v_cndmask_b32_e64 v13, 0, 1, vcc_lo
	v_cndmask_b32_e32 v8, v9, v12, vcc_lo
	v_cndmask_b32_e64 v12, v12, 0xff800000, vcc_lo
	v_cndmask_b32_e32 v9, 0xff800000, v9, vcc_lo
	s_delay_alu instid0(VALU_DEP_4) | instskip(SKIP_2) | instid1(VALU_DEP_2)
	v_cmp_le_i32_e32 vcc_lo, s13, v13
	v_cmp_gt_i32_e64 s0, s14, v13
	v_subrev_nc_u32_e32 v13, s13, v13
	s_and_b32 s0, vcc_lo, s0
	s_delay_alu instid0(SALU_CYCLE_1) | instskip(SKIP_1) | instid1(VALU_DEP_1)
	s_and_b32 vcc_lo, s18, s0
	s_cmp_eq_u32 s1, 0
	v_dual_cndmask_b32 v13, 2, v13 :: v_dual_sub_f32 v8, v8, v10
	global_store_b32 v[2:3], v13, off
	global_store_b32 v[0:1], v7, off
	v_dual_mul_f32 v14, 0x3fb8aa3b, v8 :: v_dual_add_nc_u32 v7, s9, v7
	v_add_co_u32 v0, vcc_lo, v0, 4
	v_add_co_ci_u32_e32 v1, vcc_lo, 0, v1, vcc_lo
	s_delay_alu instid0(VALU_DEP_3) | instskip(SKIP_3) | instid1(VALU_DEP_4)
	v_fma_f32 v15, 0x3fb8aa3b, v8, -v14
	v_rndne_f32_e32 v16, v14
	v_add_co_u32 v2, vcc_lo, v2, 4
	v_add_co_ci_u32_e32 v3, vcc_lo, 0, v3, vcc_lo
	v_fmac_f32_e32 v15, 0x32a5705f, v8
	s_delay_alu instid0(VALU_DEP_4) | instskip(SKIP_1) | instid1(VALU_DEP_2)
	v_sub_f32_e32 v14, v14, v16
	v_cvt_i32_f32_e32 v16, v16
	v_add_f32_e32 v13, v14, v15
	v_cmp_ngt_f32_e32 vcc_lo, 0xc2ce8ed0, v8
	s_delay_alu instid0(VALU_DEP_2) | instskip(SKIP_2) | instid1(VALU_DEP_1)
	v_exp_f32_e32 v13, v13
	s_waitcnt_depctr 0xfff
	v_ldexp_f32 v13, v13, v16
	v_cndmask_b32_e32 v13, 0, v13, vcc_lo
	v_cmp_nlt_f32_e32 vcc_lo, 0x42b17218, v8
	s_delay_alu instid0(VALU_DEP_2)
	v_cndmask_b32_e32 v8, 0x7f800000, v13, vcc_lo
	global_store_b32 v[5:6], v8, off
	v_add_co_u32 v5, vcc_lo, v5, 4
	v_add_f32_e32 v11, v11, v8
	v_add_co_ci_u32_e32 v6, vcc_lo, 0, v6, vcc_lo
	s_cbranch_scc0 .LBB226_7
.LBB226_8:
	s_delay_alu instid0(VALU_DEP_2)
	v_cmp_neq_f32_e32 vcc_lo, 0, v11
	s_and_b32 exec_lo, exec_lo, vcc_lo
	s_cbranch_execz .LBB226_12
; %bb.9:
	s_and_not1_b32 vcc_lo, exec_lo, s2
	s_cbranch_vccnz .LBB226_12
; %bb.10:
	v_div_scale_f32 v0, null, v11, v11, 1.0
	v_div_scale_f32 v3, vcc_lo, 1.0, v11, 1.0
	s_delay_alu instid0(VALU_DEP_2) | instskip(SKIP_2) | instid1(VALU_DEP_1)
	v_rcp_f32_e32 v1, v0
	s_waitcnt_depctr 0xfff
	v_fma_f32 v2, -v0, v1, 1.0
	v_fmac_f32_e32 v1, v2, v1
	s_delay_alu instid0(VALU_DEP_1) | instskip(NEXT) | instid1(VALU_DEP_1)
	v_mul_f32_e32 v2, v3, v1
	v_fma_f32 v5, -v0, v2, v3
	s_delay_alu instid0(VALU_DEP_1) | instskip(SKIP_1) | instid1(VALU_DEP_2)
	v_fmac_f32_e32 v2, v5, v1
	v_ashrrev_i32_e32 v5, 31, v4
	v_fma_f32 v0, -v0, v2, v3
	s_delay_alu instid0(VALU_DEP_1) | instskip(NEXT) | instid1(VALU_DEP_3)
	v_div_fmas_f32 v2, v0, v1, v2
	v_lshlrev_b64 v[0:1], 2, v[4:5]
	s_delay_alu instid0(VALU_DEP_2) | instskip(NEXT) | instid1(VALU_DEP_2)
	v_div_fixup_f32 v2, v2, v11, 1.0
	v_add_co_u32 v0, vcc_lo, s10, v0
	s_delay_alu instid0(VALU_DEP_3)
	v_add_co_ci_u32_e32 v1, vcc_lo, s11, v1, vcc_lo
.LBB226_11:                             ; =>This Inner Loop Header: Depth=1
	global_load_b32 v3, v[0:1], off
	s_add_i32 s12, s12, -1
	s_delay_alu instid0(SALU_CYCLE_1)
	s_cmp_lg_u32 s12, 0
	s_waitcnt vmcnt(0)
	v_mul_f32_e32 v3, v2, v3
	global_store_b32 v[0:1], v3, off
	v_add_co_u32 v0, vcc_lo, v0, 4
	v_add_co_ci_u32_e32 v1, vcc_lo, 0, v1, vcc_lo
	s_cbranch_scc1 .LBB226_11
.LBB226_12:
	s_nop 0
	s_sendmsg sendmsg(MSG_DEALLOC_VGPRS)
	s_endpgm
	.section	.rodata,"a",@progbits
	.p2align	6, 0x0
	.amdhsa_kernel _ZN4vllm3moe17topkGatingSoftmaxItLi2ELi2ELi8ELi4ELb1ELi8ELNS0_23SharedExpertScoringFuncE1EEEvPKT_PKbPfiPiS9_iiiiii
		.amdhsa_group_segment_fixed_size 0
		.amdhsa_private_segment_fixed_size 0
		.amdhsa_kernarg_size 72
		.amdhsa_user_sgpr_count 15
		.amdhsa_user_sgpr_dispatch_ptr 0
		.amdhsa_user_sgpr_queue_ptr 0
		.amdhsa_user_sgpr_kernarg_segment_ptr 1
		.amdhsa_user_sgpr_dispatch_id 0
		.amdhsa_user_sgpr_private_segment_size 0
		.amdhsa_wavefront_size32 1
		.amdhsa_uses_dynamic_stack 0
		.amdhsa_enable_private_segment 0
		.amdhsa_system_sgpr_workgroup_id_x 1
		.amdhsa_system_sgpr_workgroup_id_y 0
		.amdhsa_system_sgpr_workgroup_id_z 0
		.amdhsa_system_sgpr_workgroup_info 0
		.amdhsa_system_vgpr_workitem_id 1
		.amdhsa_next_free_vgpr 55
		.amdhsa_next_free_sgpr 20
		.amdhsa_reserve_vcc 1
		.amdhsa_float_round_mode_32 0
		.amdhsa_float_round_mode_16_64 0
		.amdhsa_float_denorm_mode_32 3
		.amdhsa_float_denorm_mode_16_64 3
		.amdhsa_dx10_clamp 1
		.amdhsa_ieee_mode 1
		.amdhsa_fp16_overflow 0
		.amdhsa_workgroup_processor_mode 1
		.amdhsa_memory_ordered 1
		.amdhsa_forward_progress 0
		.amdhsa_shared_vgpr_count 0
		.amdhsa_exception_fp_ieee_invalid_op 0
		.amdhsa_exception_fp_denorm_src 0
		.amdhsa_exception_fp_ieee_div_zero 0
		.amdhsa_exception_fp_ieee_overflow 0
		.amdhsa_exception_fp_ieee_underflow 0
		.amdhsa_exception_fp_ieee_inexact 0
		.amdhsa_exception_int_div_zero 0
	.end_amdhsa_kernel
	.section	.text._ZN4vllm3moe17topkGatingSoftmaxItLi2ELi2ELi8ELi4ELb1ELi8ELNS0_23SharedExpertScoringFuncE1EEEvPKT_PKbPfiPiS9_iiiiii,"axG",@progbits,_ZN4vllm3moe17topkGatingSoftmaxItLi2ELi2ELi8ELi4ELb1ELi8ELNS0_23SharedExpertScoringFuncE1EEEvPKT_PKbPfiPiS9_iiiiii,comdat
.Lfunc_end226:
	.size	_ZN4vllm3moe17topkGatingSoftmaxItLi2ELi2ELi8ELi4ELb1ELi8ELNS0_23SharedExpertScoringFuncE1EEEvPKT_PKbPfiPiS9_iiiiii, .Lfunc_end226-_ZN4vllm3moe17topkGatingSoftmaxItLi2ELi2ELi8ELi4ELb1ELi8ELNS0_23SharedExpertScoringFuncE1EEEvPKT_PKbPfiPiS9_iiiiii
                                        ; -- End function
	.section	.AMDGPU.csdata,"",@progbits
; Kernel info:
; codeLenInByte = 2824
; NumSgprs: 22
; NumVgprs: 55
; ScratchSize: 0
; MemoryBound: 0
; FloatMode: 240
; IeeeMode: 1
; LDSByteSize: 0 bytes/workgroup (compile time only)
; SGPRBlocks: 2
; VGPRBlocks: 6
; NumSGPRsForWavesPerEU: 22
; NumVGPRsForWavesPerEU: 55
; Occupancy: 16
; WaveLimiterHint : 0
; COMPUTE_PGM_RSRC2:SCRATCH_EN: 0
; COMPUTE_PGM_RSRC2:USER_SGPR: 15
; COMPUTE_PGM_RSRC2:TRAP_HANDLER: 0
; COMPUTE_PGM_RSRC2:TGID_X_EN: 1
; COMPUTE_PGM_RSRC2:TGID_Y_EN: 0
; COMPUTE_PGM_RSRC2:TGID_Z_EN: 0
; COMPUTE_PGM_RSRC2:TIDIG_COMP_CNT: 1
	.section	.text._ZN4vllm3moe17topkGatingSoftmaxItLi2ELi2ELi8ELi4ELb0ELi8ELNS0_23SharedExpertScoringFuncE1EEEvPKT_PKbPfiPiS9_iiiiii,"axG",@progbits,_ZN4vllm3moe17topkGatingSoftmaxItLi2ELi2ELi8ELi4ELb0ELi8ELNS0_23SharedExpertScoringFuncE1EEEvPKT_PKbPfiPiS9_iiiiii,comdat
	.protected	_ZN4vllm3moe17topkGatingSoftmaxItLi2ELi2ELi8ELi4ELb0ELi8ELNS0_23SharedExpertScoringFuncE1EEEvPKT_PKbPfiPiS9_iiiiii ; -- Begin function _ZN4vllm3moe17topkGatingSoftmaxItLi2ELi2ELi8ELi4ELb0ELi8ELNS0_23SharedExpertScoringFuncE1EEEvPKT_PKbPfiPiS9_iiiiii
	.globl	_ZN4vllm3moe17topkGatingSoftmaxItLi2ELi2ELi8ELi4ELb0ELi8ELNS0_23SharedExpertScoringFuncE1EEEvPKT_PKbPfiPiS9_iiiiii
	.p2align	8
	.type	_ZN4vllm3moe17topkGatingSoftmaxItLi2ELi2ELi8ELi4ELb0ELi8ELNS0_23SharedExpertScoringFuncE1EEEvPKT_PKbPfiPiS9_iiiiii,@function
_ZN4vllm3moe17topkGatingSoftmaxItLi2ELi2ELi8ELi4ELb0ELi8ELNS0_23SharedExpertScoringFuncE1EEEvPKT_PKbPfiPiS9_iiiiii: ; @_ZN4vllm3moe17topkGatingSoftmaxItLi2ELi2ELi8ELi4ELb0ELi8ELNS0_23SharedExpertScoringFuncE1EEEvPKT_PKbPfiPiS9_iiiiii
; %bb.0:
	s_load_b32 s18, s[0:1], 0x18
	v_bfe_u32 v1, v0, 10, 10
	v_and_b32_e32 v8, 0x3ff, v0
	s_lshl_b32 s20, s15, 8
	s_mov_b32 s2, exec_lo
	s_delay_alu instid0(VALU_DEP_2) | instskip(NEXT) | instid1(VALU_DEP_1)
	v_lshlrev_b32_e32 v7, 5, v1
	v_add3_u32 v9, v7, v8, s20
	s_waitcnt lgkmcnt(0)
	s_delay_alu instid0(VALU_DEP_1)
	v_cmpx_gt_i32_e64 s18, v9
	s_cbranch_execz .LBB227_12
; %bb.1:
	s_clause 0x1
	s_load_b128 s[4:7], s[0:1], 0x0
	s_load_b64 s[10:11], s[0:1], 0x10
	s_waitcnt lgkmcnt(0)
	s_cmp_eq_u64 s[6:7], 0
	s_cbranch_scc1 .LBB227_3
; %bb.2:
	v_ashrrev_i32_e32 v1, 31, v9
	v_add_co_u32 v0, vcc_lo, s6, v9
	s_delay_alu instid0(VALU_DEP_2) | instskip(SKIP_3) | instid1(VALU_DEP_1)
	v_add_co_ci_u32_e32 v1, vcc_lo, s7, v1, vcc_lo
	global_load_u8 v0, v[0:1], off
	s_waitcnt vmcnt(0)
	v_and_b32_e32 v0, 1, v0
	v_cmp_eq_u32_e32 vcc_lo, 1, v0
	s_xor_b32 s2, vcc_lo, -1
	s_delay_alu instid0(SALU_CYCLE_1)
	s_or_not1_b32 s19, s2, exec_lo
	s_branch .LBB227_4
.LBB227_3:
	s_mov_b32 s19, -1
.LBB227_4:
	s_clause 0x1
	s_load_b64 s[16:17], s[0:1], 0x40
	s_load_b128 s[12:15], s[0:1], 0x30
	s_waitcnt lgkmcnt(0)
	v_mul_lo_u32 v0, v9, s17
	s_cmp_gt_i32 s12, 0
	s_delay_alu instid0(VALU_DEP_1) | instskip(NEXT) | instid1(VALU_DEP_1)
	v_ashrrev_i32_e32 v1, 31, v0
	v_lshlrev_b64 v[0:1], 1, v[0:1]
	s_delay_alu instid0(VALU_DEP_1) | instskip(NEXT) | instid1(VALU_DEP_2)
	v_add_co_u32 v5, vcc_lo, s4, v0
	v_add_co_ci_u32_e32 v6, vcc_lo, s5, v1, vcc_lo
	v_mul_lo_u32 v0, v9, s15
	s_clause 0x1
	global_load_b128 v[1:4], v[5:6], off
	global_load_b32 v10, v[5:6], off offset:16
	s_waitcnt vmcnt(1)
	v_lshrrev_b32_e32 v13, 16, v3
	v_lshrrev_b32_e32 v12, 16, v2
	v_lshrrev_b32_e32 v14, 16, v4
	v_lshrrev_b32_e32 v11, 16, v1
	v_and_b32_e32 v1, 0xffff, v1
	v_cvt_f32_u32_e32 v13, v13
	v_and_b32_e32 v2, 0xffff, v2
	s_waitcnt vmcnt(0)
	v_lshrrev_b32_e32 v15, 16, v10
	v_cvt_f32_u32_e32 v14, v14
	v_mul_f32_e32 v20, 0xbfb8aa3b, v13
	s_delay_alu instid0(VALU_DEP_3) | instskip(NEXT) | instid1(VALU_DEP_3)
	v_cvt_f32_u32_e32 v15, v15
	v_mul_f32_e32 v22, 0xbfb8aa3b, v14
	s_delay_alu instid0(VALU_DEP_3) | instskip(SKIP_2) | instid1(VALU_DEP_4)
	v_rndne_f32_e32 v32, v20
	v_and_b32_e32 v3, 0xffff, v3
	v_fma_f32 v31, 0xbfb8aa3b, v13, -v20
	v_fma_f32 v35, 0xbfb8aa3b, v14, -v22
	v_rndne_f32_e32 v36, v22
	v_sub_f32_e32 v20, v20, v32
	v_cvt_f32_u32_e32 v3, v3
	v_cvt_i32_f32_e32 v32, v32
	s_delay_alu instid0(VALU_DEP_4) | instskip(SKIP_1) | instid1(VALU_DEP_4)
	v_dual_fmac_f32 v35, 0xb2a5705f, v14 :: v_dual_sub_f32 v22, v22, v36
	v_fmac_f32_e32 v31, 0xb2a5705f, v13
	v_mul_f32_e32 v19, 0xbfb8aa3b, v3
	v_cvt_i32_f32_e32 v36, v36
	v_mul_f32_e32 v24, 0xbfb8aa3b, v15
	v_add_f32_e32 v22, v22, v35
	v_add_f32_e32 v20, v20, v31
	v_fma_f32 v29, 0xbfb8aa3b, v3, -v19
	v_rndne_f32_e32 v30, v19
	v_rndne_f32_e32 v40, v24
	v_fma_f32 v39, 0xbfb8aa3b, v15, -v24
	v_exp_f32_e32 v20, v20
	v_fmac_f32_e32 v29, 0xb2a5705f, v3
	v_sub_f32_e32 v19, v19, v30
	v_and_b32_e32 v16, 0xffff, v10
	v_cvt_f32_u32_e32 v10, v11
	v_cvt_f32_u32_e32 v11, v1
	v_cvt_f32_u32_e32 v1, v2
	v_cvt_f32_u32_e32 v2, v12
	v_add_nc_u32_e32 v5, s12, v0
	v_cvt_i32_f32_e32 v30, v30
	v_ldexp_f32 v20, v20, v32
	s_delay_alu instid0(VALU_DEP_4) | instskip(NEXT) | instid1(VALU_DEP_4)
	v_dual_mul_f32 v17, 0xbfb8aa3b, v1 :: v_dual_mul_f32 v18, 0xbfb8aa3b, v2
	v_ashrrev_i32_e32 v6, 31, v5
	v_exp_f32_e32 v22, v22
	v_cmp_lt_f32_e64 s2, v11, v10
	s_delay_alu instid0(VALU_DEP_3)
	v_fma_f32 v25, 0xbfb8aa3b, v1, -v17
	v_fma_f32 v27, 0xbfb8aa3b, v2, -v18
	v_rndne_f32_e32 v28, v18
	v_rndne_f32_e32 v26, v17
	v_and_b32_e32 v4, 0xffff, v4
	v_dual_fmac_f32 v25, 0xb2a5705f, v1 :: v_dual_sub_f32 v24, v24, v40
	s_delay_alu instid0(VALU_DEP_4) | instskip(NEXT) | instid1(VALU_DEP_4)
	v_dual_fmac_f32 v27, 0xb2a5705f, v2 :: v_dual_sub_f32 v18, v18, v28
	v_sub_f32_e32 v17, v17, v26
	v_lshlrev_b64 v[5:6], 2, v[5:6]
	v_cvt_i32_f32_e32 v26, v26
	v_cvt_f32_u32_e32 v4, v4
	v_dual_add_f32 v18, v18, v27 :: v_dual_add_f32 v19, v19, v29
	v_cvt_f32_u32_e32 v16, v16
	v_add_f32_e32 v17, v17, v25
	v_add_co_u32 v5, vcc_lo, s10, v5
	s_delay_alu instid0(VALU_DEP_4) | instskip(NEXT) | instid1(VALU_DEP_3)
	v_exp_f32_e32 v18, v18
	v_mul_f32_e32 v23, 0xbfb8aa3b, v16
	v_add_co_ci_u32_e32 v6, vcc_lo, s11, v6, vcc_lo
	v_cvt_i32_f32_e32 v28, v28
	v_exp_f32_e32 v19, v19
	v_cmp_nlt_f32_e32 vcc_lo, 0x42ce8ed0, v1
	v_mul_f32_e32 v21, 0xbfb8aa3b, v4
	v_fmac_f32_e32 v39, 0xb2a5705f, v15
	v_fma_f32 v37, 0xbfb8aa3b, v16, -v23
	v_exp_f32_e32 v17, v17
	v_ldexp_f32 v18, v18, v28
	v_fma_f32 v33, 0xbfb8aa3b, v4, -v21
	v_rndne_f32_e32 v34, v21
	v_add_f32_e32 v24, v24, v39
	v_ldexp_f32 v19, v19, v30
	v_rndne_f32_e32 v38, v23
	v_fmac_f32_e32 v33, 0xb2a5705f, v4
	v_ldexp_f32 v22, v22, v36
	v_exp_f32_e32 v24, v24
	v_ldexp_f32 v17, v17, v26
	v_cvt_i32_f32_e32 v25, v38
	v_cvt_i32_f32_e32 v27, v40
	v_cndmask_b32_e64 v12, v11, v10, s2
	s_delay_alu instid0(VALU_DEP_4)
	v_cndmask_b32_e32 v17, 0, v17, vcc_lo
	v_cmp_nlt_f32_e32 vcc_lo, 0x42ce8ed0, v2
	s_delay_alu instid0(TRANS32_DEP_1) | instid1(VALU_DEP_4)
	v_ldexp_f32 v24, v24, v27
	v_cndmask_b32_e32 v18, 0, v18, vcc_lo
	v_cmp_nlt_f32_e32 vcc_lo, 0x42ce8ed0, v3
	v_cndmask_b32_e32 v19, 0, v19, vcc_lo
	v_cmp_nlt_f32_e32 vcc_lo, 0x42ce8ed0, v13
	v_sub_f32_e32 v21, v21, v34
	v_cvt_i32_f32_e32 v34, v34
	s_delay_alu instid0(VALU_DEP_2) | instskip(SKIP_1) | instid1(VALU_DEP_2)
	v_dual_cndmask_b32 v20, 0, v20 :: v_dual_add_f32 v21, v21, v33
	v_cmp_nlt_f32_e32 vcc_lo, 0x42ce8ed0, v4
	v_exp_f32_e32 v21, v21
	s_waitcnt_depctr 0xfff
	v_ldexp_f32 v21, v21, v34
	s_delay_alu instid0(VALU_DEP_1) | instskip(SKIP_3) | instid1(VALU_DEP_1)
	v_cndmask_b32_e32 v21, 0, v21, vcc_lo
	v_sub_f32_e32 v23, v23, v38
	v_cmp_nlt_f32_e32 vcc_lo, 0x42ce8ed0, v14
	v_dual_fmac_f32 v37, 0xb2a5705f, v16 :: v_dual_cndmask_b32 v22, 0, v22
	v_add_f32_e32 v23, v23, v37
	v_cmp_nlt_f32_e32 vcc_lo, 0x42ce8ed0, v16
	s_delay_alu instid0(VALU_DEP_2) | instskip(SKIP_2) | instid1(VALU_DEP_1)
	v_exp_f32_e32 v23, v23
	s_waitcnt_depctr 0xfff
	v_ldexp_f32 v23, v23, v25
	v_cndmask_b32_e32 v23, 0, v23, vcc_lo
	v_cmp_nlt_f32_e32 vcc_lo, 0x42ce8ed0, v15
	v_cndmask_b32_e32 v24, 0, v24, vcc_lo
	v_cmp_ngt_f32_e32 vcc_lo, 0xc2b17218, v1
	v_cndmask_b32_e32 v1, 0x7f800000, v17, vcc_lo
	v_cmp_ngt_f32_e32 vcc_lo, 0xc2b17218, v2
	;; [unrolled: 2-line block ×3, first 2 shown]
	s_delay_alu instid0(VALU_DEP_2) | instskip(SKIP_3) | instid1(VALU_DEP_4)
	v_dual_add_f32 v2, 1.0, v2 :: v_dual_cndmask_b32 v3, 0x7f800000, v19
	v_cmp_ngt_f32_e32 vcc_lo, 0xc2b17218, v13
	v_cndmask_b32_e32 v13, 0x7f800000, v20, vcc_lo
	v_cmp_ngt_f32_e32 vcc_lo, 0xc2b17218, v4
	v_div_scale_f32 v20, s3, 1.0, v2, 1.0
	v_cndmask_b32_e32 v4, 0x7f800000, v21, vcc_lo
	v_cmp_ngt_f32_e32 vcc_lo, 0xc2b17218, v14
	s_delay_alu instid0(VALU_DEP_2) | instskip(SKIP_1) | instid1(VALU_DEP_2)
	v_dual_add_f32 v17, 1.0, v4 :: v_dual_cndmask_b32 v14, 0x7f800000, v22
	v_cmp_ngt_f32_e32 vcc_lo, 0xc2b17218, v16
	v_div_scale_f32 v25, null, v17, v17, 1.0
	s_delay_alu instid0(VALU_DEP_3) | instskip(NEXT) | instid1(VALU_DEP_2)
	v_add_f32_e32 v18, 1.0, v14
	v_rcp_f32_e32 v36, v25
	s_delay_alu instid0(VALU_DEP_1) | instskip(SKIP_1) | instid1(VALU_DEP_2)
	v_div_scale_f32 v27, null, v18, v18, 1.0
	v_div_scale_f32 v28, s7, 1.0, v18, 1.0
	v_rcp_f32_e32 v37, v27
	s_waitcnt_depctr 0xfff
	v_fma_f32 v45, -v25, v36, 1.0
	s_delay_alu instid0(VALU_DEP_1) | instskip(SKIP_1) | instid1(VALU_DEP_2)
	v_dual_fmac_f32 v36, v45, v36 :: v_dual_add_f32 v1, 1.0, v1
	v_fma_f32 v46, -v27, v37, 1.0
	v_div_scale_f32 v4, null, v1, v1, 1.0
	s_delay_alu instid0(VALU_DEP_2) | instskip(SKIP_1) | instid1(VALU_DEP_3)
	v_fmac_f32_e32 v37, v46, v37
	v_add_f32_e32 v3, 1.0, v3
	v_rcp_f32_e32 v32, v4
	s_delay_alu instid0(VALU_DEP_2) | instskip(NEXT) | instid1(VALU_DEP_2)
	v_mul_f32_e32 v46, v28, v37
	v_div_scale_f32 v21, null, v3, v3, 1.0
	v_div_scale_f32 v22, s4, 1.0, v3, 1.0
	s_delay_alu instid0(VALU_DEP_3) | instskip(NEXT) | instid1(VALU_DEP_3)
	v_fma_f32 v54, -v27, v46, v28
	v_rcp_f32_e32 v34, v21
	s_waitcnt_depctr 0xfff
	v_fma_f32 v41, -v4, v32, 1.0
	v_fmac_f32_e32 v46, v54, v37
	s_delay_alu instid0(VALU_DEP_2) | instskip(SKIP_1) | instid1(VALU_DEP_1)
	v_fmac_f32_e32 v32, v41, v32
	v_fma_f32 v43, -v21, v34, 1.0
	v_fmac_f32_e32 v34, v43, v34
	v_cndmask_b32_e32 v16, 0x7f800000, v23, vcc_lo
	v_cmp_ngt_f32_e32 vcc_lo, 0xc2b17218, v15
	s_delay_alu instid0(VALU_DEP_2) | instskip(SKIP_2) | instid1(VALU_DEP_3)
	v_dual_mul_f32 v43, v22, v34 :: v_dual_add_f32 v16, 1.0, v16
	v_cndmask_b32_e32 v15, 0x7f800000, v24, vcc_lo
	v_div_scale_f32 v14, vcc_lo, 1.0, v1, 1.0
	v_fma_f32 v51, -v21, v43, v22
	s_delay_alu instid0(VALU_DEP_4) | instskip(NEXT) | instid1(VALU_DEP_4)
	v_div_scale_f32 v29, null, v16, v16, 1.0
	v_add_f32_e32 v19, 1.0, v15
	v_div_scale_f32 v15, null, v2, v2, 1.0
	s_delay_alu instid0(VALU_DEP_3) | instskip(SKIP_1) | instid1(VALU_DEP_3)
	v_rcp_f32_e32 v38, v29
	v_mul_f32_e32 v41, v14, v32
	v_div_scale_f32 v31, null, v19, v19, 1.0
	s_delay_alu instid0(VALU_DEP_3) | instskip(SKIP_1) | instid1(VALU_DEP_2)
	v_rcp_f32_e32 v33, v15
	v_div_scale_f32 v40, s9, 1.0, v19, 1.0
	v_rcp_f32_e32 v39, v31
	v_fma_f32 v49, -v4, v41, v14
	v_div_scale_f32 v30, s8, 1.0, v16, 1.0
	s_delay_alu instid0(TRANS32_DEP_3) | instskip(SKIP_1) | instid1(VALU_DEP_4)
	v_fma_f32 v47, -v29, v38, 1.0
	v_fmac_f32_e32 v43, v51, v34
	v_fmac_f32_e32 v41, v49, v32
	s_delay_alu instid0(TRANS32_DEP_2) | instskip(NEXT) | instid1(VALU_DEP_4)
	v_fma_f32 v42, -v15, v33, 1.0
	v_fmac_f32_e32 v38, v47, v38
	s_delay_alu instid0(TRANS32_DEP_1) | instskip(NEXT) | instid1(VALU_DEP_4)
	v_fma_f32 v48, -v31, v39, 1.0
	v_fma_f32 v4, -v4, v41, v14
	s_delay_alu instid0(VALU_DEP_4) | instskip(NEXT) | instid1(VALU_DEP_4)
	v_fmac_f32_e32 v33, v42, v33
	v_mul_f32_e32 v47, v30, v38
	s_delay_alu instid0(VALU_DEP_4) | instskip(NEXT) | instid1(VALU_DEP_4)
	v_fmac_f32_e32 v39, v48, v39
	v_div_fmas_f32 v4, v4, v32, v41
	s_delay_alu instid0(VALU_DEP_4)
	v_mul_f32_e32 v42, v20, v33
	v_add_f32_e32 v13, 1.0, v13
	v_fma_f32 v55, -v29, v47, v30
	v_mul_f32_e32 v48, v40, v39
	s_mov_b32 vcc_lo, s3
	v_fma_f32 v50, -v15, v42, v20
	v_div_scale_f32 v23, null, v13, v13, 1.0
	v_div_scale_f32 v24, s5, 1.0, v13, 1.0
	v_fma_f32 v56, -v31, v48, v40
	s_delay_alu instid0(VALU_DEP_3)
	v_rcp_f32_e32 v35, v23
	v_fmac_f32_e32 v47, v55, v38
	v_div_fixup_f32 v1, v4, v1, 1.0
	s_cselect_b32 s3, -1, 0
	v_fmac_f32_e32 v48, v56, v39
	s_cmp_lt_i32 s12, 1
	s_waitcnt_depctr 0xfff
	v_fma_f32 v44, -v23, v35, 1.0
	s_delay_alu instid0(VALU_DEP_1) | instskip(NEXT) | instid1(VALU_DEP_1)
	v_fmac_f32_e32 v35, v44, v35
	v_mul_f32_e32 v44, v24, v35
	s_delay_alu instid0(VALU_DEP_1) | instskip(NEXT) | instid1(VALU_DEP_1)
	v_fma_f32 v52, -v23, v44, v24
	v_fmac_f32_e32 v44, v52, v35
	v_fmac_f32_e32 v42, v50, v33
	v_div_scale_f32 v26, s6, 1.0, v17, 1.0
	s_delay_alu instid0(VALU_DEP_2) | instskip(NEXT) | instid1(VALU_DEP_2)
	v_fma_f32 v14, -v15, v42, v20
	v_mul_f32_e32 v45, v26, v36
	v_fma_f32 v15, -v21, v43, v22
	v_fma_f32 v20, -v23, v44, v24
	;; [unrolled: 1-line block ×3, first 2 shown]
	v_div_fmas_f32 v14, v14, v33, v42
	v_fma_f32 v53, -v25, v45, v26
	s_mov_b32 vcc_lo, s4
	v_fma_f32 v23, -v29, v47, v30
	v_div_fmas_f32 v15, v15, v34, v43
	s_mov_b32 vcc_lo, s5
	v_fmac_f32_e32 v45, v53, v36
	v_div_fmas_f32 v4, v20, v35, v44
	s_mov_b32 vcc_lo, s6
	v_div_fixup_f32 v2, v14, v2, 1.0
	v_fma_f32 v24, -v31, v48, v40
	v_fma_f32 v21, -v25, v45, v26
	v_div_fixup_f32 v3, v15, v3, 1.0
	v_div_fixup_f32 v4, v4, v13, 1.0
	v_mov_b32_e32 v13, 0
	s_delay_alu instid0(VALU_DEP_4) | instskip(SKIP_3) | instid1(VALU_DEP_2)
	v_div_fmas_f32 v14, v21, v36, v45
	s_mov_b32 vcc_lo, s7
	v_div_fmas_f32 v15, v22, v37, v46
	s_mov_b32 vcc_lo, s8
	v_div_fixup_f32 v14, v14, v17, 1.0
	v_div_fmas_f32 v20, v23, v38, v47
	s_mov_b32 vcc_lo, s9
	v_div_fixup_f32 v15, v15, v18, 1.0
	v_div_fmas_f32 v21, v24, v39, v48
	s_delay_alu instid0(VALU_DEP_3) | instskip(NEXT) | instid1(VALU_DEP_2)
	v_div_fixup_f32 v16, v20, v16, 1.0
	v_div_fixup_f32 v17, v21, v19, 1.0
	s_clause 0x1
	global_store_b128 v[5:6], v[1:4], off
	global_store_b128 v[5:6], v[14:17], off offset:16
	s_cbranch_scc1 .LBB227_8
; %bb.5:
	v_ashrrev_i32_e32 v1, 31, v0
	v_cndmask_b32_e64 v19, 0, 1, s2
	s_load_b128 s[4:7], s[0:1], 0x20
	v_sub_f32_e32 v18, v12, v12
	v_mul_lo_u32 v2, v9, s16
	v_lshlrev_b64 v[5:6], 2, v[0:1]
	v_cmp_le_i32_e32 vcc_lo, s13, v19
	v_cmp_gt_i32_e64 s0, s14, v19
	v_subrev_nc_u32_e32 v15, s13, v19
	v_mul_lo_u32 v13, v9, s12
	v_cndmask_b32_e64 v11, 0xff800000, v11, s2
	s_delay_alu instid0(VALU_DEP_4)
	s_and_b32 s0, vcc_lo, s0
	v_add_co_u32 v5, vcc_lo, s10, v5
	v_add_co_ci_u32_e32 v6, vcc_lo, s11, v6, vcc_lo
	s_and_b32 vcc_lo, s19, s0
	v_dual_mul_f32 v3, 0x3fb8aa3b, v18 :: v_dual_cndmask_b32 v20, 2, v15
	s_cmp_eq_u32 s12, 1
	s_delay_alu instid0(VALU_DEP_1) | instskip(SKIP_1) | instid1(VALU_DEP_1)
	v_rndne_f32_e32 v4, v3
	v_fma_f32 v14, 0x3fb8aa3b, v18, -v3
	v_dual_sub_f32 v3, v3, v4 :: v_dual_fmac_f32 v14, 0x32a5705f, v18
	v_cvt_i32_f32_e32 v17, v4
	s_delay_alu instid0(VALU_DEP_2) | instskip(SKIP_2) | instid1(VALU_DEP_3)
	v_add_f32_e32 v1, v3, v14
	v_ashrrev_i32_e32 v3, 31, v2
	v_ashrrev_i32_e32 v14, 31, v13
	v_exp_f32_e32 v16, v1
	s_delay_alu instid0(VALU_DEP_2) | instskip(NEXT) | instid1(VALU_DEP_2)
	v_lshlrev_b64 v[1:2], 2, v[2:3]
	v_lshlrev_b64 v[3:4], 2, v[13:14]
	s_waitcnt lgkmcnt(0)
	s_delay_alu instid0(VALU_DEP_2) | instskip(NEXT) | instid1(VALU_DEP_3)
	v_add_co_u32 v14, vcc_lo, s4, v1
	v_add_co_ci_u32_e32 v15, vcc_lo, s5, v2, vcc_lo
	s_waitcnt_depctr 0xfff
	v_ldexp_f32 v13, v16, v17
	v_cmp_ngt_f32_e32 vcc_lo, 0xc2ce8ed0, v18
	s_delay_alu instid0(VALU_DEP_2) | instskip(SKIP_3) | instid1(VALU_DEP_4)
	v_cndmask_b32_e32 v13, 0, v13, vcc_lo
	v_add_co_u32 v16, vcc_lo, s6, v3
	v_add_co_ci_u32_e32 v17, vcc_lo, s7, v4, vcc_lo
	v_cmp_nlt_f32_e32 vcc_lo, 0x42b17218, v18
	v_cndmask_b32_e32 v13, 0x7f800000, v13, vcc_lo
	v_cmp_ne_u32_e32 vcc_lo, 1, v19
	global_store_b32 v[14:15], v20, off
	global_store_b32 v[5:6], v13, off
	;; [unrolled: 1-line block ×3, first 2 shown]
	v_cndmask_b32_e32 v10, 0xff800000, v10, vcc_lo
	s_cbranch_scc1 .LBB227_8
; %bb.6:
	v_add_co_u32 v3, vcc_lo, v3, s6
	v_add_co_ci_u32_e32 v4, vcc_lo, s7, v4, vcc_lo
	v_add_co_u32 v9, vcc_lo, v1, s4
	v_add_co_ci_u32_e32 v14, vcc_lo, s5, v2, vcc_lo
	s_delay_alu instid0(VALU_DEP_4) | instskip(NEXT) | instid1(VALU_DEP_4)
	v_add_co_u32 v1, vcc_lo, v3, 4
	v_add_co_ci_u32_e32 v2, vcc_lo, 0, v4, vcc_lo
	s_delay_alu instid0(VALU_DEP_4) | instskip(NEXT) | instid1(VALU_DEP_4)
	v_add_co_u32 v3, vcc_lo, v9, 4
	v_add_co_ci_u32_e32 v4, vcc_lo, 0, v14, vcc_lo
	s_add_i32 s20, s20, s18
	v_add_co_u32 v5, vcc_lo, v5, 4
	v_add_co_ci_u32_e32 v6, vcc_lo, 0, v6, vcc_lo
	v_add3_u32 v7, s20, v8, v7
	s_add_i32 s1, s12, -1
.LBB227_7:                              ; =>This Inner Loop Header: Depth=1
	v_cmp_gt_f32_e32 vcc_lo, v10, v11
	s_add_i32 s1, s1, -1
	v_cndmask_b32_e64 v9, 0, 1, vcc_lo
	v_cndmask_b32_e32 v8, v11, v10, vcc_lo
	v_cndmask_b32_e64 v10, v10, 0xff800000, vcc_lo
	v_cndmask_b32_e32 v11, 0xff800000, v11, vcc_lo
	s_delay_alu instid0(VALU_DEP_4) | instskip(SKIP_2) | instid1(VALU_DEP_2)
	v_cmp_le_i32_e32 vcc_lo, s13, v9
	v_cmp_gt_i32_e64 s0, s14, v9
	v_subrev_nc_u32_e32 v9, s13, v9
	s_and_b32 s0, vcc_lo, s0
	s_delay_alu instid0(SALU_CYCLE_1) | instskip(SKIP_1) | instid1(VALU_DEP_1)
	s_and_b32 vcc_lo, s19, s0
	s_cmp_eq_u32 s1, 0
	v_dual_cndmask_b32 v9, 2, v9 :: v_dual_sub_f32 v8, v8, v12
	global_store_b32 v[3:4], v9, off
	global_store_b32 v[1:2], v7, off
	v_dual_mul_f32 v14, 0x3fb8aa3b, v8 :: v_dual_add_nc_u32 v7, s18, v7
	v_add_co_u32 v1, vcc_lo, v1, 4
	v_add_co_ci_u32_e32 v2, vcc_lo, 0, v2, vcc_lo
	s_delay_alu instid0(VALU_DEP_3) | instskip(SKIP_3) | instid1(VALU_DEP_4)
	v_fma_f32 v15, 0x3fb8aa3b, v8, -v14
	v_rndne_f32_e32 v16, v14
	v_add_co_u32 v3, vcc_lo, v3, 4
	v_add_co_ci_u32_e32 v4, vcc_lo, 0, v4, vcc_lo
	v_fmac_f32_e32 v15, 0x32a5705f, v8
	s_delay_alu instid0(VALU_DEP_4) | instskip(SKIP_1) | instid1(VALU_DEP_2)
	v_sub_f32_e32 v14, v14, v16
	v_cvt_i32_f32_e32 v16, v16
	v_add_f32_e32 v9, v14, v15
	v_cmp_ngt_f32_e32 vcc_lo, 0xc2ce8ed0, v8
	s_delay_alu instid0(VALU_DEP_2) | instskip(SKIP_2) | instid1(VALU_DEP_1)
	v_exp_f32_e32 v9, v9
	s_waitcnt_depctr 0xfff
	v_ldexp_f32 v9, v9, v16
	v_cndmask_b32_e32 v9, 0, v9, vcc_lo
	v_cmp_nlt_f32_e32 vcc_lo, 0x42b17218, v8
	s_delay_alu instid0(VALU_DEP_2)
	v_cndmask_b32_e32 v8, 0x7f800000, v9, vcc_lo
	global_store_b32 v[5:6], v8, off
	v_add_co_u32 v5, vcc_lo, v5, 4
	v_add_f32_e32 v13, v13, v8
	v_add_co_ci_u32_e32 v6, vcc_lo, 0, v6, vcc_lo
	s_cbranch_scc0 .LBB227_7
.LBB227_8:
	s_delay_alu instid0(VALU_DEP_1) | instskip(NEXT) | instid1(VALU_DEP_1)
	v_sub_f32_e32 v2, v10, v12
	v_dual_sub_f32 v1, v11, v12 :: v_dual_mul_f32 v4, 0x3fb8aa3b, v2
	s_delay_alu instid0(VALU_DEP_1) | instskip(SKIP_1) | instid1(VALU_DEP_3)
	v_mul_f32_e32 v3, 0x3fb8aa3b, v1
	v_cmp_ngt_f32_e32 vcc_lo, 0xc2ce8ed0, v1
	v_fma_f32 v7, 0x3fb8aa3b, v2, -v4
	s_delay_alu instid0(VALU_DEP_3) | instskip(SKIP_2) | instid1(VALU_DEP_4)
	v_fma_f32 v5, 0x3fb8aa3b, v1, -v3
	v_rndne_f32_e32 v6, v3
	v_rndne_f32_e32 v8, v4
	v_fmac_f32_e32 v7, 0x32a5705f, v2
	s_delay_alu instid0(VALU_DEP_2) | instskip(NEXT) | instid1(VALU_DEP_1)
	v_dual_fmac_f32 v5, 0x32a5705f, v1 :: v_dual_sub_f32 v4, v4, v8
	v_dual_sub_f32 v3, v3, v6 :: v_dual_add_f32 v4, v4, v7
	s_delay_alu instid0(VALU_DEP_1) | instskip(SKIP_2) | instid1(VALU_DEP_4)
	v_add_f32_e32 v3, v3, v5
	v_cvt_i32_f32_e32 v5, v6
	v_cvt_i32_f32_e32 v6, v8
	v_exp_f32_e32 v4, v4
	s_delay_alu instid0(VALU_DEP_3) | instskip(SKIP_3) | instid1(VALU_DEP_1)
	v_exp_f32_e32 v3, v3
	s_waitcnt_depctr 0xfff
	v_ldexp_f32 v4, v4, v6
	v_ldexp_f32 v3, v3, v5
	v_cndmask_b32_e32 v3, 0, v3, vcc_lo
	v_cmp_ngt_f32_e32 vcc_lo, 0xc2ce8ed0, v2
	s_delay_alu instid0(VALU_DEP_4) | instskip(SKIP_1) | instid1(VALU_DEP_4)
	v_cndmask_b32_e32 v4, 0, v4, vcc_lo
	v_cmp_nlt_f32_e32 vcc_lo, 0x42b17218, v1
	v_cndmask_b32_e32 v1, 0x7f800000, v3, vcc_lo
	v_cmp_nlt_f32_e32 vcc_lo, 0x42b17218, v2
	s_delay_alu instid0(VALU_DEP_4) | instskip(NEXT) | instid1(VALU_DEP_1)
	v_cndmask_b32_e32 v2, 0x7f800000, v4, vcc_lo
	v_add_f32_e32 v1, v1, v2
	s_delay_alu instid0(VALU_DEP_1) | instskip(NEXT) | instid1(VALU_DEP_1)
	v_add_f32_e32 v2, v13, v1
	v_cmp_neq_f32_e32 vcc_lo, 0, v2
	s_and_b32 exec_lo, exec_lo, vcc_lo
	s_cbranch_execz .LBB227_12
; %bb.9:
	s_and_not1_b32 vcc_lo, exec_lo, s3
	s_cbranch_vccnz .LBB227_12
; %bb.10:
	v_div_scale_f32 v1, null, v2, v2, 1.0
	v_div_scale_f32 v5, vcc_lo, 1.0, v2, 1.0
	s_delay_alu instid0(VALU_DEP_2) | instskip(SKIP_2) | instid1(VALU_DEP_1)
	v_rcp_f32_e32 v3, v1
	s_waitcnt_depctr 0xfff
	v_fma_f32 v4, -v1, v3, 1.0
	v_fmac_f32_e32 v3, v4, v3
	s_delay_alu instid0(VALU_DEP_1) | instskip(NEXT) | instid1(VALU_DEP_1)
	v_mul_f32_e32 v4, v5, v3
	v_fma_f32 v6, -v1, v4, v5
	s_delay_alu instid0(VALU_DEP_1) | instskip(NEXT) | instid1(VALU_DEP_1)
	v_fmac_f32_e32 v4, v6, v3
	v_fma_f32 v5, -v1, v4, v5
	v_ashrrev_i32_e32 v1, 31, v0
	s_delay_alu instid0(VALU_DEP_2) | instskip(NEXT) | instid1(VALU_DEP_2)
	v_div_fmas_f32 v3, v5, v3, v4
	v_lshlrev_b64 v[0:1], 2, v[0:1]
	s_delay_alu instid0(VALU_DEP_2) | instskip(NEXT) | instid1(VALU_DEP_2)
	v_div_fixup_f32 v2, v3, v2, 1.0
	v_add_co_u32 v0, vcc_lo, s10, v0
	s_delay_alu instid0(VALU_DEP_3)
	v_add_co_ci_u32_e32 v1, vcc_lo, s11, v1, vcc_lo
.LBB227_11:                             ; =>This Inner Loop Header: Depth=1
	global_load_b32 v3, v[0:1], off
	s_add_i32 s12, s12, -1
	s_delay_alu instid0(SALU_CYCLE_1)
	s_cmp_lg_u32 s12, 0
	s_waitcnt vmcnt(0)
	v_mul_f32_e32 v3, v2, v3
	global_store_b32 v[0:1], v3, off
	v_add_co_u32 v0, vcc_lo, v0, 4
	v_add_co_ci_u32_e32 v1, vcc_lo, 0, v1, vcc_lo
	s_cbranch_scc1 .LBB227_11
.LBB227_12:
	s_nop 0
	s_sendmsg sendmsg(MSG_DEALLOC_VGPRS)
	s_endpgm
	.section	.rodata,"a",@progbits
	.p2align	6, 0x0
	.amdhsa_kernel _ZN4vllm3moe17topkGatingSoftmaxItLi2ELi2ELi8ELi4ELb0ELi8ELNS0_23SharedExpertScoringFuncE1EEEvPKT_PKbPfiPiS9_iiiiii
		.amdhsa_group_segment_fixed_size 0
		.amdhsa_private_segment_fixed_size 0
		.amdhsa_kernarg_size 72
		.amdhsa_user_sgpr_count 15
		.amdhsa_user_sgpr_dispatch_ptr 0
		.amdhsa_user_sgpr_queue_ptr 0
		.amdhsa_user_sgpr_kernarg_segment_ptr 1
		.amdhsa_user_sgpr_dispatch_id 0
		.amdhsa_user_sgpr_private_segment_size 0
		.amdhsa_wavefront_size32 1
		.amdhsa_uses_dynamic_stack 0
		.amdhsa_enable_private_segment 0
		.amdhsa_system_sgpr_workgroup_id_x 1
		.amdhsa_system_sgpr_workgroup_id_y 0
		.amdhsa_system_sgpr_workgroup_id_z 0
		.amdhsa_system_sgpr_workgroup_info 0
		.amdhsa_system_vgpr_workitem_id 1
		.amdhsa_next_free_vgpr 57
		.amdhsa_next_free_sgpr 21
		.amdhsa_reserve_vcc 1
		.amdhsa_float_round_mode_32 0
		.amdhsa_float_round_mode_16_64 0
		.amdhsa_float_denorm_mode_32 3
		.amdhsa_float_denorm_mode_16_64 3
		.amdhsa_dx10_clamp 1
		.amdhsa_ieee_mode 1
		.amdhsa_fp16_overflow 0
		.amdhsa_workgroup_processor_mode 1
		.amdhsa_memory_ordered 1
		.amdhsa_forward_progress 0
		.amdhsa_shared_vgpr_count 0
		.amdhsa_exception_fp_ieee_invalid_op 0
		.amdhsa_exception_fp_denorm_src 0
		.amdhsa_exception_fp_ieee_div_zero 0
		.amdhsa_exception_fp_ieee_overflow 0
		.amdhsa_exception_fp_ieee_underflow 0
		.amdhsa_exception_fp_ieee_inexact 0
		.amdhsa_exception_int_div_zero 0
	.end_amdhsa_kernel
	.section	.text._ZN4vllm3moe17topkGatingSoftmaxItLi2ELi2ELi8ELi4ELb0ELi8ELNS0_23SharedExpertScoringFuncE1EEEvPKT_PKbPfiPiS9_iiiiii,"axG",@progbits,_ZN4vllm3moe17topkGatingSoftmaxItLi2ELi2ELi8ELi4ELb0ELi8ELNS0_23SharedExpertScoringFuncE1EEEvPKT_PKbPfiPiS9_iiiiii,comdat
.Lfunc_end227:
	.size	_ZN4vllm3moe17topkGatingSoftmaxItLi2ELi2ELi8ELi4ELb0ELi8ELNS0_23SharedExpertScoringFuncE1EEEvPKT_PKbPfiPiS9_iiiiii, .Lfunc_end227-_ZN4vllm3moe17topkGatingSoftmaxItLi2ELi2ELi8ELi4ELb0ELi8ELNS0_23SharedExpertScoringFuncE1EEEvPKT_PKbPfiPiS9_iiiiii
                                        ; -- End function
	.section	.AMDGPU.csdata,"",@progbits
; Kernel info:
; codeLenInByte = 3000
; NumSgprs: 23
; NumVgprs: 57
; ScratchSize: 0
; MemoryBound: 0
; FloatMode: 240
; IeeeMode: 1
; LDSByteSize: 0 bytes/workgroup (compile time only)
; SGPRBlocks: 2
; VGPRBlocks: 7
; NumSGPRsForWavesPerEU: 23
; NumVGPRsForWavesPerEU: 57
; Occupancy: 16
; WaveLimiterHint : 0
; COMPUTE_PGM_RSRC2:SCRATCH_EN: 0
; COMPUTE_PGM_RSRC2:USER_SGPR: 15
; COMPUTE_PGM_RSRC2:TRAP_HANDLER: 0
; COMPUTE_PGM_RSRC2:TGID_X_EN: 1
; COMPUTE_PGM_RSRC2:TGID_Y_EN: 0
; COMPUTE_PGM_RSRC2:TGID_Z_EN: 0
; COMPUTE_PGM_RSRC2:TIDIG_COMP_CNT: 1
	.section	.text._ZN4vllm3moe17topkGatingSoftmaxItLi4ELi4ELi8ELi8ELb1ELi0ELNS0_23SharedExpertScoringFuncE0EEEvPKT_PKbPfiPiS9_iiiiii,"axG",@progbits,_ZN4vllm3moe17topkGatingSoftmaxItLi4ELi4ELi8ELi8ELb1ELi0ELNS0_23SharedExpertScoringFuncE0EEEvPKT_PKbPfiPiS9_iiiiii,comdat
	.protected	_ZN4vllm3moe17topkGatingSoftmaxItLi4ELi4ELi8ELi8ELb1ELi0ELNS0_23SharedExpertScoringFuncE0EEEvPKT_PKbPfiPiS9_iiiiii ; -- Begin function _ZN4vllm3moe17topkGatingSoftmaxItLi4ELi4ELi8ELi8ELb1ELi0ELNS0_23SharedExpertScoringFuncE0EEEvPKT_PKbPfiPiS9_iiiiii
	.globl	_ZN4vllm3moe17topkGatingSoftmaxItLi4ELi4ELi8ELi8ELb1ELi0ELNS0_23SharedExpertScoringFuncE0EEEvPKT_PKbPfiPiS9_iiiiii
	.p2align	8
	.type	_ZN4vllm3moe17topkGatingSoftmaxItLi4ELi4ELi8ELi8ELb1ELi0ELNS0_23SharedExpertScoringFuncE0EEEvPKT_PKbPfiPiS9_iiiiii,@function
_ZN4vllm3moe17topkGatingSoftmaxItLi4ELi4ELi8ELi8ELb1ELi0ELNS0_23SharedExpertScoringFuncE0EEEvPKT_PKbPfiPiS9_iiiiii: ; @_ZN4vllm3moe17topkGatingSoftmaxItLi4ELi4ELi8ELi8ELb1ELi0ELNS0_23SharedExpertScoringFuncE0EEEvPKT_PKbPfiPiS9_iiiiii
; %bb.0:
	s_load_b32 s16, s[0:1], 0x18
	v_bfe_u32 v1, v0, 10, 10
	v_and_b32_e32 v10, 0x3ff, v0
	s_lshl_b32 s17, s15, 8
	s_mov_b32 s2, exec_lo
	s_delay_alu instid0(VALU_DEP_2) | instskip(NEXT) | instid1(VALU_DEP_1)
	v_lshlrev_b32_e32 v9, 5, v1
	v_add3_u32 v6, v9, v10, s17
	s_waitcnt lgkmcnt(0)
	s_delay_alu instid0(VALU_DEP_1)
	v_cmpx_gt_i32_e64 s16, v6
	s_cbranch_execz .LBB228_13
; %bb.1:
	s_clause 0x1
	s_load_b128 s[12:15], s[0:1], 0x0
	s_load_b64 s[2:3], s[0:1], 0x10
	s_waitcnt lgkmcnt(0)
	s_cmp_eq_u64 s[14:15], 0
	s_cbranch_scc1 .LBB228_3
; %bb.2:
	v_ashrrev_i32_e32 v1, 31, v6
	v_add_co_u32 v0, vcc_lo, s14, v6
	s_delay_alu instid0(VALU_DEP_2) | instskip(SKIP_3) | instid1(VALU_DEP_1)
	v_add_co_ci_u32_e32 v1, vcc_lo, s15, v1, vcc_lo
	global_load_u8 v0, v[0:1], off
	s_waitcnt vmcnt(0)
	v_and_b32_e32 v0, 1, v0
	v_cmp_eq_u32_e32 vcc_lo, 1, v0
	s_xor_b32 s4, vcc_lo, -1
	s_delay_alu instid0(SALU_CYCLE_1)
	s_or_not1_b32 s15, s4, exec_lo
	s_branch .LBB228_4
.LBB228_3:
	s_mov_b32 s15, -1
.LBB228_4:
	s_load_b128 s[4:7], s[0:1], 0x30
	s_waitcnt lgkmcnt(0)
	s_cmp_gt_i32 s4, 0
	s_cselect_b32 s14, -1, 0
	s_cmp_lt_i32 s4, 1
	s_cbranch_scc1 .LBB228_9
; %bb.5:
	s_clause 0x1
	s_load_b64 s[18:19], s[0:1], 0x40
	s_load_b128 s[8:11], s[0:1], 0x20
	s_waitcnt lgkmcnt(0)
	v_mul_lo_u32 v0, v6, s19
	v_mul_lo_u32 v16, v6, s18
	s_delay_alu instid0(VALU_DEP_2) | instskip(NEXT) | instid1(VALU_DEP_1)
	v_ashrrev_i32_e32 v1, 31, v0
	v_lshlrev_b64 v[0:1], 1, v[0:1]
	s_delay_alu instid0(VALU_DEP_1) | instskip(NEXT) | instid1(VALU_DEP_2)
	v_add_co_u32 v0, vcc_lo, s12, v0
	v_add_co_ci_u32_e32 v1, vcc_lo, s13, v1, vcc_lo
	global_load_b64 v[0:1], v[0:1], off
	s_waitcnt vmcnt(0)
	v_lshrrev_b32_e32 v2, 16, v0
	v_and_b32_e32 v0, 0xffff, v0
	s_delay_alu instid0(VALU_DEP_2) | instskip(NEXT) | instid1(VALU_DEP_2)
	v_cvt_f32_u32_e32 v13, v2
	v_cvt_f32_u32_e32 v14, v0
	s_delay_alu instid0(VALU_DEP_1) | instskip(SKIP_3) | instid1(VALU_DEP_2)
	v_cmp_lt_f32_e32 vcc_lo, v14, v13
	v_cndmask_b32_e32 v2, v14, v13, vcc_lo
	v_and_b32_e32 v0, 0xffff, v1
	v_lshrrev_b32_e32 v1, 16, v1
	v_cvt_f32_u32_e32 v12, v0
	v_cndmask_b32_e64 v0, 0, 1, vcc_lo
	s_delay_alu instid0(VALU_DEP_3) | instskip(NEXT) | instid1(VALU_DEP_3)
	v_cvt_f32_u32_e32 v11, v1
	v_cmp_lt_f32_e32 vcc_lo, v2, v12
	v_cndmask_b32_e32 v1, v2, v12, vcc_lo
	s_delay_alu instid0(VALU_DEP_4) | instskip(SKIP_1) | instid1(VALU_DEP_3)
	v_cndmask_b32_e64 v0, v0, 2, vcc_lo
	v_mul_lo_u32 v2, v6, s4
	v_cmp_lt_f32_e32 vcc_lo, v1, v11
	v_cndmask_b32_e32 v7, v1, v11, vcc_lo
	s_delay_alu instid0(VALU_DEP_4) | instskip(SKIP_1) | instid1(VALU_DEP_3)
	v_cndmask_b32_e64 v15, v0, 3, vcc_lo
	v_mul_lo_u32 v0, v6, s7
	v_sub_f32_e32 v8, v7, v7
	s_delay_alu instid0(VALU_DEP_3) | instskip(SKIP_1) | instid1(VALU_DEP_3)
	v_cmp_le_i32_e32 vcc_lo, s5, v15
	v_cmp_gt_i32_e64 s0, s6, v15
	v_mul_f32_e32 v1, 0x3fb8aa3b, v8
	s_delay_alu instid0(VALU_DEP_2) | instskip(SKIP_1) | instid1(VALU_DEP_2)
	s_and_b32 s0, vcc_lo, s0
	v_cmp_ngt_f32_e32 vcc_lo, 0xc2ce8ed0, v8
	v_fma_f32 v3, 0x3fb8aa3b, v8, -v1
	v_rndne_f32_e32 v18, v1
	s_delay_alu instid0(VALU_DEP_1) | instskip(SKIP_1) | instid1(VALU_DEP_2)
	v_dual_fmac_f32 v3, 0x32a5705f, v8 :: v_dual_sub_f32 v4, v1, v18
	v_ashrrev_i32_e32 v1, 31, v0
	v_add_f32_e32 v17, v4, v3
	v_ashrrev_i32_e32 v3, 31, v2
	s_delay_alu instid0(VALU_DEP_3) | instskip(NEXT) | instid1(VALU_DEP_3)
	v_lshlrev_b64 v[4:5], 2, v[0:1]
	v_exp_f32_e32 v19, v17
	s_delay_alu instid0(VALU_DEP_2) | instskip(SKIP_2) | instid1(VALU_DEP_4)
	v_lshlrev_b64 v[0:1], 2, v[2:3]
	v_ashrrev_i32_e32 v17, 31, v16
	v_cvt_i32_f32_e32 v2, v18
	v_add_co_u32 v4, s1, s2, v4
	s_delay_alu instid0(VALU_DEP_1) | instskip(SKIP_4) | instid1(VALU_DEP_3)
	v_add_co_ci_u32_e64 v5, s1, s3, v5, s1
	s_waitcnt_depctr 0xfff
	v_ldexp_f32 v18, v19, v2
	v_lshlrev_b64 v[2:3], 2, v[16:17]
	v_subrev_nc_u32_e32 v19, s5, v15
	v_cndmask_b32_e32 v18, 0, v18, vcc_lo
	s_delay_alu instid0(VALU_DEP_3) | instskip(NEXT) | instid1(VALU_DEP_4)
	v_add_co_u32 v16, vcc_lo, s8, v2
	v_add_co_ci_u32_e32 v17, vcc_lo, s9, v3, vcc_lo
	s_and_b32 vcc_lo, s15, s0
	s_cmp_eq_u32 s4, 1
	v_cndmask_b32_e32 v20, 4, v19, vcc_lo
	v_cmp_nlt_f32_e32 vcc_lo, 0x42b17218, v8
	v_cndmask_b32_e32 v8, 0x7f800000, v18, vcc_lo
	v_add_co_u32 v18, vcc_lo, s10, v0
	v_add_co_ci_u32_e32 v19, vcc_lo, s11, v1, vcc_lo
	global_store_b32 v[16:17], v20, off
	global_store_b32 v[4:5], v8, off
	;; [unrolled: 1-line block ×3, first 2 shown]
	s_cbranch_scc1 .LBB228_8
; %bb.6:
	v_cmp_ne_u32_e32 vcc_lo, 3, v15
	s_add_i32 s17, s17, s16
	s_delay_alu instid0(SALU_CYCLE_1)
	v_add3_u32 v9, s17, v10, v9
	v_cndmask_b32_e32 v11, 0xff800000, v11, vcc_lo
	v_cmp_ne_u32_e32 vcc_lo, 2, v15
	v_cndmask_b32_e32 v12, 0xff800000, v12, vcc_lo
	v_cmp_ne_u32_e32 vcc_lo, 1, v15
	;; [unrolled: 2-line block ×3, first 2 shown]
	v_cndmask_b32_e32 v14, 0xff800000, v14, vcc_lo
	v_add_co_u32 v0, vcc_lo, v0, s10
	v_add_co_ci_u32_e32 v1, vcc_lo, s11, v1, vcc_lo
	v_add_co_u32 v2, vcc_lo, v2, s8
	v_add_co_ci_u32_e32 v3, vcc_lo, s9, v3, vcc_lo
	s_delay_alu instid0(VALU_DEP_4) | instskip(NEXT) | instid1(VALU_DEP_4)
	v_add_co_u32 v0, vcc_lo, v0, 4
	v_add_co_ci_u32_e32 v1, vcc_lo, 0, v1, vcc_lo
	s_delay_alu instid0(VALU_DEP_4) | instskip(NEXT) | instid1(VALU_DEP_4)
	v_add_co_u32 v2, vcc_lo, v2, 4
	v_add_co_ci_u32_e32 v3, vcc_lo, 0, v3, vcc_lo
	v_add_co_u32 v4, vcc_lo, v4, 4
	v_add_co_ci_u32_e32 v5, vcc_lo, 0, v5, vcc_lo
	s_add_i32 s8, s4, -1
.LBB228_7:                              ; =>This Inner Loop Header: Depth=1
	v_cmp_gt_f32_e32 vcc_lo, v13, v14
	s_add_i32 s8, s8, -1
	v_cndmask_b32_e32 v10, v14, v13, vcc_lo
	v_cndmask_b32_e64 v15, 0, 1, vcc_lo
	s_delay_alu instid0(VALU_DEP_2) | instskip(SKIP_1) | instid1(VALU_DEP_3)
	v_cmp_gt_f32_e32 vcc_lo, v12, v10
	v_cndmask_b32_e32 v10, v10, v12, vcc_lo
	v_cndmask_b32_e64 v15, v15, 2, vcc_lo
	s_delay_alu instid0(VALU_DEP_2) | instskip(NEXT) | instid1(VALU_DEP_2)
	v_cmp_gt_f32_e32 vcc_lo, v11, v10
	v_cndmask_b32_e64 v15, v15, 3, vcc_lo
	v_cndmask_b32_e32 v10, v10, v11, vcc_lo
	s_delay_alu instid0(VALU_DEP_2) | instskip(SKIP_3) | instid1(VALU_DEP_3)
	v_cmp_le_i32_e32 vcc_lo, s5, v15
	v_cmp_gt_i32_e64 s0, s6, v15
	v_subrev_nc_u32_e32 v17, s5, v15
	v_cmp_ne_u32_e64 s1, 3, v15
	s_and_b32 s0, vcc_lo, s0
	s_delay_alu instid0(SALU_CYCLE_1) | instskip(NEXT) | instid1(VALU_DEP_1)
	s_and_b32 vcc_lo, s15, s0
	v_cndmask_b32_e64 v11, 0xff800000, v11, s1
	v_cndmask_b32_e32 v17, 4, v17, vcc_lo
	v_cmp_ne_u32_e64 s1, 2, v15
	s_cmp_eq_u32 s8, 0
	global_store_b32 v[2:3], v17, off
	global_store_b32 v[0:1], v9, off
	v_add_nc_u32_e32 v9, s16, v9
	v_add_co_u32 v0, vcc_lo, v0, 4
	v_sub_f32_e32 v10, v10, v7
	v_add_co_ci_u32_e32 v1, vcc_lo, 0, v1, vcc_lo
	v_add_co_u32 v2, vcc_lo, v2, 4
	v_add_co_ci_u32_e32 v3, vcc_lo, 0, v3, vcc_lo
	v_cndmask_b32_e64 v12, 0xff800000, v12, s1
	v_cmp_ne_u32_e64 s1, 1, v15
	v_cmp_ngt_f32_e32 vcc_lo, 0xc2ce8ed0, v10
	v_mul_f32_e32 v16, 0x3fb8aa3b, v10
	s_delay_alu instid0(VALU_DEP_3) | instskip(SKIP_1) | instid1(VALU_DEP_3)
	v_cndmask_b32_e64 v13, 0xff800000, v13, s1
	v_cmp_ne_u32_e64 s1, 0, v15
	v_fma_f32 v15, 0x3fb8aa3b, v10, -v16
	v_rndne_f32_e32 v18, v16
	s_delay_alu instid0(VALU_DEP_3) | instskip(NEXT) | instid1(VALU_DEP_3)
	v_cndmask_b32_e64 v14, 0xff800000, v14, s1
	v_fmac_f32_e32 v15, 0x32a5705f, v10
	s_delay_alu instid0(VALU_DEP_3) | instskip(SKIP_1) | instid1(VALU_DEP_2)
	v_sub_f32_e32 v16, v16, v18
	v_cvt_i32_f32_e32 v18, v18
	v_add_f32_e32 v15, v16, v15
	s_delay_alu instid0(VALU_DEP_1) | instskip(SKIP_2) | instid1(VALU_DEP_1)
	v_exp_f32_e32 v15, v15
	s_waitcnt_depctr 0xfff
	v_ldexp_f32 v15, v15, v18
	v_cndmask_b32_e32 v15, 0, v15, vcc_lo
	v_cmp_nlt_f32_e32 vcc_lo, 0x42b17218, v10
	s_delay_alu instid0(VALU_DEP_2)
	v_cndmask_b32_e32 v10, 0x7f800000, v15, vcc_lo
	global_store_b32 v[4:5], v10, off
	v_add_co_u32 v4, vcc_lo, v4, 4
	v_add_f32_e32 v8, v8, v10
	v_add_co_ci_u32_e32 v5, vcc_lo, 0, v5, vcc_lo
	s_cbranch_scc0 .LBB228_7
.LBB228_8:
	s_delay_alu instid0(VALU_DEP_2)
	v_cmp_neq_f32_e32 vcc_lo, 0, v8
	s_and_b32 exec_lo, exec_lo, vcc_lo
	s_cbranch_execnz .LBB228_10
	s_branch .LBB228_13
.LBB228_9:
	v_mov_b32_e32 v8, 0
	s_delay_alu instid0(VALU_DEP_1)
	v_cmp_neq_f32_e32 vcc_lo, 0, v8
	s_and_b32 exec_lo, exec_lo, vcc_lo
	s_cbranch_execz .LBB228_13
.LBB228_10:
	s_and_not1_b32 vcc_lo, exec_lo, s14
	s_cbranch_vccnz .LBB228_13
; %bb.11:
	v_div_scale_f32 v1, null, v8, v8, 1.0
	v_div_scale_f32 v3, vcc_lo, 1.0, v8, 1.0
	s_delay_alu instid0(VALU_DEP_2) | instskip(SKIP_2) | instid1(VALU_DEP_1)
	v_rcp_f32_e32 v2, v1
	s_waitcnt_depctr 0xfff
	v_fma_f32 v0, -v1, v2, 1.0
	v_fmac_f32_e32 v2, v0, v2
	v_mul_lo_u32 v0, v6, s7
	s_delay_alu instid0(VALU_DEP_2) | instskip(NEXT) | instid1(VALU_DEP_1)
	v_mul_f32_e32 v4, v3, v2
	v_fma_f32 v5, -v1, v4, v3
	s_delay_alu instid0(VALU_DEP_1) | instskip(NEXT) | instid1(VALU_DEP_1)
	v_fmac_f32_e32 v4, v5, v2
	v_fma_f32 v3, -v1, v4, v3
	v_ashrrev_i32_e32 v1, 31, v0
	s_delay_alu instid0(VALU_DEP_2) | instskip(NEXT) | instid1(VALU_DEP_2)
	v_div_fmas_f32 v2, v3, v2, v4
	v_lshlrev_b64 v[0:1], 2, v[0:1]
	s_delay_alu instid0(VALU_DEP_2) | instskip(NEXT) | instid1(VALU_DEP_2)
	v_div_fixup_f32 v2, v2, v8, 1.0
	v_add_co_u32 v0, vcc_lo, s2, v0
	s_delay_alu instid0(VALU_DEP_3)
	v_add_co_ci_u32_e32 v1, vcc_lo, s3, v1, vcc_lo
.LBB228_12:                             ; =>This Inner Loop Header: Depth=1
	global_load_b32 v3, v[0:1], off
	s_add_i32 s4, s4, -1
	s_delay_alu instid0(SALU_CYCLE_1)
	s_cmp_lg_u32 s4, 0
	s_waitcnt vmcnt(0)
	v_mul_f32_e32 v3, v2, v3
	global_store_b32 v[0:1], v3, off
	v_add_co_u32 v0, vcc_lo, v0, 4
	v_add_co_ci_u32_e32 v1, vcc_lo, 0, v1, vcc_lo
	s_cbranch_scc1 .LBB228_12
.LBB228_13:
	s_nop 0
	s_sendmsg sendmsg(MSG_DEALLOC_VGPRS)
	s_endpgm
	.section	.rodata,"a",@progbits
	.p2align	6, 0x0
	.amdhsa_kernel _ZN4vllm3moe17topkGatingSoftmaxItLi4ELi4ELi8ELi8ELb1ELi0ELNS0_23SharedExpertScoringFuncE0EEEvPKT_PKbPfiPiS9_iiiiii
		.amdhsa_group_segment_fixed_size 0
		.amdhsa_private_segment_fixed_size 0
		.amdhsa_kernarg_size 72
		.amdhsa_user_sgpr_count 15
		.amdhsa_user_sgpr_dispatch_ptr 0
		.amdhsa_user_sgpr_queue_ptr 0
		.amdhsa_user_sgpr_kernarg_segment_ptr 1
		.amdhsa_user_sgpr_dispatch_id 0
		.amdhsa_user_sgpr_private_segment_size 0
		.amdhsa_wavefront_size32 1
		.amdhsa_uses_dynamic_stack 0
		.amdhsa_enable_private_segment 0
		.amdhsa_system_sgpr_workgroup_id_x 1
		.amdhsa_system_sgpr_workgroup_id_y 0
		.amdhsa_system_sgpr_workgroup_id_z 0
		.amdhsa_system_sgpr_workgroup_info 0
		.amdhsa_system_vgpr_workitem_id 1
		.amdhsa_next_free_vgpr 21
		.amdhsa_next_free_sgpr 20
		.amdhsa_reserve_vcc 1
		.amdhsa_float_round_mode_32 0
		.amdhsa_float_round_mode_16_64 0
		.amdhsa_float_denorm_mode_32 3
		.amdhsa_float_denorm_mode_16_64 3
		.amdhsa_dx10_clamp 1
		.amdhsa_ieee_mode 1
		.amdhsa_fp16_overflow 0
		.amdhsa_workgroup_processor_mode 1
		.amdhsa_memory_ordered 1
		.amdhsa_forward_progress 0
		.amdhsa_shared_vgpr_count 0
		.amdhsa_exception_fp_ieee_invalid_op 0
		.amdhsa_exception_fp_denorm_src 0
		.amdhsa_exception_fp_ieee_div_zero 0
		.amdhsa_exception_fp_ieee_overflow 0
		.amdhsa_exception_fp_ieee_underflow 0
		.amdhsa_exception_fp_ieee_inexact 0
		.amdhsa_exception_int_div_zero 0
	.end_amdhsa_kernel
	.section	.text._ZN4vllm3moe17topkGatingSoftmaxItLi4ELi4ELi8ELi8ELb1ELi0ELNS0_23SharedExpertScoringFuncE0EEEvPKT_PKbPfiPiS9_iiiiii,"axG",@progbits,_ZN4vllm3moe17topkGatingSoftmaxItLi4ELi4ELi8ELi8ELb1ELi0ELNS0_23SharedExpertScoringFuncE0EEEvPKT_PKbPfiPiS9_iiiiii,comdat
.Lfunc_end228:
	.size	_ZN4vllm3moe17topkGatingSoftmaxItLi4ELi4ELi8ELi8ELb1ELi0ELNS0_23SharedExpertScoringFuncE0EEEvPKT_PKbPfiPiS9_iiiiii, .Lfunc_end228-_ZN4vllm3moe17topkGatingSoftmaxItLi4ELi4ELi8ELi8ELb1ELi0ELNS0_23SharedExpertScoringFuncE0EEEvPKT_PKbPfiPiS9_iiiiii
                                        ; -- End function
	.section	.AMDGPU.csdata,"",@progbits
; Kernel info:
; codeLenInByte = 1396
; NumSgprs: 22
; NumVgprs: 21
; ScratchSize: 0
; MemoryBound: 0
; FloatMode: 240
; IeeeMode: 1
; LDSByteSize: 0 bytes/workgroup (compile time only)
; SGPRBlocks: 2
; VGPRBlocks: 2
; NumSGPRsForWavesPerEU: 22
; NumVGPRsForWavesPerEU: 21
; Occupancy: 16
; WaveLimiterHint : 0
; COMPUTE_PGM_RSRC2:SCRATCH_EN: 0
; COMPUTE_PGM_RSRC2:USER_SGPR: 15
; COMPUTE_PGM_RSRC2:TRAP_HANDLER: 0
; COMPUTE_PGM_RSRC2:TGID_X_EN: 1
; COMPUTE_PGM_RSRC2:TGID_Y_EN: 0
; COMPUTE_PGM_RSRC2:TGID_Z_EN: 0
; COMPUTE_PGM_RSRC2:TIDIG_COMP_CNT: 1
	.section	.text._ZN4vllm3moe17topkGatingSoftmaxItLi4ELi4ELi8ELi8ELb0ELi0ELNS0_23SharedExpertScoringFuncE0EEEvPKT_PKbPfiPiS9_iiiiii,"axG",@progbits,_ZN4vllm3moe17topkGatingSoftmaxItLi4ELi4ELi8ELi8ELb0ELi0ELNS0_23SharedExpertScoringFuncE0EEEvPKT_PKbPfiPiS9_iiiiii,comdat
	.protected	_ZN4vllm3moe17topkGatingSoftmaxItLi4ELi4ELi8ELi8ELb0ELi0ELNS0_23SharedExpertScoringFuncE0EEEvPKT_PKbPfiPiS9_iiiiii ; -- Begin function _ZN4vllm3moe17topkGatingSoftmaxItLi4ELi4ELi8ELi8ELb0ELi0ELNS0_23SharedExpertScoringFuncE0EEEvPKT_PKbPfiPiS9_iiiiii
	.globl	_ZN4vllm3moe17topkGatingSoftmaxItLi4ELi4ELi8ELi8ELb0ELi0ELNS0_23SharedExpertScoringFuncE0EEEvPKT_PKbPfiPiS9_iiiiii
	.p2align	8
	.type	_ZN4vllm3moe17topkGatingSoftmaxItLi4ELi4ELi8ELi8ELb0ELi0ELNS0_23SharedExpertScoringFuncE0EEEvPKT_PKbPfiPiS9_iiiiii,@function
_ZN4vllm3moe17topkGatingSoftmaxItLi4ELi4ELi8ELi8ELb0ELi0ELNS0_23SharedExpertScoringFuncE0EEEvPKT_PKbPfiPiS9_iiiiii: ; @_ZN4vllm3moe17topkGatingSoftmaxItLi4ELi4ELi8ELi8ELb0ELi0ELNS0_23SharedExpertScoringFuncE0EEEvPKT_PKbPfiPiS9_iiiiii
; %bb.0:
	s_load_b32 s16, s[0:1], 0x18
	v_bfe_u32 v1, v0, 10, 10
	v_and_b32_e32 v14, 0x3ff, v0
	s_lshl_b32 s17, s15, 8
	s_mov_b32 s2, exec_lo
	s_delay_alu instid0(VALU_DEP_2) | instskip(NEXT) | instid1(VALU_DEP_1)
	v_lshlrev_b32_e32 v13, 5, v1
	v_add3_u32 v6, v13, v14, s17
	s_waitcnt lgkmcnt(0)
	s_delay_alu instid0(VALU_DEP_1)
	v_cmpx_gt_i32_e64 s16, v6
	s_cbranch_execz .LBB229_13
; %bb.1:
	s_clause 0x1
	s_load_b128 s[4:7], s[0:1], 0x0
	s_load_b64 s[12:13], s[0:1], 0x10
	s_waitcnt lgkmcnt(0)
	s_cmp_eq_u64 s[6:7], 0
	s_cbranch_scc1 .LBB229_3
; %bb.2:
	v_ashrrev_i32_e32 v1, 31, v6
	v_add_co_u32 v0, vcc_lo, s6, v6
	s_delay_alu instid0(VALU_DEP_2) | instskip(SKIP_3) | instid1(VALU_DEP_1)
	v_add_co_ci_u32_e32 v1, vcc_lo, s7, v1, vcc_lo
	global_load_u8 v0, v[0:1], off
	s_waitcnt vmcnt(0)
	v_and_b32_e32 v0, 1, v0
	v_cmp_eq_u32_e32 vcc_lo, 1, v0
	s_xor_b32 s2, vcc_lo, -1
	s_delay_alu instid0(SALU_CYCLE_1)
	s_or_not1_b32 s15, s2, exec_lo
	s_branch .LBB229_4
.LBB229_3:
	s_mov_b32 s15, -1
.LBB229_4:
	s_load_b64 s[8:9], s[0:1], 0x40
	s_waitcnt lgkmcnt(0)
	v_mul_lo_u32 v0, v6, s9
	s_delay_alu instid0(VALU_DEP_1) | instskip(NEXT) | instid1(VALU_DEP_1)
	v_ashrrev_i32_e32 v1, 31, v0
	v_lshlrev_b64 v[0:1], 1, v[0:1]
	s_delay_alu instid0(VALU_DEP_1) | instskip(NEXT) | instid1(VALU_DEP_2)
	v_add_co_u32 v0, vcc_lo, s4, v0
	v_add_co_ci_u32_e32 v1, vcc_lo, s5, v1, vcc_lo
	s_load_b128 s[4:7], s[0:1], 0x30
	global_load_b64 v[0:1], v[0:1], off
	s_waitcnt lgkmcnt(0)
	s_cmp_gt_i32 s4, 0
	s_cselect_b32 s14, -1, 0
	s_cmp_lt_i32 s4, 1
	s_waitcnt vmcnt(0)
	v_lshrrev_b32_e32 v2, 16, v0
	v_and_b32_e32 v0, 0xffff, v0
	s_delay_alu instid0(VALU_DEP_2) | instskip(NEXT) | instid1(VALU_DEP_2)
	v_cvt_f32_u32_e32 v10, v2
	v_cvt_f32_u32_e32 v12, v0
	v_lshrrev_b32_e32 v0, 16, v1
	s_delay_alu instid0(VALU_DEP_2) | instskip(NEXT) | instid1(VALU_DEP_2)
	v_cmp_lt_f32_e64 s3, v12, v10
	v_cvt_f32_u32_e32 v7, v0
	v_and_b32_e32 v3, 0xffff, v1
	s_delay_alu instid0(VALU_DEP_3) | instskip(NEXT) | instid1(VALU_DEP_2)
	v_cndmask_b32_e64 v1, v12, v10, s3
	v_cvt_f32_u32_e32 v9, v3
	s_delay_alu instid0(VALU_DEP_1) | instskip(NEXT) | instid1(VALU_DEP_1)
	v_cmp_lt_f32_e64 s2, v1, v9
	v_cndmask_b32_e64 v0, v1, v9, s2
	s_delay_alu instid0(VALU_DEP_1)
	v_cmp_lt_f32_e32 vcc_lo, v0, v7
	v_cndmask_b32_e32 v8, v0, v7, vcc_lo
	s_cbranch_scc1 .LBB229_8
; %bb.5:
	s_delay_alu instid0(VALU_DEP_1)
	v_sub_f32_e32 v11, v8, v8
	v_cndmask_b32_e64 v3, 0, 1, s3
	v_mul_lo_u32 v2, v6, s8
	s_load_b128 s[8:11], s[0:1], 0x20
	v_mul_lo_u32 v0, v6, s7
	v_mul_f32_e32 v1, 0x3fb8aa3b, v11
	v_cndmask_b32_e64 v18, v3, 2, s2
	v_mul_lo_u32 v4, v6, s4
	v_ashrrev_i32_e32 v3, 31, v2
	s_delay_alu instid0(VALU_DEP_4) | instskip(NEXT) | instid1(VALU_DEP_4)
	v_rndne_f32_e32 v17, v1
	v_cndmask_b32_e64 v20, v18, 3, vcc_lo
	s_delay_alu instid0(VALU_DEP_4) | instskip(NEXT) | instid1(VALU_DEP_3)
	v_ashrrev_i32_e32 v5, 31, v4
	v_sub_f32_e32 v16, v1, v17
	v_fma_f32 v15, 0x3fb8aa3b, v11, -v1
	v_ashrrev_i32_e32 v1, 31, v0
	v_cmp_le_i32_e32 vcc_lo, s5, v20
	v_cmp_gt_i32_e64 s0, s6, v20
	v_cvt_i32_f32_e32 v17, v17
	v_fmac_f32_e32 v15, 0x32a5705f, v11
	s_delay_alu instid0(VALU_DEP_3) | instskip(NEXT) | instid1(VALU_DEP_1)
	s_and_b32 s0, vcc_lo, s0
	v_add_f32_e32 v19, v16, v15
	v_lshlrev_b64 v[15:16], 2, v[0:1]
	v_lshlrev_b64 v[0:1], 2, v[2:3]
	;; [unrolled: 1-line block ×3, first 2 shown]
	s_delay_alu instid0(VALU_DEP_4) | instskip(SKIP_1) | instid1(VALU_DEP_4)
	v_exp_f32_e32 v18, v19
	v_subrev_nc_u32_e32 v19, s5, v20
	v_add_co_u32 v4, s1, s12, v15
	s_waitcnt lgkmcnt(0)
	v_add_co_u32 v15, vcc_lo, s8, v0
	v_add_co_ci_u32_e64 v5, s1, s13, v16, s1
	v_add_co_ci_u32_e32 v16, vcc_lo, s9, v1, vcc_lo
	s_waitcnt_depctr 0xfff
	v_ldexp_f32 v17, v18, v17
	v_cmp_ngt_f32_e32 vcc_lo, 0xc2ce8ed0, v11
	s_delay_alu instid0(VALU_DEP_2)
	v_cndmask_b32_e32 v21, 0, v17, vcc_lo
	v_add_co_u32 v17, vcc_lo, s10, v2
	v_add_co_ci_u32_e32 v18, vcc_lo, s11, v3, vcc_lo
	s_and_b32 vcc_lo, s15, s0
	s_cmp_eq_u32 s4, 1
	v_cndmask_b32_e32 v19, 4, v19, vcc_lo
	v_cmp_nlt_f32_e32 vcc_lo, 0x42b17218, v11
	v_cndmask_b32_e32 v11, 0x7f800000, v21, vcc_lo
	v_cmp_ne_u32_e32 vcc_lo, 3, v20
	global_store_b32 v[4:5], v11, off
	v_cndmask_b32_e32 v7, 0xff800000, v7, vcc_lo
	v_cmp_ne_u32_e32 vcc_lo, 2, v20
	global_store_b32 v[15:16], v19, off
	global_store_b32 v[17:18], v6, off
	v_cndmask_b32_e32 v9, 0xff800000, v9, vcc_lo
	v_cmp_ne_u32_e32 vcc_lo, 1, v20
	v_cndmask_b32_e32 v10, 0xff800000, v10, vcc_lo
	v_cmp_ne_u32_e32 vcc_lo, 0, v20
	v_cndmask_b32_e32 v12, 0xff800000, v12, vcc_lo
	s_cbranch_scc1 .LBB229_9
; %bb.6:
	v_add_co_u32 v2, vcc_lo, v2, s10
	v_add_co_ci_u32_e32 v3, vcc_lo, s11, v3, vcc_lo
	v_add_co_u32 v15, vcc_lo, v0, s8
	v_add_co_ci_u32_e32 v16, vcc_lo, s9, v1, vcc_lo
	s_delay_alu instid0(VALU_DEP_4) | instskip(NEXT) | instid1(VALU_DEP_4)
	v_add_co_u32 v0, vcc_lo, v2, 4
	v_add_co_ci_u32_e32 v1, vcc_lo, 0, v3, vcc_lo
	s_delay_alu instid0(VALU_DEP_4) | instskip(NEXT) | instid1(VALU_DEP_4)
	v_add_co_u32 v2, vcc_lo, v15, 4
	v_add_co_ci_u32_e32 v3, vcc_lo, 0, v16, vcc_lo
	s_add_i32 s17, s17, s16
	v_add_co_u32 v4, vcc_lo, v4, 4
	v_add_co_ci_u32_e32 v5, vcc_lo, 0, v5, vcc_lo
	v_add3_u32 v13, s17, v14, v13
	s_add_i32 s2, s4, -1
.LBB229_7:                              ; =>This Inner Loop Header: Depth=1
	v_cmp_gt_f32_e32 vcc_lo, v10, v12
	s_add_i32 s2, s2, -1
	v_cndmask_b32_e32 v14, v12, v10, vcc_lo
	v_cndmask_b32_e64 v15, 0, 1, vcc_lo
	s_delay_alu instid0(VALU_DEP_2) | instskip(SKIP_1) | instid1(VALU_DEP_3)
	v_cmp_gt_f32_e32 vcc_lo, v9, v14
	v_cndmask_b32_e32 v14, v14, v9, vcc_lo
	v_cndmask_b32_e64 v15, v15, 2, vcc_lo
	s_delay_alu instid0(VALU_DEP_2) | instskip(NEXT) | instid1(VALU_DEP_2)
	v_cmp_gt_f32_e32 vcc_lo, v7, v14
	v_cndmask_b32_e64 v15, v15, 3, vcc_lo
	v_cndmask_b32_e32 v14, v14, v7, vcc_lo
	s_delay_alu instid0(VALU_DEP_2) | instskip(SKIP_3) | instid1(VALU_DEP_3)
	v_cmp_le_i32_e32 vcc_lo, s5, v15
	v_cmp_gt_i32_e64 s0, s6, v15
	v_subrev_nc_u32_e32 v17, s5, v15
	v_cmp_ne_u32_e64 s1, 3, v15
	s_and_b32 s0, vcc_lo, s0
	s_delay_alu instid0(SALU_CYCLE_1) | instskip(NEXT) | instid1(VALU_DEP_1)
	s_and_b32 vcc_lo, s15, s0
	v_cndmask_b32_e64 v7, 0xff800000, v7, s1
	v_cndmask_b32_e32 v17, 4, v17, vcc_lo
	v_cmp_ne_u32_e64 s1, 2, v15
	s_cmp_eq_u32 s2, 0
	global_store_b32 v[2:3], v17, off
	global_store_b32 v[0:1], v13, off
	v_dual_sub_f32 v14, v14, v8 :: v_dual_add_nc_u32 v13, s16, v13
	v_cndmask_b32_e64 v9, 0xff800000, v9, s1
	v_cmp_ne_u32_e64 s1, 1, v15
	v_add_co_u32 v0, vcc_lo, v0, 4
	s_delay_alu instid0(VALU_DEP_4) | instskip(SKIP_1) | instid1(VALU_DEP_4)
	v_mul_f32_e32 v16, 0x3fb8aa3b, v14
	v_add_co_ci_u32_e32 v1, vcc_lo, 0, v1, vcc_lo
	v_cndmask_b32_e64 v10, 0xff800000, v10, s1
	v_cmp_ne_u32_e64 s1, 0, v15
	s_delay_alu instid0(VALU_DEP_4) | instskip(SKIP_3) | instid1(VALU_DEP_4)
	v_fma_f32 v15, 0x3fb8aa3b, v14, -v16
	v_rndne_f32_e32 v18, v16
	v_add_co_u32 v2, vcc_lo, v2, 4
	v_add_co_ci_u32_e32 v3, vcc_lo, 0, v3, vcc_lo
	v_fmac_f32_e32 v15, 0x32a5705f, v14
	s_delay_alu instid0(VALU_DEP_4) | instskip(SKIP_3) | instid1(VALU_DEP_4)
	v_sub_f32_e32 v16, v16, v18
	v_cvt_i32_f32_e32 v18, v18
	v_cmp_ngt_f32_e32 vcc_lo, 0xc2ce8ed0, v14
	v_cndmask_b32_e64 v12, 0xff800000, v12, s1
	v_add_f32_e32 v15, v16, v15
	s_delay_alu instid0(VALU_DEP_1) | instskip(SKIP_2) | instid1(VALU_DEP_1)
	v_exp_f32_e32 v15, v15
	s_waitcnt_depctr 0xfff
	v_ldexp_f32 v15, v15, v18
	v_cndmask_b32_e32 v15, 0, v15, vcc_lo
	v_cmp_nlt_f32_e32 vcc_lo, 0x42b17218, v14
	s_delay_alu instid0(VALU_DEP_2)
	v_cndmask_b32_e32 v14, 0x7f800000, v15, vcc_lo
	global_store_b32 v[4:5], v14, off
	v_add_co_u32 v4, vcc_lo, v4, 4
	v_add_f32_e32 v11, v11, v14
	v_add_co_ci_u32_e32 v5, vcc_lo, 0, v5, vcc_lo
	s_cbranch_scc0 .LBB229_7
	s_branch .LBB229_9
.LBB229_8:
	v_mov_b32_e32 v11, 0
.LBB229_9:
	s_delay_alu instid0(VALU_DEP_2) | instskip(SKIP_1) | instid1(VALU_DEP_3)
	v_sub_f32_e32 v3, v7, v8
	v_sub_f32_e32 v1, v10, v8
	;; [unrolled: 1-line block ×4, first 2 shown]
	s_delay_alu instid0(VALU_DEP_3) | instskip(NEXT) | instid1(VALU_DEP_2)
	v_dual_mul_f32 v8, 0x3fb8aa3b, v3 :: v_dual_mul_f32 v5, 0x3fb8aa3b, v1
	v_dual_mul_f32 v4, 0x3fb8aa3b, v0 :: v_dual_mul_f32 v7, 0x3fb8aa3b, v2
	v_cmp_ngt_f32_e32 vcc_lo, 0xc2ce8ed0, v0
	s_delay_alu instid0(VALU_DEP_3) | instskip(NEXT) | instid1(VALU_DEP_4)
	v_rndne_f32_e32 v17, v8
	v_fma_f32 v12, 0x3fb8aa3b, v1, -v5
	s_delay_alu instid0(VALU_DEP_4)
	v_fma_f32 v9, 0x3fb8aa3b, v0, -v4
	v_rndne_f32_e32 v10, v4
	v_rndne_f32_e32 v13, v5
	v_fma_f32 v14, 0x3fb8aa3b, v2, -v7
	v_rndne_f32_e32 v15, v7
	v_dual_fmac_f32 v9, 0x32a5705f, v0 :: v_dual_fmac_f32 v12, 0x32a5705f, v1
	v_sub_f32_e32 v4, v4, v10
	v_fma_f32 v16, 0x3fb8aa3b, v3, -v8
	s_delay_alu instid0(VALU_DEP_4) | instskip(SKIP_1) | instid1(VALU_DEP_4)
	v_sub_f32_e32 v7, v7, v15
	v_dual_sub_f32 v5, v5, v13 :: v_dual_fmac_f32 v14, 0x32a5705f, v2
	v_add_f32_e32 v4, v4, v9
	v_cvt_i32_f32_e32 v9, v10
	v_cvt_i32_f32_e32 v10, v13
	s_delay_alu instid0(VALU_DEP_4) | instskip(SKIP_3) | instid1(VALU_DEP_3)
	v_dual_add_f32 v5, v5, v12 :: v_dual_fmac_f32 v16, 0x32a5705f, v3
	v_add_f32_e32 v7, v7, v14
	v_exp_f32_e32 v4, v4
	v_cvt_i32_f32_e32 v12, v15
	v_exp_f32_e32 v5, v5
	s_delay_alu instid0(VALU_DEP_2) | instskip(NEXT) | instid1(TRANS32_DEP_3)
	v_exp_f32_e32 v7, v7
	v_ldexp_f32 v4, v4, v9
	v_cvt_i32_f32_e32 v9, v17
	s_waitcnt_depctr 0xfff
	v_ldexp_f32 v5, v5, v10
	v_ldexp_f32 v7, v7, v12
	v_cndmask_b32_e32 v4, 0, v4, vcc_lo
	v_cmp_ngt_f32_e32 vcc_lo, 0xc2ce8ed0, v1
	s_delay_alu instid0(VALU_DEP_4) | instskip(SKIP_1) | instid1(VALU_DEP_4)
	v_cndmask_b32_e32 v5, 0, v5, vcc_lo
	v_cmp_nlt_f32_e32 vcc_lo, 0x42b17218, v0
	v_cndmask_b32_e32 v0, 0x7f800000, v4, vcc_lo
	v_cmp_nlt_f32_e32 vcc_lo, 0x42b17218, v1
	s_delay_alu instid0(VALU_DEP_4) | instskip(SKIP_1) | instid1(VALU_DEP_2)
	v_cndmask_b32_e32 v1, 0x7f800000, v5, vcc_lo
	v_cmp_ngt_f32_e32 vcc_lo, 0xc2ce8ed0, v2
	v_add_f32_e32 v0, v0, v1
	v_cndmask_b32_e32 v4, 0, v7, vcc_lo
	v_cmp_nlt_f32_e32 vcc_lo, 0x42b17218, v2
	s_delay_alu instid0(VALU_DEP_2) | instskip(NEXT) | instid1(VALU_DEP_1)
	v_dual_sub_f32 v8, v8, v17 :: v_dual_cndmask_b32 v1, 0x7f800000, v4
	v_add_f32_e32 v8, v8, v16
	v_cmp_ngt_f32_e32 vcc_lo, 0xc2ce8ed0, v3
	s_delay_alu instid0(VALU_DEP_3) | instskip(NEXT) | instid1(VALU_DEP_3)
	v_add_f32_e32 v0, v0, v1
	v_exp_f32_e32 v8, v8
	s_waitcnt_depctr 0xfff
	v_ldexp_f32 v5, v8, v9
	s_delay_alu instid0(VALU_DEP_1) | instskip(SKIP_1) | instid1(VALU_DEP_2)
	v_cndmask_b32_e32 v2, 0, v5, vcc_lo
	v_cmp_nlt_f32_e32 vcc_lo, 0x42b17218, v3
	v_cndmask_b32_e32 v1, 0x7f800000, v2, vcc_lo
	s_delay_alu instid0(VALU_DEP_1) | instskip(NEXT) | instid1(VALU_DEP_1)
	v_add_f32_e32 v0, v0, v1
	v_add_f32_e32 v0, v11, v0
	s_delay_alu instid0(VALU_DEP_1)
	v_cmp_neq_f32_e32 vcc_lo, 0, v0
	s_and_b32 exec_lo, exec_lo, vcc_lo
	s_cbranch_execz .LBB229_13
; %bb.10:
	s_and_not1_b32 vcc_lo, exec_lo, s14
	s_cbranch_vccnz .LBB229_13
; %bb.11:
	v_div_scale_f32 v2, null, v0, v0, 1.0
	v_div_scale_f32 v4, vcc_lo, 1.0, v0, 1.0
	s_delay_alu instid0(VALU_DEP_2) | instskip(SKIP_2) | instid1(VALU_DEP_1)
	v_rcp_f32_e32 v3, v2
	s_waitcnt_depctr 0xfff
	v_fma_f32 v1, -v2, v3, 1.0
	v_fmac_f32_e32 v3, v1, v3
	v_mul_lo_u32 v1, v6, s7
	s_delay_alu instid0(VALU_DEP_2) | instskip(NEXT) | instid1(VALU_DEP_1)
	v_mul_f32_e32 v5, v4, v3
	v_fma_f32 v7, -v2, v5, v4
	s_delay_alu instid0(VALU_DEP_1) | instskip(NEXT) | instid1(VALU_DEP_1)
	v_fmac_f32_e32 v5, v7, v3
	v_fma_f32 v4, -v2, v5, v4
	v_ashrrev_i32_e32 v2, 31, v1
	s_delay_alu instid0(VALU_DEP_2) | instskip(NEXT) | instid1(VALU_DEP_2)
	v_div_fmas_f32 v5, v4, v3, v5
	v_lshlrev_b64 v[3:4], 2, v[1:2]
	s_delay_alu instid0(VALU_DEP_2) | instskip(NEXT) | instid1(VALU_DEP_2)
	v_div_fixup_f32 v2, v5, v0, 1.0
	v_add_co_u32 v0, vcc_lo, s12, v3
	s_delay_alu instid0(VALU_DEP_3)
	v_add_co_ci_u32_e32 v1, vcc_lo, s13, v4, vcc_lo
.LBB229_12:                             ; =>This Inner Loop Header: Depth=1
	global_load_b32 v3, v[0:1], off
	s_add_i32 s4, s4, -1
	s_delay_alu instid0(SALU_CYCLE_1)
	s_cmp_lg_u32 s4, 0
	s_waitcnt vmcnt(0)
	v_mul_f32_e32 v3, v2, v3
	global_store_b32 v[0:1], v3, off
	v_add_co_u32 v0, vcc_lo, v0, 4
	v_add_co_ci_u32_e32 v1, vcc_lo, 0, v1, vcc_lo
	s_cbranch_scc1 .LBB229_12
.LBB229_13:
	s_nop 0
	s_sendmsg sendmsg(MSG_DEALLOC_VGPRS)
	s_endpgm
	.section	.rodata,"a",@progbits
	.p2align	6, 0x0
	.amdhsa_kernel _ZN4vllm3moe17topkGatingSoftmaxItLi4ELi4ELi8ELi8ELb0ELi0ELNS0_23SharedExpertScoringFuncE0EEEvPKT_PKbPfiPiS9_iiiiii
		.amdhsa_group_segment_fixed_size 0
		.amdhsa_private_segment_fixed_size 0
		.amdhsa_kernarg_size 72
		.amdhsa_user_sgpr_count 15
		.amdhsa_user_sgpr_dispatch_ptr 0
		.amdhsa_user_sgpr_queue_ptr 0
		.amdhsa_user_sgpr_kernarg_segment_ptr 1
		.amdhsa_user_sgpr_dispatch_id 0
		.amdhsa_user_sgpr_private_segment_size 0
		.amdhsa_wavefront_size32 1
		.amdhsa_uses_dynamic_stack 0
		.amdhsa_enable_private_segment 0
		.amdhsa_system_sgpr_workgroup_id_x 1
		.amdhsa_system_sgpr_workgroup_id_y 0
		.amdhsa_system_sgpr_workgroup_id_z 0
		.amdhsa_system_sgpr_workgroup_info 0
		.amdhsa_system_vgpr_workitem_id 1
		.amdhsa_next_free_vgpr 22
		.amdhsa_next_free_sgpr 18
		.amdhsa_reserve_vcc 1
		.amdhsa_float_round_mode_32 0
		.amdhsa_float_round_mode_16_64 0
		.amdhsa_float_denorm_mode_32 3
		.amdhsa_float_denorm_mode_16_64 3
		.amdhsa_dx10_clamp 1
		.amdhsa_ieee_mode 1
		.amdhsa_fp16_overflow 0
		.amdhsa_workgroup_processor_mode 1
		.amdhsa_memory_ordered 1
		.amdhsa_forward_progress 0
		.amdhsa_shared_vgpr_count 0
		.amdhsa_exception_fp_ieee_invalid_op 0
		.amdhsa_exception_fp_denorm_src 0
		.amdhsa_exception_fp_ieee_div_zero 0
		.amdhsa_exception_fp_ieee_overflow 0
		.amdhsa_exception_fp_ieee_underflow 0
		.amdhsa_exception_fp_ieee_inexact 0
		.amdhsa_exception_int_div_zero 0
	.end_amdhsa_kernel
	.section	.text._ZN4vllm3moe17topkGatingSoftmaxItLi4ELi4ELi8ELi8ELb0ELi0ELNS0_23SharedExpertScoringFuncE0EEEvPKT_PKbPfiPiS9_iiiiii,"axG",@progbits,_ZN4vllm3moe17topkGatingSoftmaxItLi4ELi4ELi8ELi8ELb0ELi0ELNS0_23SharedExpertScoringFuncE0EEEvPKT_PKbPfiPiS9_iiiiii,comdat
.Lfunc_end229:
	.size	_ZN4vllm3moe17topkGatingSoftmaxItLi4ELi4ELi8ELi8ELb0ELi0ELNS0_23SharedExpertScoringFuncE0EEEvPKT_PKbPfiPiS9_iiiiii, .Lfunc_end229-_ZN4vllm3moe17topkGatingSoftmaxItLi4ELi4ELi8ELi8ELb0ELi0ELNS0_23SharedExpertScoringFuncE0EEEvPKT_PKbPfiPiS9_iiiiii
                                        ; -- End function
	.section	.AMDGPU.csdata,"",@progbits
; Kernel info:
; codeLenInByte = 1804
; NumSgprs: 20
; NumVgprs: 22
; ScratchSize: 0
; MemoryBound: 0
; FloatMode: 240
; IeeeMode: 1
; LDSByteSize: 0 bytes/workgroup (compile time only)
; SGPRBlocks: 2
; VGPRBlocks: 2
; NumSGPRsForWavesPerEU: 20
; NumVGPRsForWavesPerEU: 22
; Occupancy: 16
; WaveLimiterHint : 0
; COMPUTE_PGM_RSRC2:SCRATCH_EN: 0
; COMPUTE_PGM_RSRC2:USER_SGPR: 15
; COMPUTE_PGM_RSRC2:TRAP_HANDLER: 0
; COMPUTE_PGM_RSRC2:TGID_X_EN: 1
; COMPUTE_PGM_RSRC2:TGID_Y_EN: 0
; COMPUTE_PGM_RSRC2:TGID_Z_EN: 0
; COMPUTE_PGM_RSRC2:TIDIG_COMP_CNT: 1
	.section	.text._ZN4vllm3moe17topkGatingSoftmaxItLi4ELi4ELi8ELi8ELb1ELi1ELNS0_23SharedExpertScoringFuncE1EEEvPKT_PKbPfiPiS9_iiiiii,"axG",@progbits,_ZN4vllm3moe17topkGatingSoftmaxItLi4ELi4ELi8ELi8ELb1ELi1ELNS0_23SharedExpertScoringFuncE1EEEvPKT_PKbPfiPiS9_iiiiii,comdat
	.protected	_ZN4vllm3moe17topkGatingSoftmaxItLi4ELi4ELi8ELi8ELb1ELi1ELNS0_23SharedExpertScoringFuncE1EEEvPKT_PKbPfiPiS9_iiiiii ; -- Begin function _ZN4vllm3moe17topkGatingSoftmaxItLi4ELi4ELi8ELi8ELb1ELi1ELNS0_23SharedExpertScoringFuncE1EEEvPKT_PKbPfiPiS9_iiiiii
	.globl	_ZN4vllm3moe17topkGatingSoftmaxItLi4ELi4ELi8ELi8ELb1ELi1ELNS0_23SharedExpertScoringFuncE1EEEvPKT_PKbPfiPiS9_iiiiii
	.p2align	8
	.type	_ZN4vllm3moe17topkGatingSoftmaxItLi4ELi4ELi8ELi8ELb1ELi1ELNS0_23SharedExpertScoringFuncE1EEEvPKT_PKbPfiPiS9_iiiiii,@function
_ZN4vllm3moe17topkGatingSoftmaxItLi4ELi4ELi8ELi8ELb1ELi1ELNS0_23SharedExpertScoringFuncE1EEEvPKT_PKbPfiPiS9_iiiiii: ; @_ZN4vllm3moe17topkGatingSoftmaxItLi4ELi4ELi8ELi8ELb1ELi1ELNS0_23SharedExpertScoringFuncE1EEEvPKT_PKbPfiPiS9_iiiiii
; %bb.0:
	s_load_b32 s12, s[0:1], 0x18
	v_bfe_u32 v1, v0, 10, 10
	v_and_b32_e32 v8, 0x3ff, v0
	s_lshl_b32 s14, s15, 8
	s_mov_b32 s2, exec_lo
	s_delay_alu instid0(VALU_DEP_2) | instskip(NEXT) | instid1(VALU_DEP_1)
	v_lshlrev_b32_e32 v7, 5, v1
	v_add3_u32 v11, v7, v8, s14
	s_waitcnt lgkmcnt(0)
	s_delay_alu instid0(VALU_DEP_1)
	v_cmpx_gt_i32_e64 s12, v11
	s_cbranch_execz .LBB230_12
; %bb.1:
	s_clause 0x1
	s_load_b128 s[4:7], s[0:1], 0x0
	s_load_b64 s[2:3], s[0:1], 0x10
	s_waitcnt lgkmcnt(0)
	s_cmp_eq_u64 s[6:7], 0
	s_cbranch_scc1 .LBB230_3
; %bb.2:
	v_ashrrev_i32_e32 v1, 31, v11
	v_add_co_u32 v0, vcc_lo, s6, v11
	s_delay_alu instid0(VALU_DEP_2) | instskip(SKIP_3) | instid1(VALU_DEP_1)
	v_add_co_ci_u32_e32 v1, vcc_lo, s7, v1, vcc_lo
	global_load_u8 v0, v[0:1], off
	s_waitcnt vmcnt(0)
	v_and_b32_e32 v0, 1, v0
	v_cmp_eq_u32_e32 vcc_lo, 1, v0
	s_xor_b32 s6, vcc_lo, -1
	s_delay_alu instid0(SALU_CYCLE_1)
	s_or_not1_b32 s13, s6, exec_lo
	s_branch .LBB230_4
.LBB230_3:
	s_mov_b32 s13, -1
.LBB230_4:
	s_load_b64 s[8:9], s[0:1], 0x40
	s_waitcnt lgkmcnt(0)
	v_mul_lo_u32 v0, v11, s9
	s_delay_alu instid0(VALU_DEP_1) | instskip(NEXT) | instid1(VALU_DEP_1)
	v_ashrrev_i32_e32 v1, 31, v0
	v_lshlrev_b64 v[0:1], 1, v[0:1]
	s_delay_alu instid0(VALU_DEP_1) | instskip(NEXT) | instid1(VALU_DEP_2)
	v_add_co_u32 v0, vcc_lo, s4, v0
	v_add_co_ci_u32_e32 v1, vcc_lo, s5, v1, vcc_lo
	s_load_b128 s[4:7], s[0:1], 0x30
	s_clause 0x1
	global_load_u16 v3, v[0:1], off offset:8
	global_load_b64 v[1:2], v[0:1], off
	s_waitcnt lgkmcnt(0)
	s_cmp_gt_i32 s4, 0
	s_waitcnt vmcnt(1)
	v_and_b32_e32 v0, 0xffff, v3
	s_delay_alu instid0(VALU_DEP_1) | instskip(NEXT) | instid1(VALU_DEP_1)
	v_cvt_f32_u32_e32 v0, v0
	v_mul_f32_e32 v3, 0xbfb8aa3b, v0
	v_cmp_nlt_f32_e32 vcc_lo, 0x42ce8ed0, v0
	s_delay_alu instid0(VALU_DEP_2) | instskip(SKIP_1) | instid1(VALU_DEP_1)
	v_fma_f32 v4, 0xbfb8aa3b, v0, -v3
	v_rndne_f32_e32 v5, v3
	v_dual_fmamk_f32 v4, v0, 0xb2a5705f, v4 :: v_dual_sub_f32 v3, v3, v5
	s_delay_alu instid0(VALU_DEP_1) | instskip(SKIP_1) | instid1(VALU_DEP_2)
	v_add_f32_e32 v3, v3, v4
	v_cvt_i32_f32_e32 v4, v5
	v_exp_f32_e32 v3, v3
	s_waitcnt_depctr 0xfff
	v_ldexp_f32 v3, v3, v4
	s_delay_alu instid0(VALU_DEP_1) | instskip(SKIP_1) | instid1(VALU_DEP_2)
	v_cndmask_b32_e32 v3, 0, v3, vcc_lo
	v_cmp_ngt_f32_e32 vcc_lo, 0xc2b17218, v0
	v_cndmask_b32_e32 v0, 0x7f800000, v3, vcc_lo
	s_delay_alu instid0(VALU_DEP_1) | instskip(NEXT) | instid1(VALU_DEP_1)
	v_add_f32_e32 v5, 1.0, v0
	v_div_scale_f32 v6, null, v5, v5, 1.0
	v_div_scale_f32 v10, vcc_lo, 1.0, v5, 1.0
	s_delay_alu instid0(VALU_DEP_2) | instskip(SKIP_2) | instid1(VALU_DEP_1)
	v_rcp_f32_e32 v9, v6
	s_waitcnt_depctr 0xfff
	v_fma_f32 v0, -v6, v9, 1.0
	v_fmac_f32_e32 v9, v0, v9
	v_mul_lo_u32 v0, v11, s7
	s_cselect_b32 s7, -1, 0
	s_cmp_lt_i32 s4, 1
	s_delay_alu instid0(VALU_DEP_1) | instskip(NEXT) | instid1(VALU_DEP_1)
	v_dual_mul_f32 v12, v10, v9 :: v_dual_add_nc_u32 v3, s4, v0
	v_fma_f32 v4, -v6, v12, v10
	s_delay_alu instid0(VALU_DEP_1) | instskip(NEXT) | instid1(VALU_DEP_3)
	v_fmac_f32_e32 v12, v4, v9
	v_ashrrev_i32_e32 v4, 31, v3
	s_delay_alu instid0(VALU_DEP_2) | instskip(SKIP_1) | instid1(VALU_DEP_3)
	v_fma_f32 v6, -v6, v12, v10
	v_mov_b32_e32 v10, 0
	v_lshlrev_b64 v[3:4], 2, v[3:4]
	s_delay_alu instid0(VALU_DEP_3) | instskip(NEXT) | instid1(VALU_DEP_2)
	v_div_fmas_f32 v6, v6, v9, v12
	v_add_co_u32 v3, vcc_lo, s2, v3
	s_delay_alu instid0(VALU_DEP_3) | instskip(NEXT) | instid1(VALU_DEP_3)
	v_add_co_ci_u32_e32 v4, vcc_lo, s3, v4, vcc_lo
	v_div_fixup_f32 v5, v6, v5, 1.0
	global_store_b32 v[3:4], v5, off
	s_cbranch_scc1 .LBB230_8
; %bb.5:
	s_waitcnt vmcnt(0)
	v_bfi_b32 v1, 0xffff, v1, v1
	v_mul_lo_u32 v17, v11, s4
	s_delay_alu instid0(VALU_DEP_2) | instskip(SKIP_1) | instid1(VALU_DEP_2)
	v_lshrrev_b32_e32 v3, 16, v1
	v_and_b32_e32 v1, 0xffff, v1
	v_cvt_f32_u32_e32 v13, v3
	s_delay_alu instid0(VALU_DEP_2) | instskip(SKIP_2) | instid1(VALU_DEP_3)
	v_cvt_f32_u32_e32 v14, v1
	v_and_b32_e32 v1, 0xffff, v2
	v_lshrrev_b32_e32 v2, 16, v2
	v_cmp_lt_f32_e32 vcc_lo, v14, v13
	s_delay_alu instid0(VALU_DEP_3) | instskip(NEXT) | instid1(VALU_DEP_3)
	v_cvt_f32_u32_e32 v12, v1
	v_cvt_f32_u32_e32 v16, v2
	v_cndmask_b32_e32 v3, v14, v13, vcc_lo
	v_cndmask_b32_e64 v1, 0, 1, vcc_lo
	s_delay_alu instid0(VALU_DEP_2) | instskip(SKIP_1) | instid1(VALU_DEP_3)
	v_cmp_lt_f32_e32 vcc_lo, v3, v12
	v_cndmask_b32_e32 v2, v3, v12, vcc_lo
	v_cndmask_b32_e64 v1, v1, 2, vcc_lo
	s_delay_alu instid0(VALU_DEP_2) | instskip(SKIP_1) | instid1(VALU_DEP_3)
	v_cmp_lt_f32_e32 vcc_lo, v2, v16
	v_cndmask_b32_e32 v9, v2, v16, vcc_lo
	v_cndmask_b32_e64 v15, v1, 3, vcc_lo
	v_mul_lo_u32 v2, v11, s8
	s_load_b128 s[8:11], s[0:1], 0x20
	s_delay_alu instid0(VALU_DEP_3) | instskip(NEXT) | instid1(VALU_DEP_3)
	v_sub_f32_e32 v10, v9, v9
	v_cmp_gt_i32_e64 s0, s6, v15
	v_subrev_nc_u32_e32 v20, s5, v15
	s_delay_alu instid0(VALU_DEP_3) | instskip(NEXT) | instid1(VALU_DEP_1)
	v_mul_f32_e32 v1, 0x3fb8aa3b, v10
	v_fma_f32 v3, 0x3fb8aa3b, v10, -v1
	v_rndne_f32_e32 v4, v1
	s_delay_alu instid0(VALU_DEP_2) | instskip(NEXT) | instid1(VALU_DEP_2)
	v_fmac_f32_e32 v3, 0x32a5705f, v10
	v_sub_f32_e32 v5, v1, v4
	v_ashrrev_i32_e32 v1, 31, v0
	v_cvt_i32_f32_e32 v4, v4
	s_delay_alu instid0(VALU_DEP_3) | instskip(NEXT) | instid1(VALU_DEP_3)
	v_add_f32_e32 v18, v5, v3
	v_lshlrev_b64 v[5:6], 2, v[0:1]
	v_ashrrev_i32_e32 v3, 31, v2
	s_delay_alu instid0(VALU_DEP_3) | instskip(SKIP_1) | instid1(VALU_DEP_3)
	v_exp_f32_e32 v19, v18
	v_ashrrev_i32_e32 v18, 31, v17
	v_add_co_u32 v5, vcc_lo, s2, v5
	s_delay_alu instid0(VALU_DEP_4)
	v_add_co_ci_u32_e32 v6, vcc_lo, s3, v6, vcc_lo
	v_cmp_le_i32_e32 vcc_lo, s5, v15
	v_lshlrev_b64 v[1:2], 2, v[2:3]
	s_waitcnt_depctr 0xfff
	v_ldexp_f32 v19, v19, v4
	s_and_b32 s0, vcc_lo, s0
	v_cmp_ngt_f32_e32 vcc_lo, 0xc2ce8ed0, v10
	v_lshlrev_b64 v[3:4], 2, v[17:18]
	s_delay_alu instid0(VALU_DEP_3)
	v_cndmask_b32_e32 v19, 0, v19, vcc_lo
	s_waitcnt lgkmcnt(0)
	v_add_co_u32 v17, vcc_lo, s8, v1
	v_add_co_ci_u32_e32 v18, vcc_lo, s9, v2, vcc_lo
	s_and_b32 vcc_lo, s13, s0
	s_cmp_eq_u32 s4, 1
	v_cndmask_b32_e32 v21, 4, v20, vcc_lo
	v_cmp_nlt_f32_e32 vcc_lo, 0x42b17218, v10
	v_cndmask_b32_e32 v10, 0x7f800000, v19, vcc_lo
	v_add_co_u32 v19, vcc_lo, s10, v3
	v_add_co_ci_u32_e32 v20, vcc_lo, s11, v4, vcc_lo
	global_store_b32 v[17:18], v21, off
	global_store_b32 v[5:6], v10, off
	;; [unrolled: 1-line block ×3, first 2 shown]
	s_cbranch_scc1 .LBB230_8
; %bb.6:
	v_cmp_ne_u32_e32 vcc_lo, 3, v15
	s_add_i32 s14, s14, s12
	s_delay_alu instid0(SALU_CYCLE_1)
	v_add3_u32 v7, s14, v8, v7
	v_cndmask_b32_e32 v11, 0xff800000, v16, vcc_lo
	v_cmp_ne_u32_e32 vcc_lo, 2, v15
	v_cndmask_b32_e32 v12, 0xff800000, v12, vcc_lo
	v_cmp_ne_u32_e32 vcc_lo, 1, v15
	;; [unrolled: 2-line block ×3, first 2 shown]
	v_cndmask_b32_e32 v14, 0xff800000, v14, vcc_lo
	v_add_co_u32 v3, vcc_lo, v3, s10
	v_add_co_ci_u32_e32 v4, vcc_lo, s11, v4, vcc_lo
	v_add_co_u32 v15, vcc_lo, v1, s8
	v_add_co_ci_u32_e32 v16, vcc_lo, s9, v2, vcc_lo
	s_delay_alu instid0(VALU_DEP_4) | instskip(NEXT) | instid1(VALU_DEP_4)
	v_add_co_u32 v1, vcc_lo, v3, 4
	v_add_co_ci_u32_e32 v2, vcc_lo, 0, v4, vcc_lo
	s_delay_alu instid0(VALU_DEP_4) | instskip(NEXT) | instid1(VALU_DEP_4)
	v_add_co_u32 v3, vcc_lo, v15, 4
	v_add_co_ci_u32_e32 v4, vcc_lo, 0, v16, vcc_lo
	v_add_co_u32 v5, vcc_lo, v5, 4
	v_add_co_ci_u32_e32 v6, vcc_lo, 0, v6, vcc_lo
	s_add_i32 s8, s4, -1
.LBB230_7:                              ; =>This Inner Loop Header: Depth=1
	v_cmp_gt_f32_e32 vcc_lo, v13, v14
	s_add_i32 s8, s8, -1
	v_cndmask_b32_e32 v8, v14, v13, vcc_lo
	v_cndmask_b32_e64 v15, 0, 1, vcc_lo
	s_delay_alu instid0(VALU_DEP_2) | instskip(SKIP_1) | instid1(VALU_DEP_3)
	v_cmp_gt_f32_e32 vcc_lo, v12, v8
	v_cndmask_b32_e32 v8, v8, v12, vcc_lo
	v_cndmask_b32_e64 v15, v15, 2, vcc_lo
	s_delay_alu instid0(VALU_DEP_2) | instskip(NEXT) | instid1(VALU_DEP_2)
	v_cmp_gt_f32_e32 vcc_lo, v11, v8
	v_cndmask_b32_e64 v15, v15, 3, vcc_lo
	v_cndmask_b32_e32 v8, v8, v11, vcc_lo
	s_delay_alu instid0(VALU_DEP_2) | instskip(SKIP_4) | instid1(VALU_DEP_4)
	v_cmp_le_i32_e32 vcc_lo, s5, v15
	v_cmp_gt_i32_e64 s0, s6, v15
	v_subrev_nc_u32_e32 v17, s5, v15
	v_cmp_ne_u32_e64 s1, 3, v15
	v_sub_f32_e32 v8, v8, v9
	s_and_b32 s0, vcc_lo, s0
	s_delay_alu instid0(SALU_CYCLE_1) | instskip(NEXT) | instid1(VALU_DEP_2)
	s_and_b32 vcc_lo, s13, s0
	v_cndmask_b32_e64 v11, 0xff800000, v11, s1
	v_cndmask_b32_e32 v17, 4, v17, vcc_lo
	v_cmp_ne_u32_e64 s1, 2, v15
	s_cmp_eq_u32 s8, 0
	global_store_b32 v[3:4], v17, off
	global_store_b32 v[1:2], v7, off
	v_add_nc_u32_e32 v7, s12, v7
	v_add_co_u32 v1, vcc_lo, v1, 4
	v_add_co_ci_u32_e32 v2, vcc_lo, 0, v2, vcc_lo
	v_add_co_u32 v3, vcc_lo, v3, 4
	v_add_co_ci_u32_e32 v4, vcc_lo, 0, v4, vcc_lo
	v_cndmask_b32_e64 v12, 0xff800000, v12, s1
	v_cmp_ne_u32_e64 s1, 1, v15
	v_cmp_ngt_f32_e32 vcc_lo, 0xc2ce8ed0, v8
	v_mul_f32_e32 v16, 0x3fb8aa3b, v8
	s_delay_alu instid0(VALU_DEP_3) | instskip(SKIP_1) | instid1(VALU_DEP_3)
	v_cndmask_b32_e64 v13, 0xff800000, v13, s1
	v_cmp_ne_u32_e64 s1, 0, v15
	v_fma_f32 v15, 0x3fb8aa3b, v8, -v16
	v_rndne_f32_e32 v18, v16
	s_delay_alu instid0(VALU_DEP_3) | instskip(NEXT) | instid1(VALU_DEP_2)
	v_cndmask_b32_e64 v14, 0xff800000, v14, s1
	v_dual_fmac_f32 v15, 0x32a5705f, v8 :: v_dual_sub_f32 v16, v16, v18
	v_cvt_i32_f32_e32 v18, v18
	s_delay_alu instid0(VALU_DEP_2) | instskip(NEXT) | instid1(VALU_DEP_1)
	v_add_f32_e32 v15, v16, v15
	v_exp_f32_e32 v15, v15
	s_waitcnt_depctr 0xfff
	v_ldexp_f32 v15, v15, v18
	s_delay_alu instid0(VALU_DEP_1) | instskip(SKIP_1) | instid1(VALU_DEP_2)
	v_cndmask_b32_e32 v15, 0, v15, vcc_lo
	v_cmp_nlt_f32_e32 vcc_lo, 0x42b17218, v8
	v_cndmask_b32_e32 v8, 0x7f800000, v15, vcc_lo
	global_store_b32 v[5:6], v8, off
	v_add_co_u32 v5, vcc_lo, v5, 4
	v_add_f32_e32 v10, v10, v8
	v_add_co_ci_u32_e32 v6, vcc_lo, 0, v6, vcc_lo
	s_cbranch_scc0 .LBB230_7
.LBB230_8:
	s_delay_alu instid0(VALU_DEP_2)
	v_cmp_neq_f32_e32 vcc_lo, 0, v10
	s_and_b32 exec_lo, exec_lo, vcc_lo
	s_cbranch_execz .LBB230_12
; %bb.9:
	s_and_not1_b32 vcc_lo, exec_lo, s7
	s_cbranch_vccnz .LBB230_12
; %bb.10:
	s_waitcnt vmcnt(0)
	v_div_scale_f32 v1, null, v10, v10, 1.0
	v_div_scale_f32 v4, vcc_lo, 1.0, v10, 1.0
	s_delay_alu instid0(VALU_DEP_2) | instskip(SKIP_2) | instid1(VALU_DEP_1)
	v_rcp_f32_e32 v2, v1
	s_waitcnt_depctr 0xfff
	v_fma_f32 v3, -v1, v2, 1.0
	v_fmac_f32_e32 v2, v3, v2
	s_delay_alu instid0(VALU_DEP_1) | instskip(NEXT) | instid1(VALU_DEP_1)
	v_mul_f32_e32 v3, v4, v2
	v_fma_f32 v5, -v1, v3, v4
	s_delay_alu instid0(VALU_DEP_1) | instskip(NEXT) | instid1(VALU_DEP_1)
	v_fmac_f32_e32 v3, v5, v2
	v_fma_f32 v4, -v1, v3, v4
	v_ashrrev_i32_e32 v1, 31, v0
	s_delay_alu instid0(VALU_DEP_2) | instskip(NEXT) | instid1(VALU_DEP_2)
	v_div_fmas_f32 v2, v4, v2, v3
	v_lshlrev_b64 v[0:1], 2, v[0:1]
	s_delay_alu instid0(VALU_DEP_2) | instskip(NEXT) | instid1(VALU_DEP_2)
	v_div_fixup_f32 v2, v2, v10, 1.0
	v_add_co_u32 v0, vcc_lo, s2, v0
	s_delay_alu instid0(VALU_DEP_3)
	v_add_co_ci_u32_e32 v1, vcc_lo, s3, v1, vcc_lo
.LBB230_11:                             ; =>This Inner Loop Header: Depth=1
	global_load_b32 v3, v[0:1], off
	s_add_i32 s4, s4, -1
	s_delay_alu instid0(SALU_CYCLE_1)
	s_cmp_lg_u32 s4, 0
	s_waitcnt vmcnt(0)
	v_mul_f32_e32 v3, v2, v3
	global_store_b32 v[0:1], v3, off
	v_add_co_u32 v0, vcc_lo, v0, 4
	v_add_co_ci_u32_e32 v1, vcc_lo, 0, v1, vcc_lo
	s_cbranch_scc1 .LBB230_11
.LBB230_12:
	s_nop 0
	s_sendmsg sendmsg(MSG_DEALLOC_VGPRS)
	s_endpgm
	.section	.rodata,"a",@progbits
	.p2align	6, 0x0
	.amdhsa_kernel _ZN4vllm3moe17topkGatingSoftmaxItLi4ELi4ELi8ELi8ELb1ELi1ELNS0_23SharedExpertScoringFuncE1EEEvPKT_PKbPfiPiS9_iiiiii
		.amdhsa_group_segment_fixed_size 0
		.amdhsa_private_segment_fixed_size 0
		.amdhsa_kernarg_size 72
		.amdhsa_user_sgpr_count 15
		.amdhsa_user_sgpr_dispatch_ptr 0
		.amdhsa_user_sgpr_queue_ptr 0
		.amdhsa_user_sgpr_kernarg_segment_ptr 1
		.amdhsa_user_sgpr_dispatch_id 0
		.amdhsa_user_sgpr_private_segment_size 0
		.amdhsa_wavefront_size32 1
		.amdhsa_uses_dynamic_stack 0
		.amdhsa_enable_private_segment 0
		.amdhsa_system_sgpr_workgroup_id_x 1
		.amdhsa_system_sgpr_workgroup_id_y 0
		.amdhsa_system_sgpr_workgroup_id_z 0
		.amdhsa_system_sgpr_workgroup_info 0
		.amdhsa_system_vgpr_workitem_id 1
		.amdhsa_next_free_vgpr 22
		.amdhsa_next_free_sgpr 16
		.amdhsa_reserve_vcc 1
		.amdhsa_float_round_mode_32 0
		.amdhsa_float_round_mode_16_64 0
		.amdhsa_float_denorm_mode_32 3
		.amdhsa_float_denorm_mode_16_64 3
		.amdhsa_dx10_clamp 1
		.amdhsa_ieee_mode 1
		.amdhsa_fp16_overflow 0
		.amdhsa_workgroup_processor_mode 1
		.amdhsa_memory_ordered 1
		.amdhsa_forward_progress 0
		.amdhsa_shared_vgpr_count 0
		.amdhsa_exception_fp_ieee_invalid_op 0
		.amdhsa_exception_fp_denorm_src 0
		.amdhsa_exception_fp_ieee_div_zero 0
		.amdhsa_exception_fp_ieee_overflow 0
		.amdhsa_exception_fp_ieee_underflow 0
		.amdhsa_exception_fp_ieee_inexact 0
		.amdhsa_exception_int_div_zero 0
	.end_amdhsa_kernel
	.section	.text._ZN4vllm3moe17topkGatingSoftmaxItLi4ELi4ELi8ELi8ELb1ELi1ELNS0_23SharedExpertScoringFuncE1EEEvPKT_PKbPfiPiS9_iiiiii,"axG",@progbits,_ZN4vllm3moe17topkGatingSoftmaxItLi4ELi4ELi8ELi8ELb1ELi1ELNS0_23SharedExpertScoringFuncE1EEEvPKT_PKbPfiPiS9_iiiiii,comdat
.Lfunc_end230:
	.size	_ZN4vllm3moe17topkGatingSoftmaxItLi4ELi4ELi8ELi8ELb1ELi1ELNS0_23SharedExpertScoringFuncE1EEEvPKT_PKbPfiPiS9_iiiiii, .Lfunc_end230-_ZN4vllm3moe17topkGatingSoftmaxItLi4ELi4ELi8ELi8ELb1ELi1ELNS0_23SharedExpertScoringFuncE1EEEvPKT_PKbPfiPiS9_iiiiii
                                        ; -- End function
	.section	.AMDGPU.csdata,"",@progbits
; Kernel info:
; codeLenInByte = 1652
; NumSgprs: 18
; NumVgprs: 22
; ScratchSize: 0
; MemoryBound: 0
; FloatMode: 240
; IeeeMode: 1
; LDSByteSize: 0 bytes/workgroup (compile time only)
; SGPRBlocks: 2
; VGPRBlocks: 2
; NumSGPRsForWavesPerEU: 18
; NumVGPRsForWavesPerEU: 22
; Occupancy: 16
; WaveLimiterHint : 0
; COMPUTE_PGM_RSRC2:SCRATCH_EN: 0
; COMPUTE_PGM_RSRC2:USER_SGPR: 15
; COMPUTE_PGM_RSRC2:TRAP_HANDLER: 0
; COMPUTE_PGM_RSRC2:TGID_X_EN: 1
; COMPUTE_PGM_RSRC2:TGID_Y_EN: 0
; COMPUTE_PGM_RSRC2:TGID_Z_EN: 0
; COMPUTE_PGM_RSRC2:TIDIG_COMP_CNT: 1
	.section	.text._ZN4vllm3moe17topkGatingSoftmaxItLi4ELi4ELi8ELi8ELb0ELi1ELNS0_23SharedExpertScoringFuncE1EEEvPKT_PKbPfiPiS9_iiiiii,"axG",@progbits,_ZN4vllm3moe17topkGatingSoftmaxItLi4ELi4ELi8ELi8ELb0ELi1ELNS0_23SharedExpertScoringFuncE1EEEvPKT_PKbPfiPiS9_iiiiii,comdat
	.protected	_ZN4vllm3moe17topkGatingSoftmaxItLi4ELi4ELi8ELi8ELb0ELi1ELNS0_23SharedExpertScoringFuncE1EEEvPKT_PKbPfiPiS9_iiiiii ; -- Begin function _ZN4vllm3moe17topkGatingSoftmaxItLi4ELi4ELi8ELi8ELb0ELi1ELNS0_23SharedExpertScoringFuncE1EEEvPKT_PKbPfiPiS9_iiiiii
	.globl	_ZN4vllm3moe17topkGatingSoftmaxItLi4ELi4ELi8ELi8ELb0ELi1ELNS0_23SharedExpertScoringFuncE1EEEvPKT_PKbPfiPiS9_iiiiii
	.p2align	8
	.type	_ZN4vllm3moe17topkGatingSoftmaxItLi4ELi4ELi8ELi8ELb0ELi1ELNS0_23SharedExpertScoringFuncE1EEEvPKT_PKbPfiPiS9_iiiiii,@function
_ZN4vllm3moe17topkGatingSoftmaxItLi4ELi4ELi8ELi8ELb0ELi1ELNS0_23SharedExpertScoringFuncE1EEEvPKT_PKbPfiPiS9_iiiiii: ; @_ZN4vllm3moe17topkGatingSoftmaxItLi4ELi4ELi8ELi8ELb0ELi1ELNS0_23SharedExpertScoringFuncE1EEEvPKT_PKbPfiPiS9_iiiiii
; %bb.0:
	s_load_b32 s14, s[0:1], 0x18
	v_bfe_u32 v1, v0, 10, 10
	v_and_b32_e32 v14, 0x3ff, v0
	s_lshl_b32 s16, s15, 8
	s_mov_b32 s2, exec_lo
	s_delay_alu instid0(VALU_DEP_2) | instskip(NEXT) | instid1(VALU_DEP_1)
	v_lshlrev_b32_e32 v13, 5, v1
	v_add3_u32 v15, v13, v14, s16
	s_waitcnt lgkmcnt(0)
	s_delay_alu instid0(VALU_DEP_1)
	v_cmpx_gt_i32_e64 s14, v15
	s_cbranch_execz .LBB231_12
; %bb.1:
	s_clause 0x1
	s_load_b128 s[4:7], s[0:1], 0x0
	s_load_b64 s[12:13], s[0:1], 0x10
	s_waitcnt lgkmcnt(0)
	s_cmp_eq_u64 s[6:7], 0
	s_cbranch_scc1 .LBB231_3
; %bb.2:
	v_ashrrev_i32_e32 v1, 31, v15
	v_add_co_u32 v0, vcc_lo, s6, v15
	s_delay_alu instid0(VALU_DEP_2) | instskip(SKIP_3) | instid1(VALU_DEP_1)
	v_add_co_ci_u32_e32 v1, vcc_lo, s7, v1, vcc_lo
	global_load_u8 v0, v[0:1], off
	s_waitcnt vmcnt(0)
	v_and_b32_e32 v0, 1, v0
	v_cmp_eq_u32_e32 vcc_lo, 1, v0
	s_xor_b32 s2, vcc_lo, -1
	s_delay_alu instid0(SALU_CYCLE_1)
	s_or_not1_b32 s15, s2, exec_lo
	s_branch .LBB231_4
.LBB231_3:
	s_mov_b32 s15, -1
.LBB231_4:
	s_load_b64 s[8:9], s[0:1], 0x40
	s_waitcnt lgkmcnt(0)
	v_mul_lo_u32 v0, v15, s9
	s_delay_alu instid0(VALU_DEP_1) | instskip(NEXT) | instid1(VALU_DEP_1)
	v_ashrrev_i32_e32 v1, 31, v0
	v_lshlrev_b64 v[0:1], 1, v[0:1]
	s_delay_alu instid0(VALU_DEP_1) | instskip(NEXT) | instid1(VALU_DEP_2)
	v_add_co_u32 v0, vcc_lo, s4, v0
	v_add_co_ci_u32_e32 v1, vcc_lo, s5, v1, vcc_lo
	s_load_b128 s[4:7], s[0:1], 0x30
	s_clause 0x1
	global_load_u16 v3, v[0:1], off offset:8
	global_load_b64 v[1:2], v[0:1], off
	s_waitcnt lgkmcnt(0)
	s_cmp_gt_i32 s4, 0
	s_waitcnt vmcnt(1)
	v_cvt_f32_u32_e32 v0, v3
	s_waitcnt vmcnt(0)
	v_and_b32_e32 v7, 0xffff, v2
	v_lshrrev_b32_e32 v18, 16, v2
	s_delay_alu instid0(VALU_DEP_3) | instskip(SKIP_1) | instid1(VALU_DEP_4)
	v_mul_f32_e32 v3, 0xbfb8aa3b, v0
	v_cmp_nlt_f32_e32 vcc_lo, 0x42ce8ed0, v0
	v_cvt_f32_u32_e32 v8, v7
	s_delay_alu instid0(VALU_DEP_4) | instskip(NEXT) | instid1(VALU_DEP_4)
	v_cvt_f32_u32_e32 v7, v18
	v_fma_f32 v4, 0xbfb8aa3b, v0, -v3
	v_rndne_f32_e32 v5, v3
	s_delay_alu instid0(VALU_DEP_1) | instskip(NEXT) | instid1(VALU_DEP_1)
	v_dual_fmamk_f32 v4, v0, 0xb2a5705f, v4 :: v_dual_sub_f32 v3, v3, v5
	v_add_f32_e32 v3, v3, v4
	v_cvt_i32_f32_e32 v4, v5
	s_delay_alu instid0(VALU_DEP_2) | instskip(SKIP_4) | instid1(VALU_DEP_3)
	v_exp_f32_e32 v3, v3
	s_waitcnt_depctr 0xfff
	v_ldexp_f32 v3, v3, v4
	v_lshrrev_b32_e32 v4, 16, v1
	v_and_b32_e32 v1, 0xffff, v1
	v_cndmask_b32_e32 v3, 0, v3, vcc_lo
	v_cmp_ngt_f32_e32 vcc_lo, 0xc2b17218, v0
	s_delay_alu instid0(VALU_DEP_4) | instskip(NEXT) | instid1(VALU_DEP_4)
	v_cvt_f32_u32_e32 v10, v4
	v_cvt_f32_u32_e32 v11, v1
	s_delay_alu instid0(VALU_DEP_4) | instskip(NEXT) | instid1(VALU_DEP_2)
	v_cndmask_b32_e32 v0, 0x7f800000, v3, vcc_lo
	v_cmp_lt_f32_e64 s3, v11, v10
	s_delay_alu instid0(VALU_DEP_2) | instskip(SKIP_3) | instid1(VALU_DEP_2)
	v_add_f32_e32 v5, 1.0, v0
	v_mul_lo_u32 v0, v15, s7
	s_cselect_b32 s7, -1, 0
	s_cmp_lt_i32 s4, 1
	v_div_scale_f32 v6, null, v5, v5, 1.0
	v_div_scale_f32 v12, vcc_lo, 1.0, v5, 1.0
	s_delay_alu instid0(VALU_DEP_2) | instskip(SKIP_2) | instid1(VALU_DEP_1)
	v_rcp_f32_e32 v9, v6
	s_waitcnt_depctr 0xfff
	v_fma_f32 v3, -v6, v9, 1.0
	v_fmac_f32_e32 v9, v3, v9
	s_delay_alu instid0(VALU_DEP_1) | instskip(NEXT) | instid1(VALU_DEP_1)
	v_dual_mul_f32 v16, v12, v9 :: v_dual_add_nc_u32 v3, s4, v0
	v_ashrrev_i32_e32 v4, 31, v3
	s_delay_alu instid0(VALU_DEP_2) | instskip(NEXT) | instid1(VALU_DEP_2)
	v_fma_f32 v17, -v6, v16, v12
	v_lshlrev_b64 v[1:2], 2, v[3:4]
	s_delay_alu instid0(VALU_DEP_2) | instskip(SKIP_1) | instid1(VALU_DEP_2)
	v_fmac_f32_e32 v16, v17, v9
	v_cndmask_b32_e64 v17, v11, v10, s3
	v_fma_f32 v3, -v6, v16, v12
	s_delay_alu instid0(VALU_DEP_2) | instskip(SKIP_1) | instid1(VALU_DEP_3)
	v_cmp_lt_f32_e64 s2, v17, v8
	v_mov_b32_e32 v12, 0
	v_div_fmas_f32 v3, v3, v9, v16
	s_delay_alu instid0(VALU_DEP_3) | instskip(SKIP_2) | instid1(VALU_DEP_3)
	v_cndmask_b32_e64 v4, v17, v8, s2
	v_add_co_u32 v1, vcc_lo, s12, v1
	v_add_co_ci_u32_e32 v2, vcc_lo, s13, v2, vcc_lo
	v_cmp_lt_f32_e32 vcc_lo, v4, v7
	v_div_fixup_f32 v3, v3, v5, 1.0
	v_cndmask_b32_e32 v9, v4, v7, vcc_lo
	global_store_b32 v[1:2], v3, off
	s_cbranch_scc1 .LBB231_8
; %bb.5:
	v_sub_f32_e32 v12, v9, v9
	v_cndmask_b32_e64 v4, 0, 1, s3
	v_mul_lo_u32 v2, v15, s8
	v_ashrrev_i32_e32 v1, 31, v0
	s_load_b128 s[8:11], s[0:1], 0x20
	v_mul_f32_e32 v3, 0x3fb8aa3b, v12
	v_mul_lo_u32 v16, v15, s4
	v_cndmask_b32_e64 v4, v4, 2, s2
	v_lshlrev_b64 v[5:6], 2, v[0:1]
	s_delay_alu instid0(VALU_DEP_4) | instskip(SKIP_1) | instid1(VALU_DEP_4)
	v_rndne_f32_e32 v18, v3
	v_fma_f32 v19, 0x3fb8aa3b, v12, -v3
	v_cndmask_b32_e64 v21, v4, 3, vcc_lo
	v_ashrrev_i32_e32 v17, 31, v16
	s_delay_alu instid0(VALU_DEP_3) | instskip(SKIP_3) | instid1(VALU_DEP_4)
	v_dual_sub_f32 v20, v3, v18 :: v_dual_fmac_f32 v19, 0x32a5705f, v12
	v_ashrrev_i32_e32 v3, 31, v2
	v_add_co_u32 v5, vcc_lo, s12, v5
	v_add_co_ci_u32_e32 v6, vcc_lo, s13, v6, vcc_lo
	v_add_f32_e32 v1, v20, v19
	v_cmp_le_i32_e32 vcc_lo, s5, v21
	v_cmp_gt_i32_e64 s0, s6, v21
	v_subrev_nc_u32_e32 v20, s5, v21
	v_cmp_ne_u32_e64 s1, 3, v21
	v_exp_f32_e32 v19, v1
	v_lshlrev_b64 v[1:2], 2, v[2:3]
	v_lshlrev_b64 v[3:4], 2, v[16:17]
	v_cvt_i32_f32_e32 v16, v18
	s_and_b32 s0, vcc_lo, s0
	v_cndmask_b32_e64 v7, 0xff800000, v7, s1
	s_waitcnt_depctr 0xfff
	v_ldexp_f32 v18, v19, v16
	s_waitcnt lgkmcnt(0)
	v_add_co_u32 v16, vcc_lo, s8, v1
	v_add_co_ci_u32_e32 v17, vcc_lo, s9, v2, vcc_lo
	v_cmp_ngt_f32_e32 vcc_lo, 0xc2ce8ed0, v12
	v_cndmask_b32_e32 v22, 0, v18, vcc_lo
	v_add_co_u32 v18, vcc_lo, s10, v3
	v_add_co_ci_u32_e32 v19, vcc_lo, s11, v4, vcc_lo
	s_and_b32 vcc_lo, s15, s0
	s_cmp_eq_u32 s4, 1
	v_cndmask_b32_e32 v20, 4, v20, vcc_lo
	v_cmp_nlt_f32_e32 vcc_lo, 0x42b17218, v12
	v_cndmask_b32_e32 v12, 0x7f800000, v22, vcc_lo
	v_cmp_ne_u32_e32 vcc_lo, 2, v21
	global_store_b32 v[5:6], v12, off
	v_cndmask_b32_e32 v8, 0xff800000, v8, vcc_lo
	v_cmp_ne_u32_e32 vcc_lo, 1, v21
	global_store_b32 v[16:17], v20, off
	global_store_b32 v[18:19], v15, off
	v_cndmask_b32_e32 v10, 0xff800000, v10, vcc_lo
	v_cmp_ne_u32_e32 vcc_lo, 0, v21
	v_cndmask_b32_e32 v11, 0xff800000, v11, vcc_lo
	s_cbranch_scc1 .LBB231_8
; %bb.6:
	v_add_co_u32 v3, vcc_lo, v3, s10
	v_add_co_ci_u32_e32 v4, vcc_lo, s11, v4, vcc_lo
	v_add_co_u32 v15, vcc_lo, v1, s8
	v_add_co_ci_u32_e32 v16, vcc_lo, s9, v2, vcc_lo
	s_delay_alu instid0(VALU_DEP_4) | instskip(NEXT) | instid1(VALU_DEP_4)
	v_add_co_u32 v1, vcc_lo, v3, 4
	v_add_co_ci_u32_e32 v2, vcc_lo, 0, v4, vcc_lo
	s_delay_alu instid0(VALU_DEP_4) | instskip(NEXT) | instid1(VALU_DEP_4)
	v_add_co_u32 v3, vcc_lo, v15, 4
	v_add_co_ci_u32_e32 v4, vcc_lo, 0, v16, vcc_lo
	s_add_i32 s16, s16, s14
	v_add_co_u32 v5, vcc_lo, v5, 4
	v_add_co_ci_u32_e32 v6, vcc_lo, 0, v6, vcc_lo
	v_add3_u32 v13, s16, v14, v13
	s_add_i32 s2, s4, -1
.LBB231_7:                              ; =>This Inner Loop Header: Depth=1
	v_cmp_gt_f32_e32 vcc_lo, v10, v11
	s_add_i32 s2, s2, -1
	v_cndmask_b32_e32 v14, v11, v10, vcc_lo
	v_cndmask_b32_e64 v15, 0, 1, vcc_lo
	s_delay_alu instid0(VALU_DEP_2) | instskip(SKIP_1) | instid1(VALU_DEP_3)
	v_cmp_gt_f32_e32 vcc_lo, v8, v14
	v_cndmask_b32_e32 v14, v14, v8, vcc_lo
	v_cndmask_b32_e64 v15, v15, 2, vcc_lo
	s_delay_alu instid0(VALU_DEP_2) | instskip(NEXT) | instid1(VALU_DEP_2)
	v_cmp_gt_f32_e32 vcc_lo, v7, v14
	v_cndmask_b32_e64 v15, v15, 3, vcc_lo
	v_cndmask_b32_e32 v14, v14, v7, vcc_lo
	s_delay_alu instid0(VALU_DEP_2) | instskip(SKIP_3) | instid1(VALU_DEP_3)
	v_cmp_le_i32_e32 vcc_lo, s5, v15
	v_cmp_gt_i32_e64 s0, s6, v15
	v_subrev_nc_u32_e32 v17, s5, v15
	v_cmp_ne_u32_e64 s1, 3, v15
	s_and_b32 s0, vcc_lo, s0
	s_delay_alu instid0(SALU_CYCLE_1) | instskip(NEXT) | instid1(VALU_DEP_1)
	s_and_b32 vcc_lo, s15, s0
	v_cndmask_b32_e64 v7, 0xff800000, v7, s1
	v_cndmask_b32_e32 v17, 4, v17, vcc_lo
	v_cmp_ne_u32_e64 s1, 2, v15
	s_cmp_eq_u32 s2, 0
	global_store_b32 v[3:4], v17, off
	global_store_b32 v[1:2], v13, off
	v_add_nc_u32_e32 v13, s14, v13
	v_sub_f32_e32 v14, v14, v9
	v_cndmask_b32_e64 v8, 0xff800000, v8, s1
	v_cmp_ne_u32_e64 s1, 1, v15
	v_add_co_u32 v1, vcc_lo, v1, 4
	s_delay_alu instid0(VALU_DEP_4) | instskip(SKIP_1) | instid1(VALU_DEP_4)
	v_mul_f32_e32 v16, 0x3fb8aa3b, v14
	v_add_co_ci_u32_e32 v2, vcc_lo, 0, v2, vcc_lo
	v_cndmask_b32_e64 v10, 0xff800000, v10, s1
	v_cmp_ne_u32_e64 s1, 0, v15
	s_delay_alu instid0(VALU_DEP_4) | instskip(SKIP_3) | instid1(VALU_DEP_4)
	v_fma_f32 v15, 0x3fb8aa3b, v14, -v16
	v_rndne_f32_e32 v18, v16
	v_add_co_u32 v3, vcc_lo, v3, 4
	v_add_co_ci_u32_e32 v4, vcc_lo, 0, v4, vcc_lo
	v_fmac_f32_e32 v15, 0x32a5705f, v14
	s_delay_alu instid0(VALU_DEP_4) | instskip(SKIP_3) | instid1(VALU_DEP_4)
	v_sub_f32_e32 v16, v16, v18
	v_cvt_i32_f32_e32 v18, v18
	v_cmp_ngt_f32_e32 vcc_lo, 0xc2ce8ed0, v14
	v_cndmask_b32_e64 v11, 0xff800000, v11, s1
	v_add_f32_e32 v15, v16, v15
	s_delay_alu instid0(VALU_DEP_1) | instskip(SKIP_2) | instid1(VALU_DEP_1)
	v_exp_f32_e32 v15, v15
	s_waitcnt_depctr 0xfff
	v_ldexp_f32 v15, v15, v18
	v_cndmask_b32_e32 v15, 0, v15, vcc_lo
	v_cmp_nlt_f32_e32 vcc_lo, 0x42b17218, v14
	s_delay_alu instid0(VALU_DEP_2)
	v_cndmask_b32_e32 v14, 0x7f800000, v15, vcc_lo
	global_store_b32 v[5:6], v14, off
	v_add_co_u32 v5, vcc_lo, v5, 4
	v_add_f32_e32 v12, v12, v14
	v_add_co_ci_u32_e32 v6, vcc_lo, 0, v6, vcc_lo
	s_cbranch_scc0 .LBB231_7
.LBB231_8:
	v_sub_f32_e32 v4, v7, v9
	s_delay_alu instid0(VALU_DEP_1) | instskip(NEXT) | instid1(VALU_DEP_1)
	v_dual_sub_f32 v3, v8, v9 :: v_dual_mul_f32 v8, 0x3fb8aa3b, v4
	v_dual_sub_f32 v2, v10, v9 :: v_dual_mul_f32 v7, 0x3fb8aa3b, v3
	v_sub_f32_e32 v1, v11, v9
	s_delay_alu instid0(VALU_DEP_3) | instskip(NEXT) | instid1(VALU_DEP_3)
	v_rndne_f32_e32 v17, v8
	v_mul_f32_e32 v6, 0x3fb8aa3b, v2
	s_delay_alu instid0(VALU_DEP_4) | instskip(SKIP_2) | instid1(VALU_DEP_4)
	v_fma_f32 v14, 0x3fb8aa3b, v3, -v7
	v_rndne_f32_e32 v15, v7
	v_cmp_ngt_f32_e32 vcc_lo, 0xc2ce8ed0, v1
	v_fma_f32 v11, 0x3fb8aa3b, v2, -v6
	v_rndne_f32_e32 v13, v6
	s_delay_alu instid0(VALU_DEP_4) | instskip(NEXT) | instid1(VALU_DEP_3)
	v_sub_f32_e32 v7, v7, v15
	v_dual_fmac_f32 v14, 0x32a5705f, v3 :: v_dual_fmac_f32 v11, 0x32a5705f, v2
	s_delay_alu instid0(VALU_DEP_3) | instskip(NEXT) | instid1(VALU_DEP_1)
	v_sub_f32_e32 v6, v6, v13
	v_dual_mul_f32 v5, 0x3fb8aa3b, v1 :: v_dual_add_f32 v6, v6, v11
	s_delay_alu instid0(VALU_DEP_1) | instskip(SKIP_2) | instid1(VALU_DEP_4)
	v_fma_f32 v9, 0x3fb8aa3b, v1, -v5
	v_rndne_f32_e32 v10, v5
	v_cvt_i32_f32_e32 v11, v15
	v_exp_f32_e32 v6, v6
	s_delay_alu instid0(VALU_DEP_3) | instskip(NEXT) | instid1(VALU_DEP_3)
	v_fmac_f32_e32 v9, 0x32a5705f, v1
	v_sub_f32_e32 v5, v5, v10
	v_fma_f32 v16, 0x3fb8aa3b, v4, -v8
	v_sub_f32_e32 v8, v8, v17
	s_delay_alu instid0(VALU_DEP_2) | instskip(SKIP_3) | instid1(VALU_DEP_4)
	v_dual_add_f32 v5, v5, v9 :: v_dual_fmac_f32 v16, 0x32a5705f, v4
	v_cvt_i32_f32_e32 v9, v10
	v_cvt_i32_f32_e32 v10, v13
	v_add_f32_e32 v7, v7, v14
	v_exp_f32_e32 v5, v5
	v_add_f32_e32 v8, v8, v16
	s_delay_alu instid0(VALU_DEP_3) | instskip(NEXT) | instid1(VALU_DEP_3)
	v_ldexp_f32 v6, v6, v10
	v_exp_f32_e32 v7, v7
	s_delay_alu instid0(VALU_DEP_2) | instskip(NEXT) | instid1(TRANS32_DEP_3)
	v_exp_f32_e32 v8, v8
	v_ldexp_f32 v5, v5, v9
	v_cvt_i32_f32_e32 v9, v17
	s_waitcnt_depctr 0xfff
	v_ldexp_f32 v7, v7, v11
	v_cndmask_b32_e32 v5, 0, v5, vcc_lo
	v_cmp_ngt_f32_e32 vcc_lo, 0xc2ce8ed0, v2
	v_cndmask_b32_e32 v6, 0, v6, vcc_lo
	v_cmp_nlt_f32_e32 vcc_lo, 0x42b17218, v1
	s_delay_alu instid0(VALU_DEP_4) | instskip(SKIP_1) | instid1(VALU_DEP_4)
	v_cndmask_b32_e32 v1, 0x7f800000, v5, vcc_lo
	v_cmp_nlt_f32_e32 vcc_lo, 0x42b17218, v2
	v_cndmask_b32_e32 v2, 0x7f800000, v6, vcc_lo
	v_cmp_ngt_f32_e32 vcc_lo, 0xc2ce8ed0, v3
	v_ldexp_f32 v6, v8, v9
	v_cndmask_b32_e32 v5, 0, v7, vcc_lo
	v_cmp_nlt_f32_e32 vcc_lo, 0x42b17218, v3
	s_delay_alu instid0(VALU_DEP_2) | instskip(SKIP_3) | instid1(VALU_DEP_2)
	v_dual_add_f32 v1, v1, v2 :: v_dual_cndmask_b32 v2, 0x7f800000, v5
	v_cmp_ngt_f32_e32 vcc_lo, 0xc2ce8ed0, v4
	v_cndmask_b32_e32 v3, 0, v6, vcc_lo
	v_cmp_nlt_f32_e32 vcc_lo, 0x42b17218, v4
	v_dual_add_f32 v1, v1, v2 :: v_dual_cndmask_b32 v2, 0x7f800000, v3
	s_delay_alu instid0(VALU_DEP_1) | instskip(NEXT) | instid1(VALU_DEP_1)
	v_add_f32_e32 v1, v1, v2
	v_add_f32_e32 v2, v12, v1
	s_delay_alu instid0(VALU_DEP_1)
	v_cmp_neq_f32_e32 vcc_lo, 0, v2
	s_and_b32 exec_lo, exec_lo, vcc_lo
	s_cbranch_execz .LBB231_12
; %bb.9:
	s_and_not1_b32 vcc_lo, exec_lo, s7
	s_cbranch_vccnz .LBB231_12
; %bb.10:
	v_div_scale_f32 v1, null, v2, v2, 1.0
	v_div_scale_f32 v5, vcc_lo, 1.0, v2, 1.0
	s_delay_alu instid0(VALU_DEP_2) | instskip(SKIP_2) | instid1(VALU_DEP_1)
	v_rcp_f32_e32 v3, v1
	s_waitcnt_depctr 0xfff
	v_fma_f32 v4, -v1, v3, 1.0
	v_fmac_f32_e32 v3, v4, v3
	s_delay_alu instid0(VALU_DEP_1) | instskip(NEXT) | instid1(VALU_DEP_1)
	v_mul_f32_e32 v4, v5, v3
	v_fma_f32 v6, -v1, v4, v5
	s_delay_alu instid0(VALU_DEP_1) | instskip(NEXT) | instid1(VALU_DEP_1)
	v_fmac_f32_e32 v4, v6, v3
	v_fma_f32 v5, -v1, v4, v5
	v_ashrrev_i32_e32 v1, 31, v0
	s_delay_alu instid0(VALU_DEP_2) | instskip(NEXT) | instid1(VALU_DEP_2)
	v_div_fmas_f32 v3, v5, v3, v4
	v_lshlrev_b64 v[0:1], 2, v[0:1]
	s_delay_alu instid0(VALU_DEP_2) | instskip(NEXT) | instid1(VALU_DEP_2)
	v_div_fixup_f32 v2, v3, v2, 1.0
	v_add_co_u32 v0, vcc_lo, s12, v0
	s_delay_alu instid0(VALU_DEP_3)
	v_add_co_ci_u32_e32 v1, vcc_lo, s13, v1, vcc_lo
.LBB231_11:                             ; =>This Inner Loop Header: Depth=1
	global_load_b32 v3, v[0:1], off
	s_add_i32 s4, s4, -1
	s_delay_alu instid0(SALU_CYCLE_1)
	s_cmp_lg_u32 s4, 0
	s_waitcnt vmcnt(0)
	v_mul_f32_e32 v3, v2, v3
	global_store_b32 v[0:1], v3, off
	v_add_co_u32 v0, vcc_lo, v0, 4
	v_add_co_ci_u32_e32 v1, vcc_lo, 0, v1, vcc_lo
	s_cbranch_scc1 .LBB231_11
.LBB231_12:
	s_nop 0
	s_sendmsg sendmsg(MSG_DEALLOC_VGPRS)
	s_endpgm
	.section	.rodata,"a",@progbits
	.p2align	6, 0x0
	.amdhsa_kernel _ZN4vllm3moe17topkGatingSoftmaxItLi4ELi4ELi8ELi8ELb0ELi1ELNS0_23SharedExpertScoringFuncE1EEEvPKT_PKbPfiPiS9_iiiiii
		.amdhsa_group_segment_fixed_size 0
		.amdhsa_private_segment_fixed_size 0
		.amdhsa_kernarg_size 72
		.amdhsa_user_sgpr_count 15
		.amdhsa_user_sgpr_dispatch_ptr 0
		.amdhsa_user_sgpr_queue_ptr 0
		.amdhsa_user_sgpr_kernarg_segment_ptr 1
		.amdhsa_user_sgpr_dispatch_id 0
		.amdhsa_user_sgpr_private_segment_size 0
		.amdhsa_wavefront_size32 1
		.amdhsa_uses_dynamic_stack 0
		.amdhsa_enable_private_segment 0
		.amdhsa_system_sgpr_workgroup_id_x 1
		.amdhsa_system_sgpr_workgroup_id_y 0
		.amdhsa_system_sgpr_workgroup_id_z 0
		.amdhsa_system_sgpr_workgroup_info 0
		.amdhsa_system_vgpr_workitem_id 1
		.amdhsa_next_free_vgpr 23
		.amdhsa_next_free_sgpr 17
		.amdhsa_reserve_vcc 1
		.amdhsa_float_round_mode_32 0
		.amdhsa_float_round_mode_16_64 0
		.amdhsa_float_denorm_mode_32 3
		.amdhsa_float_denorm_mode_16_64 3
		.amdhsa_dx10_clamp 1
		.amdhsa_ieee_mode 1
		.amdhsa_fp16_overflow 0
		.amdhsa_workgroup_processor_mode 1
		.amdhsa_memory_ordered 1
		.amdhsa_forward_progress 0
		.amdhsa_shared_vgpr_count 0
		.amdhsa_exception_fp_ieee_invalid_op 0
		.amdhsa_exception_fp_denorm_src 0
		.amdhsa_exception_fp_ieee_div_zero 0
		.amdhsa_exception_fp_ieee_overflow 0
		.amdhsa_exception_fp_ieee_underflow 0
		.amdhsa_exception_fp_ieee_inexact 0
		.amdhsa_exception_int_div_zero 0
	.end_amdhsa_kernel
	.section	.text._ZN4vllm3moe17topkGatingSoftmaxItLi4ELi4ELi8ELi8ELb0ELi1ELNS0_23SharedExpertScoringFuncE1EEEvPKT_PKbPfiPiS9_iiiiii,"axG",@progbits,_ZN4vllm3moe17topkGatingSoftmaxItLi4ELi4ELi8ELi8ELb0ELi1ELNS0_23SharedExpertScoringFuncE1EEEvPKT_PKbPfiPiS9_iiiiii,comdat
.Lfunc_end231:
	.size	_ZN4vllm3moe17topkGatingSoftmaxItLi4ELi4ELi8ELi8ELb0ELi1ELNS0_23SharedExpertScoringFuncE1EEEvPKT_PKbPfiPiS9_iiiiii, .Lfunc_end231-_ZN4vllm3moe17topkGatingSoftmaxItLi4ELi4ELi8ELi8ELb0ELi1ELNS0_23SharedExpertScoringFuncE1EEEvPKT_PKbPfiPiS9_iiiiii
                                        ; -- End function
	.section	.AMDGPU.csdata,"",@progbits
; Kernel info:
; codeLenInByte = 2040
; NumSgprs: 19
; NumVgprs: 23
; ScratchSize: 0
; MemoryBound: 0
; FloatMode: 240
; IeeeMode: 1
; LDSByteSize: 0 bytes/workgroup (compile time only)
; SGPRBlocks: 2
; VGPRBlocks: 2
; NumSGPRsForWavesPerEU: 19
; NumVGPRsForWavesPerEU: 23
; Occupancy: 16
; WaveLimiterHint : 0
; COMPUTE_PGM_RSRC2:SCRATCH_EN: 0
; COMPUTE_PGM_RSRC2:USER_SGPR: 15
; COMPUTE_PGM_RSRC2:TRAP_HANDLER: 0
; COMPUTE_PGM_RSRC2:TGID_X_EN: 1
; COMPUTE_PGM_RSRC2:TGID_Y_EN: 0
; COMPUTE_PGM_RSRC2:TGID_Z_EN: 0
; COMPUTE_PGM_RSRC2:TIDIG_COMP_CNT: 1
	.section	.text._ZN4vllm3moe17topkGatingSoftmaxItLi4ELi4ELi8ELi8ELb1ELi2ELNS0_23SharedExpertScoringFuncE1EEEvPKT_PKbPfiPiS9_iiiiii,"axG",@progbits,_ZN4vllm3moe17topkGatingSoftmaxItLi4ELi4ELi8ELi8ELb1ELi2ELNS0_23SharedExpertScoringFuncE1EEEvPKT_PKbPfiPiS9_iiiiii,comdat
	.protected	_ZN4vllm3moe17topkGatingSoftmaxItLi4ELi4ELi8ELi8ELb1ELi2ELNS0_23SharedExpertScoringFuncE1EEEvPKT_PKbPfiPiS9_iiiiii ; -- Begin function _ZN4vllm3moe17topkGatingSoftmaxItLi4ELi4ELi8ELi8ELb1ELi2ELNS0_23SharedExpertScoringFuncE1EEEvPKT_PKbPfiPiS9_iiiiii
	.globl	_ZN4vllm3moe17topkGatingSoftmaxItLi4ELi4ELi8ELi8ELb1ELi2ELNS0_23SharedExpertScoringFuncE1EEEvPKT_PKbPfiPiS9_iiiiii
	.p2align	8
	.type	_ZN4vllm3moe17topkGatingSoftmaxItLi4ELi4ELi8ELi8ELb1ELi2ELNS0_23SharedExpertScoringFuncE1EEEvPKT_PKbPfiPiS9_iiiiii,@function
_ZN4vllm3moe17topkGatingSoftmaxItLi4ELi4ELi8ELi8ELb1ELi2ELNS0_23SharedExpertScoringFuncE1EEEvPKT_PKbPfiPiS9_iiiiii: ; @_ZN4vllm3moe17topkGatingSoftmaxItLi4ELi4ELi8ELi8ELb1ELi2ELNS0_23SharedExpertScoringFuncE1EEEvPKT_PKbPfiPiS9_iiiiii
; %bb.0:
	s_load_b32 s3, s[0:1], 0x18
	v_bfe_u32 v1, v0, 10, 10
	v_and_b32_e32 v8, 0x3ff, v0
	s_lshl_b32 s15, s15, 8
	s_mov_b32 s2, exec_lo
	s_delay_alu instid0(VALU_DEP_2) | instskip(NEXT) | instid1(VALU_DEP_1)
	v_lshlrev_b32_e32 v7, 5, v1
	v_add3_u32 v9, v7, v8, s15
	s_waitcnt lgkmcnt(0)
	s_delay_alu instid0(VALU_DEP_1)
	v_cmpx_gt_i32_e64 s3, v9
	s_cbranch_execz .LBB232_12
; %bb.1:
	s_clause 0x1
	s_load_b128 s[4:7], s[0:1], 0x0
	s_load_b64 s[12:13], s[0:1], 0x10
	s_waitcnt lgkmcnt(0)
	s_cmp_eq_u64 s[6:7], 0
	s_cbranch_scc1 .LBB232_3
; %bb.2:
	v_ashrrev_i32_e32 v1, 31, v9
	v_add_co_u32 v0, vcc_lo, s6, v9
	s_delay_alu instid0(VALU_DEP_2) | instskip(SKIP_3) | instid1(VALU_DEP_1)
	v_add_co_ci_u32_e32 v1, vcc_lo, s7, v1, vcc_lo
	global_load_u8 v0, v[0:1], off
	s_waitcnt vmcnt(0)
	v_and_b32_e32 v0, 1, v0
	v_cmp_eq_u32_e32 vcc_lo, 1, v0
	s_xor_b32 s2, vcc_lo, -1
	s_delay_alu instid0(SALU_CYCLE_1)
	s_or_not1_b32 s14, s2, exec_lo
	s_branch .LBB232_4
.LBB232_3:
	s_mov_b32 s14, -1
.LBB232_4:
	s_load_b64 s[8:9], s[0:1], 0x40
	s_waitcnt lgkmcnt(0)
	v_mul_lo_u32 v0, v9, s9
	s_delay_alu instid0(VALU_DEP_1) | instskip(NEXT) | instid1(VALU_DEP_1)
	v_ashrrev_i32_e32 v1, 31, v0
	v_lshlrev_b64 v[0:1], 1, v[0:1]
	s_delay_alu instid0(VALU_DEP_1) | instskip(NEXT) | instid1(VALU_DEP_2)
	v_add_co_u32 v0, vcc_lo, s4, v0
	v_add_co_ci_u32_e32 v1, vcc_lo, s5, v1, vcc_lo
	s_load_b128 s[4:7], s[0:1], 0x30
	global_load_b96 v[0:2], v[0:1], off
	s_waitcnt lgkmcnt(0)
	s_cmp_gt_i32 s4, 0
	s_waitcnt vmcnt(0)
	v_and_b32_e32 v3, 0xffff, v2
	v_lshrrev_b32_e32 v2, 16, v2
	s_delay_alu instid0(VALU_DEP_2) | instskip(NEXT) | instid1(VALU_DEP_2)
	v_cvt_f32_u32_e32 v3, v3
	v_cvt_f32_u32_e32 v2, v2
	s_delay_alu instid0(VALU_DEP_1) | instskip(SKIP_1) | instid1(VALU_DEP_2)
	v_dual_mul_f32 v4, 0xbfb8aa3b, v3 :: v_dual_mul_f32 v5, 0xbfb8aa3b, v2
	v_cmp_nlt_f32_e32 vcc_lo, 0x42ce8ed0, v3
	v_fma_f32 v6, 0xbfb8aa3b, v3, -v4
	v_rndne_f32_e32 v10, v4
	s_delay_alu instid0(VALU_DEP_4) | instskip(SKIP_1) | instid1(VALU_DEP_4)
	v_fma_f32 v11, 0xbfb8aa3b, v2, -v5
	v_rndne_f32_e32 v12, v5
	v_fmac_f32_e32 v6, 0xb2a5705f, v3
	s_delay_alu instid0(VALU_DEP_4) | instskip(NEXT) | instid1(VALU_DEP_4)
	v_sub_f32_e32 v4, v4, v10
	v_fmac_f32_e32 v11, 0xb2a5705f, v2
	s_delay_alu instid0(VALU_DEP_2) | instskip(SKIP_1) | instid1(VALU_DEP_2)
	v_dual_sub_f32 v5, v5, v12 :: v_dual_add_f32 v4, v4, v6
	v_cvt_i32_f32_e32 v6, v10
	v_add_f32_e32 v5, v5, v11
	v_cvt_i32_f32_e32 v10, v12
	s_delay_alu instid0(VALU_DEP_4) | instskip(NEXT) | instid1(VALU_DEP_2)
	v_exp_f32_e32 v4, v4
	v_exp_f32_e32 v5, v5
	s_waitcnt_depctr 0xfff
	v_ldexp_f32 v4, v4, v6
	v_ldexp_f32 v5, v5, v10
	s_delay_alu instid0(VALU_DEP_2) | instskip(SKIP_1) | instid1(VALU_DEP_3)
	v_cndmask_b32_e32 v4, 0, v4, vcc_lo
	v_cmp_nlt_f32_e32 vcc_lo, 0x42ce8ed0, v2
	v_cndmask_b32_e32 v5, 0, v5, vcc_lo
	v_cmp_ngt_f32_e32 vcc_lo, 0xc2b17218, v3
	s_delay_alu instid0(VALU_DEP_4) | instskip(SKIP_1) | instid1(VALU_DEP_2)
	v_cndmask_b32_e32 v3, 0x7f800000, v4, vcc_lo
	v_cmp_ngt_f32_e32 vcc_lo, 0xc2b17218, v2
	v_dual_cndmask_b32 v2, 0x7f800000, v5 :: v_dual_add_f32 v5, 1.0, v3
	s_delay_alu instid0(VALU_DEP_1) | instskip(NEXT) | instid1(VALU_DEP_2)
	v_add_f32_e32 v6, 1.0, v2
	v_div_scale_f32 v10, null, v5, v5, 1.0
	v_div_scale_f32 v14, vcc_lo, 1.0, v5, 1.0
	s_delay_alu instid0(VALU_DEP_3) | instskip(NEXT) | instid1(VALU_DEP_3)
	v_div_scale_f32 v11, null, v6, v6, 1.0
	v_rcp_f32_e32 v12, v10
	v_div_scale_f32 v15, s2, 1.0, v6, 1.0
	s_delay_alu instid0(VALU_DEP_2) | instskip(SKIP_3) | instid1(VALU_DEP_2)
	v_rcp_f32_e32 v13, v11
	s_waitcnt_depctr 0xfff
	v_fma_f32 v2, -v10, v12, 1.0
	v_fma_f32 v3, -v11, v13, 1.0
	v_fmac_f32_e32 v12, v2, v12
	v_mul_lo_u32 v2, v9, s7
	s_delay_alu instid0(VALU_DEP_2) | instskip(NEXT) | instid1(VALU_DEP_1)
	v_dual_fmac_f32 v13, v3, v13 :: v_dual_mul_f32 v16, v14, v12
	v_mul_f32_e32 v17, v15, v13
	s_delay_alu instid0(VALU_DEP_2) | instskip(NEXT) | instid1(VALU_DEP_4)
	v_fma_f32 v4, -v10, v16, v14
	v_add_nc_u32_e32 v3, s4, v2
	s_delay_alu instid0(VALU_DEP_3) | instskip(NEXT) | instid1(VALU_DEP_3)
	v_fma_f32 v18, -v11, v17, v15
	v_fmac_f32_e32 v16, v4, v12
	s_delay_alu instid0(VALU_DEP_3) | instskip(NEXT) | instid1(VALU_DEP_3)
	v_ashrrev_i32_e32 v4, 31, v3
	v_fmac_f32_e32 v17, v18, v13
	s_delay_alu instid0(VALU_DEP_3) | instskip(NEXT) | instid1(VALU_DEP_3)
	v_fma_f32 v10, -v10, v16, v14
	v_lshlrev_b64 v[3:4], 2, v[3:4]
	s_delay_alu instid0(VALU_DEP_3) | instskip(NEXT) | instid1(VALU_DEP_3)
	v_fma_f32 v11, -v11, v17, v15
	v_div_fmas_f32 v10, v10, v12, v16
	s_mov_b32 vcc_lo, s2
	s_cselect_b32 s2, -1, 0
	s_delay_alu instid0(VALU_DEP_2) | instskip(SKIP_3) | instid1(VALU_DEP_4)
	v_div_fmas_f32 v11, v11, v13, v17
	v_add_co_u32 v3, vcc_lo, s12, v3
	v_add_co_ci_u32_e32 v4, vcc_lo, s13, v4, vcc_lo
	v_div_fixup_f32 v5, v10, v5, 1.0
	v_div_fixup_f32 v6, v11, v6, 1.0
	v_mov_b32_e32 v11, 0
	s_cmp_lt_i32 s4, 1
	global_store_b64 v[3:4], v[5:6], off
	s_cbranch_scc1 .LBB232_8
; %bb.5:
	v_lshrrev_b32_e32 v3, 16, v0
	v_mul_lo_u32 v17, v9, s4
	s_delay_alu instid0(VALU_DEP_2) | instskip(SKIP_1) | instid1(VALU_DEP_3)
	v_cvt_f32_u32_e32 v13, v3
	v_and_b32_e32 v0, 0xffff, v0
	v_ashrrev_i32_e32 v18, 31, v17
	s_delay_alu instid0(VALU_DEP_2) | instskip(NEXT) | instid1(VALU_DEP_1)
	v_cvt_f32_u32_e32 v14, v0
	v_cmp_lt_f32_e32 vcc_lo, v14, v13
	v_cndmask_b32_e32 v3, v14, v13, vcc_lo
	v_and_b32_e32 v0, 0xffff, v1
	v_lshrrev_b32_e32 v1, 16, v1
	s_delay_alu instid0(VALU_DEP_2) | instskip(SKIP_1) | instid1(VALU_DEP_3)
	v_cvt_f32_u32_e32 v12, v0
	v_cndmask_b32_e64 v0, 0, 1, vcc_lo
	v_cvt_f32_u32_e32 v16, v1
	s_delay_alu instid0(VALU_DEP_3) | instskip(SKIP_1) | instid1(VALU_DEP_4)
	v_cmp_lt_f32_e32 vcc_lo, v3, v12
	v_cndmask_b32_e32 v1, v3, v12, vcc_lo
	v_cndmask_b32_e64 v0, v0, 2, vcc_lo
	v_ashrrev_i32_e32 v3, 31, v2
	s_delay_alu instid0(VALU_DEP_3) | instskip(SKIP_1) | instid1(VALU_DEP_4)
	v_cmp_lt_f32_e32 vcc_lo, v1, v16
	v_cndmask_b32_e32 v10, v1, v16, vcc_lo
	v_cndmask_b32_e64 v15, v0, 3, vcc_lo
	s_delay_alu instid0(VALU_DEP_2) | instskip(NEXT) | instid1(VALU_DEP_1)
	v_sub_f32_e32 v11, v10, v10
	v_mul_f32_e32 v0, 0x3fb8aa3b, v11
	s_delay_alu instid0(VALU_DEP_1) | instskip(NEXT) | instid1(VALU_DEP_1)
	v_rndne_f32_e32 v5, v0
	v_sub_f32_e32 v4, v0, v5
	v_fma_f32 v1, 0x3fb8aa3b, v11, -v0
	v_mul_lo_u32 v0, v9, s8
	s_load_b128 s[8:11], s[0:1], 0x20
	v_cvt_i32_f32_e32 v20, v5
	v_cmp_gt_i32_e64 s0, s6, v15
	v_fmac_f32_e32 v1, 0x32a5705f, v11
	s_delay_alu instid0(VALU_DEP_1) | instskip(SKIP_2) | instid1(VALU_DEP_3)
	v_add_f32_e32 v6, v4, v1
	v_lshlrev_b64 v[3:4], 2, v[2:3]
	v_ashrrev_i32_e32 v1, 31, v0
	v_exp_f32_e32 v19, v6
	s_delay_alu instid0(VALU_DEP_2) | instskip(NEXT) | instid1(VALU_DEP_3)
	v_add_co_u32 v5, vcc_lo, s12, v3
	v_add_co_ci_u32_e32 v6, vcc_lo, s13, v4, vcc_lo
	v_cmp_le_i32_e32 vcc_lo, s5, v15
	v_lshlrev_b64 v[0:1], 2, v[0:1]
	v_lshlrev_b64 v[3:4], 2, v[17:18]
	s_waitcnt_depctr 0xfff
	v_ldexp_f32 v19, v19, v20
	s_and_b32 s0, vcc_lo, s0
	v_cmp_ngt_f32_e32 vcc_lo, 0xc2ce8ed0, v11
	v_subrev_nc_u32_e32 v20, s5, v15
	s_delay_alu instid0(VALU_DEP_3)
	v_cndmask_b32_e32 v19, 0, v19, vcc_lo
	s_waitcnt lgkmcnt(0)
	v_add_co_u32 v17, vcc_lo, s8, v0
	v_add_co_ci_u32_e32 v18, vcc_lo, s9, v1, vcc_lo
	s_and_b32 vcc_lo, s14, s0
	s_cmp_eq_u32 s4, 1
	v_cndmask_b32_e32 v21, 4, v20, vcc_lo
	v_cmp_nlt_f32_e32 vcc_lo, 0x42b17218, v11
	v_cndmask_b32_e32 v11, 0x7f800000, v19, vcc_lo
	v_add_co_u32 v19, vcc_lo, s10, v3
	v_add_co_ci_u32_e32 v20, vcc_lo, s11, v4, vcc_lo
	global_store_b32 v[17:18], v21, off
	global_store_b32 v[5:6], v11, off
	;; [unrolled: 1-line block ×3, first 2 shown]
	s_cbranch_scc1 .LBB232_8
; %bb.6:
	v_cmp_ne_u32_e32 vcc_lo, 3, v15
	s_add_i32 s15, s15, s3
	s_add_i32 s7, s4, -1
	v_add3_u32 v7, s15, v8, v7
	v_cndmask_b32_e32 v9, 0xff800000, v16, vcc_lo
	v_cmp_ne_u32_e32 vcc_lo, 2, v15
	v_cndmask_b32_e32 v12, 0xff800000, v12, vcc_lo
	v_cmp_ne_u32_e32 vcc_lo, 1, v15
	;; [unrolled: 2-line block ×3, first 2 shown]
	v_cndmask_b32_e32 v14, 0xff800000, v14, vcc_lo
	v_add_co_u32 v3, vcc_lo, v3, s10
	v_add_co_ci_u32_e32 v4, vcc_lo, s11, v4, vcc_lo
	v_add_co_u32 v15, vcc_lo, v0, s8
	v_add_co_ci_u32_e32 v16, vcc_lo, s9, v1, vcc_lo
	s_delay_alu instid0(VALU_DEP_4) | instskip(NEXT) | instid1(VALU_DEP_4)
	v_add_co_u32 v0, vcc_lo, v3, 4
	v_add_co_ci_u32_e32 v1, vcc_lo, 0, v4, vcc_lo
	s_delay_alu instid0(VALU_DEP_4) | instskip(NEXT) | instid1(VALU_DEP_4)
	v_add_co_u32 v3, vcc_lo, v15, 4
	v_add_co_ci_u32_e32 v4, vcc_lo, 0, v16, vcc_lo
	v_add_co_u32 v5, vcc_lo, v5, 4
	v_add_co_ci_u32_e32 v6, vcc_lo, 0, v6, vcc_lo
.LBB232_7:                              ; =>This Inner Loop Header: Depth=1
	v_cmp_gt_f32_e32 vcc_lo, v13, v14
	s_add_i32 s7, s7, -1
	v_cndmask_b32_e32 v8, v14, v13, vcc_lo
	v_cndmask_b32_e64 v15, 0, 1, vcc_lo
	s_delay_alu instid0(VALU_DEP_2) | instskip(SKIP_1) | instid1(VALU_DEP_3)
	v_cmp_gt_f32_e32 vcc_lo, v12, v8
	v_cndmask_b32_e32 v8, v8, v12, vcc_lo
	v_cndmask_b32_e64 v15, v15, 2, vcc_lo
	s_delay_alu instid0(VALU_DEP_2) | instskip(NEXT) | instid1(VALU_DEP_2)
	v_cmp_gt_f32_e32 vcc_lo, v9, v8
	v_cndmask_b32_e64 v15, v15, 3, vcc_lo
	v_cndmask_b32_e32 v8, v8, v9, vcc_lo
	s_delay_alu instid0(VALU_DEP_2) | instskip(SKIP_3) | instid1(VALU_DEP_3)
	v_cmp_le_i32_e32 vcc_lo, s5, v15
	v_cmp_gt_i32_e64 s0, s6, v15
	v_subrev_nc_u32_e32 v17, s5, v15
	v_cmp_ne_u32_e64 s1, 3, v15
	s_and_b32 s0, vcc_lo, s0
	s_delay_alu instid0(SALU_CYCLE_1) | instskip(NEXT) | instid1(VALU_DEP_1)
	s_and_b32 vcc_lo, s14, s0
	v_cndmask_b32_e64 v9, 0xff800000, v9, s1
	v_cndmask_b32_e32 v17, 4, v17, vcc_lo
	v_cmp_ne_u32_e64 s1, 2, v15
	s_cmp_eq_u32 s7, 0
	global_store_b32 v[3:4], v17, off
	global_store_b32 v[0:1], v7, off
	v_dual_sub_f32 v8, v8, v10 :: v_dual_add_nc_u32 v7, s3, v7
	v_cndmask_b32_e64 v12, 0xff800000, v12, s1
	v_cmp_ne_u32_e64 s1, 1, v15
	v_add_co_u32 v0, vcc_lo, v0, 4
	s_delay_alu instid0(VALU_DEP_4) | instskip(SKIP_1) | instid1(VALU_DEP_4)
	v_mul_f32_e32 v16, 0x3fb8aa3b, v8
	v_add_co_ci_u32_e32 v1, vcc_lo, 0, v1, vcc_lo
	v_cndmask_b32_e64 v13, 0xff800000, v13, s1
	v_cmp_ne_u32_e64 s1, 0, v15
	s_delay_alu instid0(VALU_DEP_4) | instskip(SKIP_3) | instid1(VALU_DEP_3)
	v_fma_f32 v15, 0x3fb8aa3b, v8, -v16
	v_rndne_f32_e32 v18, v16
	v_add_co_u32 v3, vcc_lo, v3, 4
	v_add_co_ci_u32_e32 v4, vcc_lo, 0, v4, vcc_lo
	v_dual_fmac_f32 v15, 0x32a5705f, v8 :: v_dual_sub_f32 v16, v16, v18
	v_cvt_i32_f32_e32 v18, v18
	v_cmp_ngt_f32_e32 vcc_lo, 0xc2ce8ed0, v8
	v_cndmask_b32_e64 v14, 0xff800000, v14, s1
	s_delay_alu instid0(VALU_DEP_4) | instskip(NEXT) | instid1(VALU_DEP_1)
	v_add_f32_e32 v15, v16, v15
	v_exp_f32_e32 v15, v15
	s_waitcnt_depctr 0xfff
	v_ldexp_f32 v15, v15, v18
	s_delay_alu instid0(VALU_DEP_1) | instskip(SKIP_1) | instid1(VALU_DEP_2)
	v_cndmask_b32_e32 v15, 0, v15, vcc_lo
	v_cmp_nlt_f32_e32 vcc_lo, 0x42b17218, v8
	v_cndmask_b32_e32 v8, 0x7f800000, v15, vcc_lo
	global_store_b32 v[5:6], v8, off
	v_add_co_u32 v5, vcc_lo, v5, 4
	v_add_f32_e32 v11, v11, v8
	v_add_co_ci_u32_e32 v6, vcc_lo, 0, v6, vcc_lo
	s_cbranch_scc0 .LBB232_7
.LBB232_8:
	s_delay_alu instid0(VALU_DEP_2)
	v_cmp_neq_f32_e32 vcc_lo, 0, v11
	s_and_b32 exec_lo, exec_lo, vcc_lo
	s_cbranch_execz .LBB232_12
; %bb.9:
	s_and_not1_b32 vcc_lo, exec_lo, s2
	s_cbranch_vccnz .LBB232_12
; %bb.10:
	v_div_scale_f32 v0, null, v11, v11, 1.0
	v_div_scale_f32 v4, vcc_lo, 1.0, v11, 1.0
	s_delay_alu instid0(VALU_DEP_2) | instskip(SKIP_2) | instid1(VALU_DEP_1)
	v_rcp_f32_e32 v1, v0
	s_waitcnt_depctr 0xfff
	v_fma_f32 v3, -v0, v1, 1.0
	v_fmac_f32_e32 v1, v3, v1
	s_delay_alu instid0(VALU_DEP_1) | instskip(NEXT) | instid1(VALU_DEP_1)
	v_mul_f32_e32 v5, v4, v1
	v_fma_f32 v3, -v0, v5, v4
	s_delay_alu instid0(VALU_DEP_1) | instskip(SKIP_1) | instid1(VALU_DEP_2)
	v_fmac_f32_e32 v5, v3, v1
	v_ashrrev_i32_e32 v3, 31, v2
	v_fma_f32 v0, -v0, v5, v4
	s_delay_alu instid0(VALU_DEP_1) | instskip(NEXT) | instid1(VALU_DEP_3)
	v_div_fmas_f32 v4, v0, v1, v5
	v_lshlrev_b64 v[0:1], 2, v[2:3]
	s_delay_alu instid0(VALU_DEP_2) | instskip(NEXT) | instid1(VALU_DEP_2)
	v_div_fixup_f32 v2, v4, v11, 1.0
	v_add_co_u32 v0, vcc_lo, s12, v0
	s_delay_alu instid0(VALU_DEP_3)
	v_add_co_ci_u32_e32 v1, vcc_lo, s13, v1, vcc_lo
.LBB232_11:                             ; =>This Inner Loop Header: Depth=1
	global_load_b32 v3, v[0:1], off
	s_add_i32 s4, s4, -1
	s_delay_alu instid0(SALU_CYCLE_1)
	s_cmp_lg_u32 s4, 0
	s_waitcnt vmcnt(0)
	v_mul_f32_e32 v3, v2, v3
	global_store_b32 v[0:1], v3, off
	v_add_co_u32 v0, vcc_lo, v0, 4
	v_add_co_ci_u32_e32 v1, vcc_lo, 0, v1, vcc_lo
	s_cbranch_scc1 .LBB232_11
.LBB232_12:
	s_nop 0
	s_sendmsg sendmsg(MSG_DEALLOC_VGPRS)
	s_endpgm
	.section	.rodata,"a",@progbits
	.p2align	6, 0x0
	.amdhsa_kernel _ZN4vllm3moe17topkGatingSoftmaxItLi4ELi4ELi8ELi8ELb1ELi2ELNS0_23SharedExpertScoringFuncE1EEEvPKT_PKbPfiPiS9_iiiiii
		.amdhsa_group_segment_fixed_size 0
		.amdhsa_private_segment_fixed_size 0
		.amdhsa_kernarg_size 72
		.amdhsa_user_sgpr_count 15
		.amdhsa_user_sgpr_dispatch_ptr 0
		.amdhsa_user_sgpr_queue_ptr 0
		.amdhsa_user_sgpr_kernarg_segment_ptr 1
		.amdhsa_user_sgpr_dispatch_id 0
		.amdhsa_user_sgpr_private_segment_size 0
		.amdhsa_wavefront_size32 1
		.amdhsa_uses_dynamic_stack 0
		.amdhsa_enable_private_segment 0
		.amdhsa_system_sgpr_workgroup_id_x 1
		.amdhsa_system_sgpr_workgroup_id_y 0
		.amdhsa_system_sgpr_workgroup_id_z 0
		.amdhsa_system_sgpr_workgroup_info 0
		.amdhsa_system_vgpr_workitem_id 1
		.amdhsa_next_free_vgpr 22
		.amdhsa_next_free_sgpr 16
		.amdhsa_reserve_vcc 1
		.amdhsa_float_round_mode_32 0
		.amdhsa_float_round_mode_16_64 0
		.amdhsa_float_denorm_mode_32 3
		.amdhsa_float_denorm_mode_16_64 3
		.amdhsa_dx10_clamp 1
		.amdhsa_ieee_mode 1
		.amdhsa_fp16_overflow 0
		.amdhsa_workgroup_processor_mode 1
		.amdhsa_memory_ordered 1
		.amdhsa_forward_progress 0
		.amdhsa_shared_vgpr_count 0
		.amdhsa_exception_fp_ieee_invalid_op 0
		.amdhsa_exception_fp_denorm_src 0
		.amdhsa_exception_fp_ieee_div_zero 0
		.amdhsa_exception_fp_ieee_overflow 0
		.amdhsa_exception_fp_ieee_underflow 0
		.amdhsa_exception_fp_ieee_inexact 0
		.amdhsa_exception_int_div_zero 0
	.end_amdhsa_kernel
	.section	.text._ZN4vllm3moe17topkGatingSoftmaxItLi4ELi4ELi8ELi8ELb1ELi2ELNS0_23SharedExpertScoringFuncE1EEEvPKT_PKbPfiPiS9_iiiiii,"axG",@progbits,_ZN4vllm3moe17topkGatingSoftmaxItLi4ELi4ELi8ELi8ELb1ELi2ELNS0_23SharedExpertScoringFuncE1EEEvPKT_PKbPfiPiS9_iiiiii,comdat
.Lfunc_end232:
	.size	_ZN4vllm3moe17topkGatingSoftmaxItLi4ELi4ELi8ELi8ELb1ELi2ELNS0_23SharedExpertScoringFuncE1EEEvPKT_PKbPfiPiS9_iiiiii, .Lfunc_end232-_ZN4vllm3moe17topkGatingSoftmaxItLi4ELi4ELi8ELi8ELb1ELi2ELNS0_23SharedExpertScoringFuncE1EEEvPKT_PKbPfiPiS9_iiiiii
                                        ; -- End function
	.section	.AMDGPU.csdata,"",@progbits
; Kernel info:
; codeLenInByte = 1804
; NumSgprs: 18
; NumVgprs: 22
; ScratchSize: 0
; MemoryBound: 0
; FloatMode: 240
; IeeeMode: 1
; LDSByteSize: 0 bytes/workgroup (compile time only)
; SGPRBlocks: 2
; VGPRBlocks: 2
; NumSGPRsForWavesPerEU: 18
; NumVGPRsForWavesPerEU: 22
; Occupancy: 16
; WaveLimiterHint : 0
; COMPUTE_PGM_RSRC2:SCRATCH_EN: 0
; COMPUTE_PGM_RSRC2:USER_SGPR: 15
; COMPUTE_PGM_RSRC2:TRAP_HANDLER: 0
; COMPUTE_PGM_RSRC2:TGID_X_EN: 1
; COMPUTE_PGM_RSRC2:TGID_Y_EN: 0
; COMPUTE_PGM_RSRC2:TGID_Z_EN: 0
; COMPUTE_PGM_RSRC2:TIDIG_COMP_CNT: 1
	.section	.text._ZN4vllm3moe17topkGatingSoftmaxItLi4ELi4ELi8ELi8ELb0ELi2ELNS0_23SharedExpertScoringFuncE1EEEvPKT_PKbPfiPiS9_iiiiii,"axG",@progbits,_ZN4vllm3moe17topkGatingSoftmaxItLi4ELi4ELi8ELi8ELb0ELi2ELNS0_23SharedExpertScoringFuncE1EEEvPKT_PKbPfiPiS9_iiiiii,comdat
	.protected	_ZN4vllm3moe17topkGatingSoftmaxItLi4ELi4ELi8ELi8ELb0ELi2ELNS0_23SharedExpertScoringFuncE1EEEvPKT_PKbPfiPiS9_iiiiii ; -- Begin function _ZN4vllm3moe17topkGatingSoftmaxItLi4ELi4ELi8ELi8ELb0ELi2ELNS0_23SharedExpertScoringFuncE1EEEvPKT_PKbPfiPiS9_iiiiii
	.globl	_ZN4vllm3moe17topkGatingSoftmaxItLi4ELi4ELi8ELi8ELb0ELi2ELNS0_23SharedExpertScoringFuncE1EEEvPKT_PKbPfiPiS9_iiiiii
	.p2align	8
	.type	_ZN4vllm3moe17topkGatingSoftmaxItLi4ELi4ELi8ELi8ELb0ELi2ELNS0_23SharedExpertScoringFuncE1EEEvPKT_PKbPfiPiS9_iiiiii,@function
_ZN4vllm3moe17topkGatingSoftmaxItLi4ELi4ELi8ELi8ELb0ELi2ELNS0_23SharedExpertScoringFuncE1EEEvPKT_PKbPfiPiS9_iiiiii: ; @_ZN4vllm3moe17topkGatingSoftmaxItLi4ELi4ELi8ELi8ELb0ELi2ELNS0_23SharedExpertScoringFuncE1EEEvPKT_PKbPfiPiS9_iiiiii
; %bb.0:
	s_load_b32 s14, s[0:1], 0x18
	v_bfe_u32 v1, v0, 10, 10
	v_and_b32_e32 v13, 0x3ff, v0
	s_lshl_b32 s16, s15, 8
	s_mov_b32 s2, exec_lo
	s_delay_alu instid0(VALU_DEP_2) | instskip(NEXT) | instid1(VALU_DEP_1)
	v_lshlrev_b32_e32 v12, 5, v1
	v_add3_u32 v15, v12, v13, s16
	s_waitcnt lgkmcnt(0)
	s_delay_alu instid0(VALU_DEP_1)
	v_cmpx_gt_i32_e64 s14, v15
	s_cbranch_execz .LBB233_12
; %bb.1:
	s_clause 0x1
	s_load_b128 s[4:7], s[0:1], 0x0
	s_load_b64 s[12:13], s[0:1], 0x10
	s_waitcnt lgkmcnt(0)
	s_cmp_eq_u64 s[6:7], 0
	s_cbranch_scc1 .LBB233_3
; %bb.2:
	v_ashrrev_i32_e32 v1, 31, v15
	v_add_co_u32 v0, vcc_lo, s6, v15
	s_delay_alu instid0(VALU_DEP_2) | instskip(SKIP_3) | instid1(VALU_DEP_1)
	v_add_co_ci_u32_e32 v1, vcc_lo, s7, v1, vcc_lo
	global_load_u8 v0, v[0:1], off
	s_waitcnt vmcnt(0)
	v_and_b32_e32 v0, 1, v0
	v_cmp_eq_u32_e32 vcc_lo, 1, v0
	s_xor_b32 s2, vcc_lo, -1
	s_delay_alu instid0(SALU_CYCLE_1)
	s_or_not1_b32 s15, s2, exec_lo
	s_branch .LBB233_4
.LBB233_3:
	s_mov_b32 s15, -1
.LBB233_4:
	s_clause 0x1
	s_load_b64 s[6:7], s[0:1], 0x40
	s_load_b128 s[8:11], s[0:1], 0x30
	s_waitcnt lgkmcnt(0)
	v_mul_lo_u32 v0, v15, s7
	s_cmp_gt_i32 s8, 0
	s_delay_alu instid0(VALU_DEP_1) | instskip(NEXT) | instid1(VALU_DEP_1)
	v_ashrrev_i32_e32 v1, 31, v0
	v_lshlrev_b64 v[0:1], 1, v[0:1]
	s_delay_alu instid0(VALU_DEP_1) | instskip(NEXT) | instid1(VALU_DEP_2)
	v_add_co_u32 v0, vcc_lo, s4, v0
	v_add_co_ci_u32_e32 v1, vcc_lo, s5, v1, vcc_lo
	global_load_b96 v[1:3], v[0:1], off
	s_waitcnt vmcnt(0)
	v_and_b32_e32 v0, 0xffff, v3
	v_lshrrev_b32_e32 v3, 16, v3
	v_lshrrev_b32_e32 v22, 16, v2
	s_delay_alu instid0(VALU_DEP_2) | instskip(NEXT) | instid1(VALU_DEP_1)
	v_cvt_f32_u32_e32 v3, v3
	v_mul_f32_e32 v5, 0xbfb8aa3b, v3
	s_delay_alu instid0(VALU_DEP_1) | instskip(SKIP_1) | instid1(VALU_DEP_2)
	v_rndne_f32_e32 v9, v5
	v_fma_f32 v8, 0xbfb8aa3b, v3, -v5
	v_sub_f32_e32 v5, v5, v9
	v_cvt_f32_u32_e32 v0, v0
	s_delay_alu instid0(VALU_DEP_3) | instskip(NEXT) | instid1(VALU_DEP_2)
	v_fmac_f32_e32 v8, 0xb2a5705f, v3
	v_mul_f32_e32 v4, 0xbfb8aa3b, v0
	v_cmp_nlt_f32_e32 vcc_lo, 0x42ce8ed0, v0
	s_delay_alu instid0(VALU_DEP_3) | instskip(NEXT) | instid1(VALU_DEP_3)
	v_add_f32_e32 v5, v5, v8
	v_fma_f32 v6, 0xbfb8aa3b, v0, -v4
	v_rndne_f32_e32 v7, v4
	s_delay_alu instid0(VALU_DEP_3) | instskip(NEXT) | instid1(VALU_DEP_2)
	v_exp_f32_e32 v5, v5
	v_fmac_f32_e32 v6, 0xb2a5705f, v0
	s_delay_alu instid0(VALU_DEP_2) | instskip(NEXT) | instid1(VALU_DEP_1)
	v_sub_f32_e32 v4, v4, v7
	v_add_f32_e32 v4, v4, v6
	v_cvt_i32_f32_e32 v6, v7
	v_cvt_i32_f32_e32 v7, v9
	s_delay_alu instid0(VALU_DEP_3)
	v_exp_f32_e32 v4, v4
	s_delay_alu instid0(TRANS32_DEP_2) | instid1(VALU_DEP_1)
	v_ldexp_f32 v5, v5, v7
	s_waitcnt_depctr 0xfff
	v_ldexp_f32 v4, v4, v6
	s_delay_alu instid0(VALU_DEP_1) | instskip(SKIP_3) | instid1(VALU_DEP_4)
	v_cndmask_b32_e32 v4, 0, v4, vcc_lo
	v_cmp_nlt_f32_e32 vcc_lo, 0x42ce8ed0, v3
	v_cndmask_b32_e32 v5, 0, v5, vcc_lo
	v_cmp_ngt_f32_e32 vcc_lo, 0xc2b17218, v0
	v_cndmask_b32_e32 v0, 0x7f800000, v4, vcc_lo
	v_cmp_ngt_f32_e32 vcc_lo, 0xc2b17218, v3
	s_delay_alu instid0(VALU_DEP_4) | instskip(NEXT) | instid1(VALU_DEP_1)
	v_cndmask_b32_e32 v3, 0x7f800000, v5, vcc_lo
	v_add_f32_e32 v6, 1.0, v3
	s_delay_alu instid0(VALU_DEP_1) | instskip(SKIP_1) | instid1(VALU_DEP_2)
	v_div_scale_f32 v14, null, v6, v6, 1.0
	v_div_scale_f32 v19, s4, 1.0, v6, 1.0
	v_rcp_f32_e32 v17, v14
	s_waitcnt_depctr 0xfff
	v_fma_f32 v8, -v14, v17, 1.0
	s_delay_alu instid0(VALU_DEP_1) | instskip(NEXT) | instid1(VALU_DEP_1)
	v_fmac_f32_e32 v17, v8, v17
	v_mul_f32_e32 v21, v19, v17
	v_add_f32_e32 v5, 1.0, v0
	v_mul_lo_u32 v0, v15, s11
	s_cselect_b32 s11, -1, 0
	s_cmp_lt_i32 s8, 1
	v_fma_f32 v23, -v14, v21, v19
	v_div_scale_f32 v9, null, v5, v5, 1.0
	v_div_scale_f32 v18, vcc_lo, 1.0, v5, 1.0
	s_delay_alu instid0(VALU_DEP_4) | instskip(NEXT) | instid1(VALU_DEP_3)
	v_add_nc_u32_e32 v3, s8, v0
	v_rcp_f32_e32 v16, v9
	v_fmac_f32_e32 v21, v23, v17
	s_delay_alu instid0(VALU_DEP_2) | instskip(SKIP_2) | instid1(VALU_DEP_1)
	v_ashrrev_i32_e32 v4, 31, v3
	s_waitcnt_depctr 0xfff
	v_fma_f32 v7, -v9, v16, 1.0
	v_fmac_f32_e32 v16, v7, v16
	v_lshrrev_b32_e32 v7, 16, v1
	s_delay_alu instid0(VALU_DEP_2) | instskip(NEXT) | instid1(VALU_DEP_2)
	v_dual_mul_f32 v20, v18, v16 :: v_dual_and_b32 v1, 0xffff, v1
	v_cvt_f32_u32_e32 v10, v7
	s_delay_alu instid0(VALU_DEP_2) | instskip(NEXT) | instid1(VALU_DEP_3)
	v_cvt_f32_u32_e32 v11, v1
	v_fma_f32 v7, -v9, v20, v18
	s_delay_alu instid0(VALU_DEP_2) | instskip(NEXT) | instid1(VALU_DEP_2)
	v_cmp_lt_f32_e64 s3, v11, v10
	v_fmac_f32_e32 v20, v7, v16
	v_cvt_f32_u32_e32 v7, v22
	v_and_b32_e32 v8, 0xffff, v2
	s_delay_alu instid0(VALU_DEP_4) | instskip(SKIP_4) | instid1(VALU_DEP_3)
	v_cndmask_b32_e64 v24, v11, v10, s3
	v_lshlrev_b64 v[1:2], 2, v[3:4]
	v_fma_f32 v3, -v9, v20, v18
	v_fma_f32 v9, -v14, v21, v19
	v_cvt_f32_u32_e32 v8, v8
	v_div_fmas_f32 v3, v3, v16, v20
	s_mov_b32 vcc_lo, s4
	s_delay_alu instid0(VALU_DEP_2) | instskip(SKIP_3) | instid1(VALU_DEP_4)
	v_cmp_lt_f32_e64 s2, v24, v8
	v_div_fmas_f32 v14, v9, v17, v21
	v_add_co_u32 v1, vcc_lo, s12, v1
	v_add_co_ci_u32_e32 v2, vcc_lo, s13, v2, vcc_lo
	v_cndmask_b32_e64 v4, v24, v8, s2
	v_div_fixup_f32 v3, v3, v5, 1.0
	s_delay_alu instid0(VALU_DEP_2)
	v_cmp_lt_f32_e32 vcc_lo, v4, v7
	v_cndmask_b32_e32 v9, v4, v7, vcc_lo
	v_div_fixup_f32 v4, v14, v6, 1.0
	v_mov_b32_e32 v14, 0
	global_store_b64 v[1:2], v[3:4], off
	s_cbranch_scc1 .LBB233_8
; %bb.5:
	v_sub_f32_e32 v14, v9, v9
	v_cndmask_b32_e64 v4, 0, 1, s3
	v_mul_lo_u32 v2, v15, s6
	v_ashrrev_i32_e32 v1, 31, v0
	s_load_b128 s[4:7], s[0:1], 0x20
	v_mul_f32_e32 v3, 0x3fb8aa3b, v14
	v_mul_lo_u32 v16, v15, s8
	v_cndmask_b32_e64 v4, v4, 2, s2
	v_lshlrev_b64 v[5:6], 2, v[0:1]
	s_delay_alu instid0(VALU_DEP_4) | instskip(SKIP_1) | instid1(VALU_DEP_4)
	v_rndne_f32_e32 v18, v3
	v_fma_f32 v19, 0x3fb8aa3b, v14, -v3
	v_cndmask_b32_e64 v21, v4, 3, vcc_lo
	v_ashrrev_i32_e32 v17, 31, v16
	s_delay_alu instid0(VALU_DEP_4) | instskip(NEXT) | instid1(VALU_DEP_4)
	v_sub_f32_e32 v20, v3, v18
	v_fmac_f32_e32 v19, 0x32a5705f, v14
	v_ashrrev_i32_e32 v3, 31, v2
	v_add_co_u32 v5, vcc_lo, s12, v5
	v_add_co_ci_u32_e32 v6, vcc_lo, s13, v6, vcc_lo
	s_delay_alu instid0(VALU_DEP_4)
	v_add_f32_e32 v1, v20, v19
	v_cmp_le_i32_e32 vcc_lo, s9, v21
	v_cmp_gt_i32_e64 s0, s10, v21
	v_subrev_nc_u32_e32 v20, s9, v21
	v_cmp_ne_u32_e64 s1, 3, v21
	v_exp_f32_e32 v19, v1
	v_lshlrev_b64 v[1:2], 2, v[2:3]
	v_lshlrev_b64 v[3:4], 2, v[16:17]
	v_cvt_i32_f32_e32 v16, v18
	s_and_b32 s0, vcc_lo, s0
	v_cndmask_b32_e64 v7, 0xff800000, v7, s1
	s_waitcnt_depctr 0xfff
	v_ldexp_f32 v18, v19, v16
	s_waitcnt lgkmcnt(0)
	v_add_co_u32 v16, vcc_lo, s4, v1
	v_add_co_ci_u32_e32 v17, vcc_lo, s5, v2, vcc_lo
	v_cmp_ngt_f32_e32 vcc_lo, 0xc2ce8ed0, v14
	v_cndmask_b32_e32 v22, 0, v18, vcc_lo
	v_add_co_u32 v18, vcc_lo, s6, v3
	v_add_co_ci_u32_e32 v19, vcc_lo, s7, v4, vcc_lo
	s_and_b32 vcc_lo, s15, s0
	s_cmp_eq_u32 s8, 1
	v_cndmask_b32_e32 v20, 4, v20, vcc_lo
	v_cmp_nlt_f32_e32 vcc_lo, 0x42b17218, v14
	v_cndmask_b32_e32 v14, 0x7f800000, v22, vcc_lo
	v_cmp_ne_u32_e32 vcc_lo, 2, v21
	global_store_b32 v[5:6], v14, off
	v_cndmask_b32_e32 v8, 0xff800000, v8, vcc_lo
	v_cmp_ne_u32_e32 vcc_lo, 1, v21
	global_store_b32 v[16:17], v20, off
	global_store_b32 v[18:19], v15, off
	v_cndmask_b32_e32 v10, 0xff800000, v10, vcc_lo
	v_cmp_ne_u32_e32 vcc_lo, 0, v21
	v_cndmask_b32_e32 v11, 0xff800000, v11, vcc_lo
	s_cbranch_scc1 .LBB233_8
; %bb.6:
	v_add_co_u32 v3, vcc_lo, v3, s6
	v_add_co_ci_u32_e32 v4, vcc_lo, s7, v4, vcc_lo
	v_add_co_u32 v15, vcc_lo, v1, s4
	v_add_co_ci_u32_e32 v16, vcc_lo, s5, v2, vcc_lo
	s_delay_alu instid0(VALU_DEP_4) | instskip(NEXT) | instid1(VALU_DEP_4)
	v_add_co_u32 v1, vcc_lo, v3, 4
	v_add_co_ci_u32_e32 v2, vcc_lo, 0, v4, vcc_lo
	s_delay_alu instid0(VALU_DEP_4) | instskip(NEXT) | instid1(VALU_DEP_4)
	v_add_co_u32 v3, vcc_lo, v15, 4
	v_add_co_ci_u32_e32 v4, vcc_lo, 0, v16, vcc_lo
	s_add_i32 s16, s16, s14
	v_add_co_u32 v5, vcc_lo, v5, 4
	v_add_co_ci_u32_e32 v6, vcc_lo, 0, v6, vcc_lo
	v_add3_u32 v12, s16, v13, v12
	s_add_i32 s2, s8, -1
.LBB233_7:                              ; =>This Inner Loop Header: Depth=1
	v_cmp_gt_f32_e32 vcc_lo, v10, v11
	s_add_i32 s2, s2, -1
	v_cndmask_b32_e32 v13, v11, v10, vcc_lo
	v_cndmask_b32_e64 v15, 0, 1, vcc_lo
	s_delay_alu instid0(VALU_DEP_2) | instskip(SKIP_1) | instid1(VALU_DEP_3)
	v_cmp_gt_f32_e32 vcc_lo, v8, v13
	v_cndmask_b32_e32 v13, v13, v8, vcc_lo
	v_cndmask_b32_e64 v15, v15, 2, vcc_lo
	s_delay_alu instid0(VALU_DEP_2) | instskip(NEXT) | instid1(VALU_DEP_2)
	v_cmp_gt_f32_e32 vcc_lo, v7, v13
	v_cndmask_b32_e64 v15, v15, 3, vcc_lo
	v_cndmask_b32_e32 v13, v13, v7, vcc_lo
	s_delay_alu instid0(VALU_DEP_2) | instskip(SKIP_4) | instid1(VALU_DEP_4)
	v_cmp_le_i32_e32 vcc_lo, s9, v15
	v_cmp_gt_i32_e64 s0, s10, v15
	v_subrev_nc_u32_e32 v17, s9, v15
	v_cmp_ne_u32_e64 s1, 3, v15
	v_sub_f32_e32 v13, v13, v9
	s_and_b32 s0, vcc_lo, s0
	s_delay_alu instid0(SALU_CYCLE_1) | instskip(NEXT) | instid1(VALU_DEP_2)
	s_and_b32 vcc_lo, s15, s0
	v_cndmask_b32_e64 v7, 0xff800000, v7, s1
	v_cndmask_b32_e32 v17, 4, v17, vcc_lo
	v_cmp_ne_u32_e64 s1, 2, v15
	s_cmp_eq_u32 s2, 0
	global_store_b32 v[3:4], v17, off
	global_store_b32 v[1:2], v12, off
	v_add_co_u32 v1, vcc_lo, v1, 4
	v_add_co_ci_u32_e32 v2, vcc_lo, 0, v2, vcc_lo
	v_add_co_u32 v3, vcc_lo, v3, 4
	v_add_co_ci_u32_e32 v4, vcc_lo, 0, v4, vcc_lo
	v_cndmask_b32_e64 v8, 0xff800000, v8, s1
	v_cmp_ne_u32_e64 s1, 1, v15
	v_cmp_ngt_f32_e32 vcc_lo, 0xc2ce8ed0, v13
	v_mul_f32_e32 v16, 0x3fb8aa3b, v13
	v_add_nc_u32_e32 v12, s14, v12
	s_delay_alu instid0(VALU_DEP_4) | instskip(SKIP_1) | instid1(VALU_DEP_4)
	v_cndmask_b32_e64 v10, 0xff800000, v10, s1
	v_cmp_ne_u32_e64 s1, 0, v15
	v_fma_f32 v15, 0x3fb8aa3b, v13, -v16
	v_rndne_f32_e32 v18, v16
	s_delay_alu instid0(VALU_DEP_3) | instskip(NEXT) | instid1(VALU_DEP_2)
	v_cndmask_b32_e64 v11, 0xff800000, v11, s1
	v_dual_fmac_f32 v15, 0x32a5705f, v13 :: v_dual_sub_f32 v16, v16, v18
	v_cvt_i32_f32_e32 v18, v18
	s_delay_alu instid0(VALU_DEP_2) | instskip(NEXT) | instid1(VALU_DEP_1)
	v_add_f32_e32 v15, v16, v15
	v_exp_f32_e32 v15, v15
	s_waitcnt_depctr 0xfff
	v_ldexp_f32 v15, v15, v18
	s_delay_alu instid0(VALU_DEP_1) | instskip(SKIP_1) | instid1(VALU_DEP_2)
	v_cndmask_b32_e32 v15, 0, v15, vcc_lo
	v_cmp_nlt_f32_e32 vcc_lo, 0x42b17218, v13
	v_cndmask_b32_e32 v13, 0x7f800000, v15, vcc_lo
	s_delay_alu instid0(VALU_DEP_1)
	v_add_f32_e32 v14, v14, v13
	global_store_b32 v[5:6], v13, off
	v_add_co_u32 v5, vcc_lo, v5, 4
	v_add_co_ci_u32_e32 v6, vcc_lo, 0, v6, vcc_lo
	s_cbranch_scc0 .LBB233_7
.LBB233_8:
	v_sub_f32_e32 v4, v7, v9
	s_delay_alu instid0(VALU_DEP_1) | instskip(NEXT) | instid1(VALU_DEP_1)
	v_dual_sub_f32 v3, v8, v9 :: v_dual_mul_f32 v8, 0x3fb8aa3b, v4
	v_dual_sub_f32 v2, v10, v9 :: v_dual_mul_f32 v7, 0x3fb8aa3b, v3
	v_sub_f32_e32 v1, v11, v9
	s_delay_alu instid0(VALU_DEP_3) | instskip(NEXT) | instid1(VALU_DEP_3)
	v_rndne_f32_e32 v17, v8
	v_mul_f32_e32 v6, 0x3fb8aa3b, v2
	s_delay_alu instid0(VALU_DEP_4) | instskip(NEXT) | instid1(VALU_DEP_4)
	v_fma_f32 v13, 0x3fb8aa3b, v3, -v7
	v_cmp_ngt_f32_e32 vcc_lo, 0xc2ce8ed0, v1
	v_rndne_f32_e32 v15, v7
	s_delay_alu instid0(VALU_DEP_4) | instskip(SKIP_2) | instid1(VALU_DEP_3)
	v_rndne_f32_e32 v12, v6
	v_mul_f32_e32 v5, 0x3fb8aa3b, v1
	v_fma_f32 v11, 0x3fb8aa3b, v2, -v6
	v_dual_fmac_f32 v13, 0x32a5705f, v3 :: v_dual_sub_f32 v6, v6, v12
	s_delay_alu instid0(VALU_DEP_3) | instskip(SKIP_1) | instid1(VALU_DEP_2)
	v_rndne_f32_e32 v10, v5
	v_fma_f32 v9, 0x3fb8aa3b, v1, -v5
	v_sub_f32_e32 v5, v5, v10
	v_fma_f32 v16, 0x3fb8aa3b, v4, -v8
	v_dual_sub_f32 v8, v8, v17 :: v_dual_fmac_f32 v11, 0x32a5705f, v2
	s_delay_alu instid0(VALU_DEP_2) | instskip(NEXT) | instid1(VALU_DEP_2)
	v_dual_fmac_f32 v16, 0x32a5705f, v4 :: v_dual_fmac_f32 v9, 0x32a5705f, v1
	v_add_f32_e32 v6, v6, v11
	v_cvt_i32_f32_e32 v11, v15
	s_delay_alu instid0(VALU_DEP_3) | instskip(NEXT) | instid1(VALU_DEP_3)
	v_dual_add_f32 v8, v8, v16 :: v_dual_add_f32 v5, v5, v9
	v_exp_f32_e32 v6, v6
	v_cvt_i32_f32_e32 v9, v10
	v_cvt_i32_f32_e32 v10, v12
	s_delay_alu instid0(VALU_DEP_3)
	v_exp_f32_e32 v8, v8
	v_exp_f32_e32 v5, v5
	s_delay_alu instid0(TRANS32_DEP_3) | instid1(VALU_DEP_1)
	v_ldexp_f32 v6, v6, v10
	s_waitcnt_depctr 0xfff
	v_ldexp_f32 v5, v5, v9
	v_cvt_i32_f32_e32 v9, v17
	s_delay_alu instid0(VALU_DEP_2) | instskip(SKIP_3) | instid1(VALU_DEP_4)
	v_cndmask_b32_e32 v5, 0, v5, vcc_lo
	v_cmp_ngt_f32_e32 vcc_lo, 0xc2ce8ed0, v2
	v_dual_sub_f32 v7, v7, v15 :: v_dual_cndmask_b32 v6, 0, v6
	v_cmp_nlt_f32_e32 vcc_lo, 0x42b17218, v1
	v_cndmask_b32_e32 v1, 0x7f800000, v5, vcc_lo
	v_cmp_nlt_f32_e32 vcc_lo, 0x42b17218, v2
	s_delay_alu instid0(VALU_DEP_4) | instskip(NEXT) | instid1(VALU_DEP_1)
	v_dual_add_f32 v7, v7, v13 :: v_dual_cndmask_b32 v2, 0x7f800000, v6
	v_exp_f32_e32 v7, v7
	v_cmp_ngt_f32_e32 vcc_lo, 0xc2ce8ed0, v3
	v_ldexp_f32 v6, v8, v9
	s_waitcnt_depctr 0xfff
	v_ldexp_f32 v7, v7, v11
	s_delay_alu instid0(VALU_DEP_1) | instskip(SKIP_1) | instid1(VALU_DEP_2)
	v_cndmask_b32_e32 v5, 0, v7, vcc_lo
	v_cmp_nlt_f32_e32 vcc_lo, 0x42b17218, v3
	v_dual_add_f32 v1, v1, v2 :: v_dual_cndmask_b32 v2, 0x7f800000, v5
	v_cmp_ngt_f32_e32 vcc_lo, 0xc2ce8ed0, v4
	v_cndmask_b32_e32 v3, 0, v6, vcc_lo
	v_cmp_nlt_f32_e32 vcc_lo, 0x42b17218, v4
	s_delay_alu instid0(VALU_DEP_2) | instskip(NEXT) | instid1(VALU_DEP_1)
	v_dual_add_f32 v1, v1, v2 :: v_dual_cndmask_b32 v2, 0x7f800000, v3
	v_add_f32_e32 v1, v1, v2
	s_delay_alu instid0(VALU_DEP_1) | instskip(NEXT) | instid1(VALU_DEP_1)
	v_add_f32_e32 v2, v14, v1
	v_cmp_neq_f32_e32 vcc_lo, 0, v2
	s_and_b32 exec_lo, exec_lo, vcc_lo
	s_cbranch_execz .LBB233_12
; %bb.9:
	s_and_not1_b32 vcc_lo, exec_lo, s11
	s_cbranch_vccnz .LBB233_12
; %bb.10:
	v_div_scale_f32 v1, null, v2, v2, 1.0
	v_div_scale_f32 v5, vcc_lo, 1.0, v2, 1.0
	s_delay_alu instid0(VALU_DEP_2) | instskip(SKIP_2) | instid1(VALU_DEP_1)
	v_rcp_f32_e32 v3, v1
	s_waitcnt_depctr 0xfff
	v_fma_f32 v4, -v1, v3, 1.0
	v_fmac_f32_e32 v3, v4, v3
	s_delay_alu instid0(VALU_DEP_1) | instskip(NEXT) | instid1(VALU_DEP_1)
	v_mul_f32_e32 v4, v5, v3
	v_fma_f32 v6, -v1, v4, v5
	s_delay_alu instid0(VALU_DEP_1) | instskip(NEXT) | instid1(VALU_DEP_1)
	v_fmac_f32_e32 v4, v6, v3
	v_fma_f32 v5, -v1, v4, v5
	v_ashrrev_i32_e32 v1, 31, v0
	s_delay_alu instid0(VALU_DEP_2) | instskip(NEXT) | instid1(VALU_DEP_2)
	v_div_fmas_f32 v3, v5, v3, v4
	v_lshlrev_b64 v[0:1], 2, v[0:1]
	s_delay_alu instid0(VALU_DEP_2) | instskip(NEXT) | instid1(VALU_DEP_2)
	v_div_fixup_f32 v2, v3, v2, 1.0
	v_add_co_u32 v0, vcc_lo, s12, v0
	s_delay_alu instid0(VALU_DEP_3)
	v_add_co_ci_u32_e32 v1, vcc_lo, s13, v1, vcc_lo
.LBB233_11:                             ; =>This Inner Loop Header: Depth=1
	global_load_b32 v3, v[0:1], off
	s_add_i32 s8, s8, -1
	s_delay_alu instid0(SALU_CYCLE_1)
	s_cmp_lg_u32 s8, 0
	s_waitcnt vmcnt(0)
	v_mul_f32_e32 v3, v2, v3
	global_store_b32 v[0:1], v3, off
	v_add_co_u32 v0, vcc_lo, v0, 4
	v_add_co_ci_u32_e32 v1, vcc_lo, 0, v1, vcc_lo
	s_cbranch_scc1 .LBB233_11
.LBB233_12:
	s_nop 0
	s_sendmsg sendmsg(MSG_DEALLOC_VGPRS)
	s_endpgm
	.section	.rodata,"a",@progbits
	.p2align	6, 0x0
	.amdhsa_kernel _ZN4vllm3moe17topkGatingSoftmaxItLi4ELi4ELi8ELi8ELb0ELi2ELNS0_23SharedExpertScoringFuncE1EEEvPKT_PKbPfiPiS9_iiiiii
		.amdhsa_group_segment_fixed_size 0
		.amdhsa_private_segment_fixed_size 0
		.amdhsa_kernarg_size 72
		.amdhsa_user_sgpr_count 15
		.amdhsa_user_sgpr_dispatch_ptr 0
		.amdhsa_user_sgpr_queue_ptr 0
		.amdhsa_user_sgpr_kernarg_segment_ptr 1
		.amdhsa_user_sgpr_dispatch_id 0
		.amdhsa_user_sgpr_private_segment_size 0
		.amdhsa_wavefront_size32 1
		.amdhsa_uses_dynamic_stack 0
		.amdhsa_enable_private_segment 0
		.amdhsa_system_sgpr_workgroup_id_x 1
		.amdhsa_system_sgpr_workgroup_id_y 0
		.amdhsa_system_sgpr_workgroup_id_z 0
		.amdhsa_system_sgpr_workgroup_info 0
		.amdhsa_system_vgpr_workitem_id 1
		.amdhsa_next_free_vgpr 25
		.amdhsa_next_free_sgpr 17
		.amdhsa_reserve_vcc 1
		.amdhsa_float_round_mode_32 0
		.amdhsa_float_round_mode_16_64 0
		.amdhsa_float_denorm_mode_32 3
		.amdhsa_float_denorm_mode_16_64 3
		.amdhsa_dx10_clamp 1
		.amdhsa_ieee_mode 1
		.amdhsa_fp16_overflow 0
		.amdhsa_workgroup_processor_mode 1
		.amdhsa_memory_ordered 1
		.amdhsa_forward_progress 0
		.amdhsa_shared_vgpr_count 0
		.amdhsa_exception_fp_ieee_invalid_op 0
		.amdhsa_exception_fp_denorm_src 0
		.amdhsa_exception_fp_ieee_div_zero 0
		.amdhsa_exception_fp_ieee_overflow 0
		.amdhsa_exception_fp_ieee_underflow 0
		.amdhsa_exception_fp_ieee_inexact 0
		.amdhsa_exception_int_div_zero 0
	.end_amdhsa_kernel
	.section	.text._ZN4vllm3moe17topkGatingSoftmaxItLi4ELi4ELi8ELi8ELb0ELi2ELNS0_23SharedExpertScoringFuncE1EEEvPKT_PKbPfiPiS9_iiiiii,"axG",@progbits,_ZN4vllm3moe17topkGatingSoftmaxItLi4ELi4ELi8ELi8ELb0ELi2ELNS0_23SharedExpertScoringFuncE1EEEvPKT_PKbPfiPiS9_iiiiii,comdat
.Lfunc_end233:
	.size	_ZN4vllm3moe17topkGatingSoftmaxItLi4ELi4ELi8ELi8ELb0ELi2ELNS0_23SharedExpertScoringFuncE1EEEvPKT_PKbPfiPiS9_iiiiii, .Lfunc_end233-_ZN4vllm3moe17topkGatingSoftmaxItLi4ELi4ELi8ELi8ELb0ELi2ELNS0_23SharedExpertScoringFuncE1EEEvPKT_PKbPfiPiS9_iiiiii
                                        ; -- End function
	.section	.AMDGPU.csdata,"",@progbits
; Kernel info:
; codeLenInByte = 2244
; NumSgprs: 19
; NumVgprs: 25
; ScratchSize: 0
; MemoryBound: 0
; FloatMode: 240
; IeeeMode: 1
; LDSByteSize: 0 bytes/workgroup (compile time only)
; SGPRBlocks: 2
; VGPRBlocks: 3
; NumSGPRsForWavesPerEU: 19
; NumVGPRsForWavesPerEU: 25
; Occupancy: 16
; WaveLimiterHint : 0
; COMPUTE_PGM_RSRC2:SCRATCH_EN: 0
; COMPUTE_PGM_RSRC2:USER_SGPR: 15
; COMPUTE_PGM_RSRC2:TRAP_HANDLER: 0
; COMPUTE_PGM_RSRC2:TGID_X_EN: 1
; COMPUTE_PGM_RSRC2:TGID_Y_EN: 0
; COMPUTE_PGM_RSRC2:TGID_Z_EN: 0
; COMPUTE_PGM_RSRC2:TIDIG_COMP_CNT: 1
	.section	.text._ZN4vllm3moe17topkGatingSoftmaxItLi4ELi4ELi8ELi8ELb1ELi4ELNS0_23SharedExpertScoringFuncE1EEEvPKT_PKbPfiPiS9_iiiiii,"axG",@progbits,_ZN4vllm3moe17topkGatingSoftmaxItLi4ELi4ELi8ELi8ELb1ELi4ELNS0_23SharedExpertScoringFuncE1EEEvPKT_PKbPfiPiS9_iiiiii,comdat
	.protected	_ZN4vllm3moe17topkGatingSoftmaxItLi4ELi4ELi8ELi8ELb1ELi4ELNS0_23SharedExpertScoringFuncE1EEEvPKT_PKbPfiPiS9_iiiiii ; -- Begin function _ZN4vllm3moe17topkGatingSoftmaxItLi4ELi4ELi8ELi8ELb1ELi4ELNS0_23SharedExpertScoringFuncE1EEEvPKT_PKbPfiPiS9_iiiiii
	.globl	_ZN4vllm3moe17topkGatingSoftmaxItLi4ELi4ELi8ELi8ELb1ELi4ELNS0_23SharedExpertScoringFuncE1EEEvPKT_PKbPfiPiS9_iiiiii
	.p2align	8
	.type	_ZN4vllm3moe17topkGatingSoftmaxItLi4ELi4ELi8ELi8ELb1ELi4ELNS0_23SharedExpertScoringFuncE1EEEvPKT_PKbPfiPiS9_iiiiii,@function
_ZN4vllm3moe17topkGatingSoftmaxItLi4ELi4ELi8ELi8ELb1ELi4ELNS0_23SharedExpertScoringFuncE1EEEvPKT_PKbPfiPiS9_iiiiii: ; @_ZN4vllm3moe17topkGatingSoftmaxItLi4ELi4ELi8ELi8ELb1ELi4ELNS0_23SharedExpertScoringFuncE1EEEvPKT_PKbPfiPiS9_iiiiii
; %bb.0:
	s_load_b32 s14, s[0:1], 0x18
	v_bfe_u32 v1, v0, 10, 10
	v_and_b32_e32 v8, 0x3ff, v0
	s_lshl_b32 s16, s15, 8
	s_mov_b32 s2, exec_lo
	s_delay_alu instid0(VALU_DEP_2) | instskip(NEXT) | instid1(VALU_DEP_1)
	v_lshlrev_b32_e32 v7, 5, v1
	v_add3_u32 v9, v7, v8, s16
	s_waitcnt lgkmcnt(0)
	s_delay_alu instid0(VALU_DEP_1)
	v_cmpx_gt_i32_e64 s14, v9
	s_cbranch_execz .LBB234_12
; %bb.1:
	s_clause 0x1
	s_load_b128 s[4:7], s[0:1], 0x0
	s_load_b64 s[12:13], s[0:1], 0x10
	s_waitcnt lgkmcnt(0)
	s_cmp_eq_u64 s[6:7], 0
	s_cbranch_scc1 .LBB234_3
; %bb.2:
	v_ashrrev_i32_e32 v1, 31, v9
	v_add_co_u32 v0, vcc_lo, s6, v9
	s_delay_alu instid0(VALU_DEP_2) | instskip(SKIP_3) | instid1(VALU_DEP_1)
	v_add_co_ci_u32_e32 v1, vcc_lo, s7, v1, vcc_lo
	global_load_u8 v0, v[0:1], off
	s_waitcnt vmcnt(0)
	v_and_b32_e32 v0, 1, v0
	v_cmp_eq_u32_e32 vcc_lo, 1, v0
	s_xor_b32 s2, vcc_lo, -1
	s_delay_alu instid0(SALU_CYCLE_1)
	s_or_not1_b32 s15, s2, exec_lo
	s_branch .LBB234_4
.LBB234_3:
	s_mov_b32 s15, -1
.LBB234_4:
	s_clause 0x1
	s_load_b64 s[6:7], s[0:1], 0x40
	s_load_b128 s[8:11], s[0:1], 0x30
	s_waitcnt lgkmcnt(0)
	v_mul_lo_u32 v0, v9, s7
	s_cmp_gt_i32 s8, 0
	s_delay_alu instid0(VALU_DEP_1) | instskip(NEXT) | instid1(VALU_DEP_1)
	v_ashrrev_i32_e32 v1, 31, v0
	v_lshlrev_b64 v[0:1], 1, v[0:1]
	s_delay_alu instid0(VALU_DEP_1) | instskip(NEXT) | instid1(VALU_DEP_2)
	v_add_co_u32 v0, vcc_lo, s4, v0
	v_add_co_ci_u32_e32 v1, vcc_lo, s5, v1, vcc_lo
	global_load_b128 v[0:3], v[0:1], off
	s_waitcnt vmcnt(0)
	v_and_b32_e32 v5, 0xffff, v3
	v_lshrrev_b32_e32 v3, 16, v3
	s_delay_alu instid0(VALU_DEP_2) | instskip(NEXT) | instid1(VALU_DEP_2)
	v_cvt_f32_u32_e32 v5, v5
	v_cvt_f32_u32_e32 v3, v3
	s_delay_alu instid0(VALU_DEP_1) | instskip(NEXT) | instid1(VALU_DEP_1)
	v_dual_mul_f32 v11, 0xbfb8aa3b, v5 :: v_dual_mul_f32 v12, 0xbfb8aa3b, v3
	v_fma_f32 v17, 0xbfb8aa3b, v5, -v11
	v_rndne_f32_e32 v18, v11
	s_delay_alu instid0(VALU_DEP_3) | instskip(SKIP_1) | instid1(VALU_DEP_4)
	v_rndne_f32_e32 v20, v12
	v_fma_f32 v19, 0xbfb8aa3b, v3, -v12
	v_fmac_f32_e32 v17, 0xb2a5705f, v5
	s_delay_alu instid0(VALU_DEP_3) | instskip(SKIP_2) | instid1(VALU_DEP_3)
	v_dual_sub_f32 v11, v11, v18 :: v_dual_sub_f32 v12, v12, v20
	v_and_b32_e32 v4, 0xffff, v2
	v_lshrrev_b32_e32 v2, 16, v2
	v_add_f32_e32 v11, v11, v17
	s_delay_alu instid0(VALU_DEP_3) | instskip(NEXT) | instid1(VALU_DEP_3)
	v_cvt_f32_u32_e32 v4, v4
	v_cvt_f32_u32_e32 v2, v2
	s_delay_alu instid0(VALU_DEP_3) | instskip(NEXT) | instid1(VALU_DEP_2)
	v_exp_f32_e32 v11, v11
	v_cmp_nlt_f32_e32 vcc_lo, 0x42ce8ed0, v4
	s_delay_alu instid0(VALU_DEP_2) | instskip(SKIP_1) | instid1(VALU_DEP_2)
	v_mul_f32_e32 v10, 0xbfb8aa3b, v2
	v_fmac_f32_e32 v19, 0xb2a5705f, v3
	v_fma_f32 v15, 0xbfb8aa3b, v2, -v10
	v_rndne_f32_e32 v16, v10
	s_delay_alu instid0(VALU_DEP_2) | instskip(NEXT) | instid1(VALU_DEP_2)
	v_dual_add_f32 v12, v12, v19 :: v_dual_fmac_f32 v15, 0xb2a5705f, v2
	v_sub_f32_e32 v10, v10, v16
	s_delay_alu instid0(VALU_DEP_2) | instskip(NEXT) | instid1(VALU_DEP_1)
	v_exp_f32_e32 v12, v12
	v_add_f32_e32 v10, v10, v15
	v_cvt_i32_f32_e32 v15, v18
	s_delay_alu instid0(VALU_DEP_2) | instskip(NEXT) | instid1(VALU_DEP_1)
	v_exp_f32_e32 v10, v10
	v_ldexp_f32 v11, v11, v15
	v_mul_f32_e32 v6, 0xbfb8aa3b, v4
	s_delay_alu instid0(VALU_DEP_1) | instskip(SKIP_1) | instid1(VALU_DEP_1)
	v_fma_f32 v13, 0xbfb8aa3b, v4, -v6
	v_rndne_f32_e32 v14, v6
	v_dual_fmac_f32 v13, 0xb2a5705f, v4 :: v_dual_sub_f32 v6, v6, v14
	s_delay_alu instid0(VALU_DEP_1) | instskip(SKIP_3) | instid1(VALU_DEP_4)
	v_add_f32_e32 v6, v6, v13
	v_cvt_i32_f32_e32 v13, v14
	v_cvt_i32_f32_e32 v14, v16
	v_cvt_i32_f32_e32 v16, v20
	v_exp_f32_e32 v6, v6
	s_delay_alu instid0(VALU_DEP_2) | instskip(NEXT) | instid1(VALU_DEP_2)
	v_ldexp_f32 v10, v10, v14
	v_ldexp_f32 v12, v12, v16
	s_waitcnt_depctr 0xfff
	v_ldexp_f32 v6, v6, v13
	s_delay_alu instid0(VALU_DEP_1)
	v_cndmask_b32_e32 v6, 0, v6, vcc_lo
	v_cmp_nlt_f32_e32 vcc_lo, 0x42ce8ed0, v2
	v_cndmask_b32_e32 v10, 0, v10, vcc_lo
	v_cmp_nlt_f32_e32 vcc_lo, 0x42ce8ed0, v5
	;; [unrolled: 2-line block ×3, first 2 shown]
	v_cndmask_b32_e32 v12, 0, v12, vcc_lo
	v_cmp_ngt_f32_e32 vcc_lo, 0xc2b17218, v4
	v_cndmask_b32_e32 v4, 0x7f800000, v6, vcc_lo
	v_cmp_ngt_f32_e32 vcc_lo, 0xc2b17218, v2
	s_delay_alu instid0(VALU_DEP_2) | instskip(SKIP_2) | instid1(VALU_DEP_2)
	v_add_f32_e32 v6, 1.0, v4
	v_cndmask_b32_e32 v2, 0x7f800000, v10, vcc_lo
	v_cmp_ngt_f32_e32 vcc_lo, 0xc2b17218, v5
	v_dual_add_f32 v10, 1.0, v2 :: v_dual_cndmask_b32 v5, 0x7f800000, v11
	v_cmp_ngt_f32_e32 vcc_lo, 0xc2b17218, v3
	v_mul_lo_u32 v2, v9, s11
	s_delay_alu instid0(VALU_DEP_3) | instskip(NEXT) | instid1(VALU_DEP_4)
	v_div_scale_f32 v13, null, v10, v10, 1.0
	v_add_f32_e32 v5, 1.0, v5
	s_delay_alu instid0(VALU_DEP_2) | instskip(NEXT) | instid1(VALU_DEP_1)
	v_rcp_f32_e32 v17, v13
	v_div_scale_f32 v14, null, v5, v5, 1.0
	v_div_scale_f32 v22, s3, 1.0, v5, 1.0
	s_delay_alu instid0(VALU_DEP_2) | instskip(SKIP_2) | instid1(VALU_DEP_1)
	v_rcp_f32_e32 v18, v14
	s_waitcnt_depctr 0xfff
	v_fma_f32 v4, -v13, v17, 1.0
	v_fmac_f32_e32 v17, v4, v17
	v_cndmask_b32_e32 v3, 0x7f800000, v12, vcc_lo
	v_div_scale_f32 v12, null, v6, v6, 1.0
	v_div_scale_f32 v20, vcc_lo, 1.0, v6, 1.0
	s_delay_alu instid0(VALU_DEP_3) | instskip(NEXT) | instid1(VALU_DEP_3)
	v_add_f32_e32 v11, 1.0, v3
	v_rcp_f32_e32 v16, v12
	v_fma_f32 v23, -v14, v18, 1.0
	s_delay_alu instid0(VALU_DEP_2) | instskip(SKIP_1) | instid1(VALU_DEP_2)
	v_div_scale_f32 v15, null, v11, v11, 1.0
	v_div_scale_f32 v25, s4, 1.0, v11, 1.0
	v_rcp_f32_e32 v19, v15
	s_waitcnt_depctr 0xfff
	v_fma_f32 v3, -v12, v16, 1.0
	s_delay_alu instid0(VALU_DEP_1) | instskip(SKIP_2) | instid1(VALU_DEP_3)
	v_dual_fmac_f32 v16, v3, v16 :: v_dual_add_nc_u32 v3, s8, v2
	v_fmac_f32_e32 v18, v23, v18
	v_fma_f32 v24, -v15, v19, 1.0
	v_mul_f32_e32 v23, v20, v16
	s_delay_alu instid0(VALU_DEP_4) | instskip(NEXT) | instid1(VALU_DEP_3)
	v_ashrrev_i32_e32 v4, 31, v3
	v_fmac_f32_e32 v19, v24, v19
	s_delay_alu instid0(VALU_DEP_3) | instskip(NEXT) | instid1(VALU_DEP_3)
	v_fma_f32 v28, -v12, v23, v20
	v_lshlrev_b64 v[3:4], 2, v[3:4]
	s_delay_alu instid0(VALU_DEP_3) | instskip(NEXT) | instid1(VALU_DEP_3)
	v_mul_f32_e32 v27, v25, v19
	v_fmac_f32_e32 v23, v28, v16
	v_div_scale_f32 v21, s2, 1.0, v10, 1.0
	v_mul_f32_e32 v26, v22, v18
	s_delay_alu instid0(VALU_DEP_4) | instskip(NEXT) | instid1(VALU_DEP_4)
	v_fma_f32 v31, -v15, v27, v25
	v_fma_f32 v12, -v12, v23, v20
	s_delay_alu instid0(VALU_DEP_4) | instskip(NEXT) | instid1(VALU_DEP_4)
	v_mul_f32_e32 v24, v21, v17
	v_fma_f32 v30, -v14, v26, v22
	s_delay_alu instid0(VALU_DEP_4) | instskip(NEXT) | instid1(VALU_DEP_4)
	v_fmac_f32_e32 v27, v31, v19
	v_div_fmas_f32 v16, v12, v16, v23
	s_delay_alu instid0(VALU_DEP_4)
	v_fma_f32 v29, -v13, v24, v21
	s_mov_b32 vcc_lo, s2
	v_fmac_f32_e32 v26, v30, v18
	v_fma_f32 v15, -v15, v27, v25
	s_cselect_b32 s2, -1, 0
	v_fmac_f32_e32 v24, v29, v17
	s_cmp_lt_i32 s8, 1
	v_fma_f32 v14, -v14, v26, v22
	s_delay_alu instid0(VALU_DEP_2) | instskip(NEXT) | instid1(VALU_DEP_1)
	v_fma_f32 v13, -v13, v24, v21
	v_div_fmas_f32 v17, v13, v17, v24
	s_mov_b32 vcc_lo, s3
	s_delay_alu instid0(VALU_DEP_3)
	v_div_fmas_f32 v14, v14, v18, v26
	s_mov_b32 vcc_lo, s4
	v_div_fmas_f32 v15, v15, v19, v27
	v_add_co_u32 v12, vcc_lo, s12, v3
	v_add_co_ci_u32_e32 v13, vcc_lo, s13, v4, vcc_lo
	v_div_fixup_f32 v3, v16, v6, 1.0
	v_div_fixup_f32 v4, v17, v10, 1.0
	;; [unrolled: 1-line block ×4, first 2 shown]
	v_mov_b32_e32 v11, 0
	global_store_b128 v[12:13], v[3:6], off
	s_cbranch_scc1 .LBB234_8
; %bb.5:
	v_lshrrev_b32_e32 v3, 16, v0
	v_mul_lo_u32 v17, v9, s8
	s_delay_alu instid0(VALU_DEP_2) | instskip(SKIP_1) | instid1(VALU_DEP_3)
	v_cvt_f32_u32_e32 v13, v3
	v_and_b32_e32 v0, 0xffff, v0
	v_ashrrev_i32_e32 v18, 31, v17
	s_delay_alu instid0(VALU_DEP_2) | instskip(NEXT) | instid1(VALU_DEP_1)
	v_cvt_f32_u32_e32 v14, v0
	v_cmp_lt_f32_e32 vcc_lo, v14, v13
	v_cndmask_b32_e32 v3, v14, v13, vcc_lo
	v_and_b32_e32 v0, 0xffff, v1
	v_lshrrev_b32_e32 v1, 16, v1
	s_delay_alu instid0(VALU_DEP_2) | instskip(SKIP_1) | instid1(VALU_DEP_3)
	v_cvt_f32_u32_e32 v12, v0
	v_cndmask_b32_e64 v0, 0, 1, vcc_lo
	v_cvt_f32_u32_e32 v16, v1
	s_delay_alu instid0(VALU_DEP_3) | instskip(SKIP_1) | instid1(VALU_DEP_4)
	v_cmp_lt_f32_e32 vcc_lo, v3, v12
	v_cndmask_b32_e32 v1, v3, v12, vcc_lo
	v_cndmask_b32_e64 v0, v0, 2, vcc_lo
	v_ashrrev_i32_e32 v3, 31, v2
	s_delay_alu instid0(VALU_DEP_3) | instskip(SKIP_1) | instid1(VALU_DEP_4)
	v_cmp_lt_f32_e32 vcc_lo, v1, v16
	v_cndmask_b32_e32 v10, v1, v16, vcc_lo
	v_cndmask_b32_e64 v15, v0, 3, vcc_lo
	s_delay_alu instid0(VALU_DEP_2) | instskip(NEXT) | instid1(VALU_DEP_1)
	v_sub_f32_e32 v11, v10, v10
	v_mul_f32_e32 v0, 0x3fb8aa3b, v11
	s_delay_alu instid0(VALU_DEP_1) | instskip(NEXT) | instid1(VALU_DEP_1)
	v_rndne_f32_e32 v5, v0
	v_sub_f32_e32 v4, v0, v5
	v_fma_f32 v1, 0x3fb8aa3b, v11, -v0
	v_mul_lo_u32 v0, v9, s6
	s_load_b128 s[4:7], s[0:1], 0x20
	v_cvt_i32_f32_e32 v20, v5
	v_cmp_gt_i32_e64 s0, s10, v15
	v_fmac_f32_e32 v1, 0x32a5705f, v11
	s_delay_alu instid0(VALU_DEP_1) | instskip(SKIP_2) | instid1(VALU_DEP_3)
	v_add_f32_e32 v6, v4, v1
	v_lshlrev_b64 v[3:4], 2, v[2:3]
	v_ashrrev_i32_e32 v1, 31, v0
	v_exp_f32_e32 v19, v6
	s_delay_alu instid0(VALU_DEP_2) | instskip(NEXT) | instid1(VALU_DEP_3)
	v_add_co_u32 v5, vcc_lo, s12, v3
	v_add_co_ci_u32_e32 v6, vcc_lo, s13, v4, vcc_lo
	v_cmp_le_i32_e32 vcc_lo, s9, v15
	v_lshlrev_b64 v[0:1], 2, v[0:1]
	v_lshlrev_b64 v[3:4], 2, v[17:18]
	s_waitcnt_depctr 0xfff
	v_ldexp_f32 v19, v19, v20
	s_and_b32 s0, vcc_lo, s0
	v_cmp_ngt_f32_e32 vcc_lo, 0xc2ce8ed0, v11
	v_subrev_nc_u32_e32 v20, s9, v15
	s_delay_alu instid0(VALU_DEP_3)
	v_cndmask_b32_e32 v19, 0, v19, vcc_lo
	s_waitcnt lgkmcnt(0)
	v_add_co_u32 v17, vcc_lo, s4, v0
	v_add_co_ci_u32_e32 v18, vcc_lo, s5, v1, vcc_lo
	s_and_b32 vcc_lo, s15, s0
	s_cmp_eq_u32 s8, 1
	v_cndmask_b32_e32 v21, 4, v20, vcc_lo
	v_cmp_nlt_f32_e32 vcc_lo, 0x42b17218, v11
	v_cndmask_b32_e32 v11, 0x7f800000, v19, vcc_lo
	v_add_co_u32 v19, vcc_lo, s6, v3
	v_add_co_ci_u32_e32 v20, vcc_lo, s7, v4, vcc_lo
	global_store_b32 v[17:18], v21, off
	global_store_b32 v[5:6], v11, off
	;; [unrolled: 1-line block ×3, first 2 shown]
	s_cbranch_scc1 .LBB234_8
; %bb.6:
	v_cmp_ne_u32_e32 vcc_lo, 3, v15
	s_add_i32 s16, s16, s14
	s_add_i32 s3, s8, -1
	v_add3_u32 v7, s16, v8, v7
	v_cndmask_b32_e32 v9, 0xff800000, v16, vcc_lo
	v_cmp_ne_u32_e32 vcc_lo, 2, v15
	v_cndmask_b32_e32 v12, 0xff800000, v12, vcc_lo
	v_cmp_ne_u32_e32 vcc_lo, 1, v15
	;; [unrolled: 2-line block ×3, first 2 shown]
	v_cndmask_b32_e32 v14, 0xff800000, v14, vcc_lo
	v_add_co_u32 v3, vcc_lo, v3, s6
	v_add_co_ci_u32_e32 v4, vcc_lo, s7, v4, vcc_lo
	v_add_co_u32 v15, vcc_lo, v0, s4
	v_add_co_ci_u32_e32 v16, vcc_lo, s5, v1, vcc_lo
	s_delay_alu instid0(VALU_DEP_4) | instskip(NEXT) | instid1(VALU_DEP_4)
	v_add_co_u32 v0, vcc_lo, v3, 4
	v_add_co_ci_u32_e32 v1, vcc_lo, 0, v4, vcc_lo
	s_delay_alu instid0(VALU_DEP_4) | instskip(NEXT) | instid1(VALU_DEP_4)
	v_add_co_u32 v3, vcc_lo, v15, 4
	v_add_co_ci_u32_e32 v4, vcc_lo, 0, v16, vcc_lo
	v_add_co_u32 v5, vcc_lo, v5, 4
	v_add_co_ci_u32_e32 v6, vcc_lo, 0, v6, vcc_lo
.LBB234_7:                              ; =>This Inner Loop Header: Depth=1
	v_cmp_gt_f32_e32 vcc_lo, v13, v14
	s_add_i32 s3, s3, -1
	v_cndmask_b32_e32 v8, v14, v13, vcc_lo
	v_cndmask_b32_e64 v15, 0, 1, vcc_lo
	s_delay_alu instid0(VALU_DEP_2) | instskip(SKIP_1) | instid1(VALU_DEP_3)
	v_cmp_gt_f32_e32 vcc_lo, v12, v8
	v_cndmask_b32_e32 v8, v8, v12, vcc_lo
	v_cndmask_b32_e64 v15, v15, 2, vcc_lo
	s_delay_alu instid0(VALU_DEP_2) | instskip(NEXT) | instid1(VALU_DEP_2)
	v_cmp_gt_f32_e32 vcc_lo, v9, v8
	v_cndmask_b32_e64 v15, v15, 3, vcc_lo
	v_cndmask_b32_e32 v8, v8, v9, vcc_lo
	s_delay_alu instid0(VALU_DEP_2) | instskip(SKIP_3) | instid1(VALU_DEP_3)
	v_cmp_le_i32_e32 vcc_lo, s9, v15
	v_cmp_gt_i32_e64 s0, s10, v15
	v_subrev_nc_u32_e32 v17, s9, v15
	v_cmp_ne_u32_e64 s1, 3, v15
	s_and_b32 s0, vcc_lo, s0
	s_delay_alu instid0(SALU_CYCLE_1) | instskip(NEXT) | instid1(VALU_DEP_1)
	s_and_b32 vcc_lo, s15, s0
	v_cndmask_b32_e64 v9, 0xff800000, v9, s1
	v_cndmask_b32_e32 v17, 4, v17, vcc_lo
	v_cmp_ne_u32_e64 s1, 2, v15
	s_cmp_eq_u32 s3, 0
	global_store_b32 v[3:4], v17, off
	global_store_b32 v[0:1], v7, off
	v_dual_sub_f32 v8, v8, v10 :: v_dual_add_nc_u32 v7, s14, v7
	v_cndmask_b32_e64 v12, 0xff800000, v12, s1
	v_cmp_ne_u32_e64 s1, 1, v15
	v_add_co_u32 v0, vcc_lo, v0, 4
	s_delay_alu instid0(VALU_DEP_4) | instskip(SKIP_1) | instid1(VALU_DEP_4)
	v_mul_f32_e32 v16, 0x3fb8aa3b, v8
	v_add_co_ci_u32_e32 v1, vcc_lo, 0, v1, vcc_lo
	v_cndmask_b32_e64 v13, 0xff800000, v13, s1
	v_cmp_ne_u32_e64 s1, 0, v15
	s_delay_alu instid0(VALU_DEP_4) | instskip(SKIP_3) | instid1(VALU_DEP_3)
	v_fma_f32 v15, 0x3fb8aa3b, v8, -v16
	v_rndne_f32_e32 v18, v16
	v_add_co_u32 v3, vcc_lo, v3, 4
	v_add_co_ci_u32_e32 v4, vcc_lo, 0, v4, vcc_lo
	v_dual_fmac_f32 v15, 0x32a5705f, v8 :: v_dual_sub_f32 v16, v16, v18
	v_cvt_i32_f32_e32 v18, v18
	v_cmp_ngt_f32_e32 vcc_lo, 0xc2ce8ed0, v8
	v_cndmask_b32_e64 v14, 0xff800000, v14, s1
	s_delay_alu instid0(VALU_DEP_4) | instskip(NEXT) | instid1(VALU_DEP_1)
	v_add_f32_e32 v15, v16, v15
	v_exp_f32_e32 v15, v15
	s_waitcnt_depctr 0xfff
	v_ldexp_f32 v15, v15, v18
	s_delay_alu instid0(VALU_DEP_1) | instskip(SKIP_1) | instid1(VALU_DEP_2)
	v_cndmask_b32_e32 v15, 0, v15, vcc_lo
	v_cmp_nlt_f32_e32 vcc_lo, 0x42b17218, v8
	v_cndmask_b32_e32 v8, 0x7f800000, v15, vcc_lo
	global_store_b32 v[5:6], v8, off
	v_add_co_u32 v5, vcc_lo, v5, 4
	v_add_f32_e32 v11, v11, v8
	v_add_co_ci_u32_e32 v6, vcc_lo, 0, v6, vcc_lo
	s_cbranch_scc0 .LBB234_7
.LBB234_8:
	s_delay_alu instid0(VALU_DEP_2)
	v_cmp_neq_f32_e32 vcc_lo, 0, v11
	s_and_b32 exec_lo, exec_lo, vcc_lo
	s_cbranch_execz .LBB234_12
; %bb.9:
	s_and_not1_b32 vcc_lo, exec_lo, s2
	s_cbranch_vccnz .LBB234_12
; %bb.10:
	v_div_scale_f32 v0, null, v11, v11, 1.0
	v_div_scale_f32 v4, vcc_lo, 1.0, v11, 1.0
	s_delay_alu instid0(VALU_DEP_2) | instskip(SKIP_2) | instid1(VALU_DEP_1)
	v_rcp_f32_e32 v1, v0
	s_waitcnt_depctr 0xfff
	v_fma_f32 v3, -v0, v1, 1.0
	v_fmac_f32_e32 v1, v3, v1
	s_delay_alu instid0(VALU_DEP_1) | instskip(NEXT) | instid1(VALU_DEP_1)
	v_mul_f32_e32 v5, v4, v1
	v_fma_f32 v3, -v0, v5, v4
	s_delay_alu instid0(VALU_DEP_1) | instskip(SKIP_1) | instid1(VALU_DEP_2)
	v_fmac_f32_e32 v5, v3, v1
	v_ashrrev_i32_e32 v3, 31, v2
	v_fma_f32 v0, -v0, v5, v4
	s_delay_alu instid0(VALU_DEP_1) | instskip(NEXT) | instid1(VALU_DEP_3)
	v_div_fmas_f32 v4, v0, v1, v5
	v_lshlrev_b64 v[0:1], 2, v[2:3]
	s_delay_alu instid0(VALU_DEP_2) | instskip(NEXT) | instid1(VALU_DEP_2)
	v_div_fixup_f32 v2, v4, v11, 1.0
	v_add_co_u32 v0, vcc_lo, s12, v0
	s_delay_alu instid0(VALU_DEP_3)
	v_add_co_ci_u32_e32 v1, vcc_lo, s13, v1, vcc_lo
.LBB234_11:                             ; =>This Inner Loop Header: Depth=1
	global_load_b32 v3, v[0:1], off
	s_add_i32 s8, s8, -1
	s_delay_alu instid0(SALU_CYCLE_1)
	s_cmp_lg_u32 s8, 0
	s_waitcnt vmcnt(0)
	v_mul_f32_e32 v3, v2, v3
	global_store_b32 v[0:1], v3, off
	v_add_co_u32 v0, vcc_lo, v0, 4
	v_add_co_ci_u32_e32 v1, vcc_lo, 0, v1, vcc_lo
	s_cbranch_scc1 .LBB234_11
.LBB234_12:
	s_nop 0
	s_sendmsg sendmsg(MSG_DEALLOC_VGPRS)
	s_endpgm
	.section	.rodata,"a",@progbits
	.p2align	6, 0x0
	.amdhsa_kernel _ZN4vllm3moe17topkGatingSoftmaxItLi4ELi4ELi8ELi8ELb1ELi4ELNS0_23SharedExpertScoringFuncE1EEEvPKT_PKbPfiPiS9_iiiiii
		.amdhsa_group_segment_fixed_size 0
		.amdhsa_private_segment_fixed_size 0
		.amdhsa_kernarg_size 72
		.amdhsa_user_sgpr_count 15
		.amdhsa_user_sgpr_dispatch_ptr 0
		.amdhsa_user_sgpr_queue_ptr 0
		.amdhsa_user_sgpr_kernarg_segment_ptr 1
		.amdhsa_user_sgpr_dispatch_id 0
		.amdhsa_user_sgpr_private_segment_size 0
		.amdhsa_wavefront_size32 1
		.amdhsa_uses_dynamic_stack 0
		.amdhsa_enable_private_segment 0
		.amdhsa_system_sgpr_workgroup_id_x 1
		.amdhsa_system_sgpr_workgroup_id_y 0
		.amdhsa_system_sgpr_workgroup_id_z 0
		.amdhsa_system_sgpr_workgroup_info 0
		.amdhsa_system_vgpr_workitem_id 1
		.amdhsa_next_free_vgpr 32
		.amdhsa_next_free_sgpr 17
		.amdhsa_reserve_vcc 1
		.amdhsa_float_round_mode_32 0
		.amdhsa_float_round_mode_16_64 0
		.amdhsa_float_denorm_mode_32 3
		.amdhsa_float_denorm_mode_16_64 3
		.amdhsa_dx10_clamp 1
		.amdhsa_ieee_mode 1
		.amdhsa_fp16_overflow 0
		.amdhsa_workgroup_processor_mode 1
		.amdhsa_memory_ordered 1
		.amdhsa_forward_progress 0
		.amdhsa_shared_vgpr_count 0
		.amdhsa_exception_fp_ieee_invalid_op 0
		.amdhsa_exception_fp_denorm_src 0
		.amdhsa_exception_fp_ieee_div_zero 0
		.amdhsa_exception_fp_ieee_overflow 0
		.amdhsa_exception_fp_ieee_underflow 0
		.amdhsa_exception_fp_ieee_inexact 0
		.amdhsa_exception_int_div_zero 0
	.end_amdhsa_kernel
	.section	.text._ZN4vllm3moe17topkGatingSoftmaxItLi4ELi4ELi8ELi8ELb1ELi4ELNS0_23SharedExpertScoringFuncE1EEEvPKT_PKbPfiPiS9_iiiiii,"axG",@progbits,_ZN4vllm3moe17topkGatingSoftmaxItLi4ELi4ELi8ELi8ELb1ELi4ELNS0_23SharedExpertScoringFuncE1EEEvPKT_PKbPfiPiS9_iiiiii,comdat
.Lfunc_end234:
	.size	_ZN4vllm3moe17topkGatingSoftmaxItLi4ELi4ELi8ELi8ELb1ELi4ELNS0_23SharedExpertScoringFuncE1EEEvPKT_PKbPfiPiS9_iiiiii, .Lfunc_end234-_ZN4vllm3moe17topkGatingSoftmaxItLi4ELi4ELi8ELi8ELb1ELi4ELNS0_23SharedExpertScoringFuncE1EEEvPKT_PKbPfiPiS9_iiiiii
                                        ; -- End function
	.section	.AMDGPU.csdata,"",@progbits
; Kernel info:
; codeLenInByte = 2204
; NumSgprs: 19
; NumVgprs: 32
; ScratchSize: 0
; MemoryBound: 0
; FloatMode: 240
; IeeeMode: 1
; LDSByteSize: 0 bytes/workgroup (compile time only)
; SGPRBlocks: 2
; VGPRBlocks: 3
; NumSGPRsForWavesPerEU: 19
; NumVGPRsForWavesPerEU: 32
; Occupancy: 16
; WaveLimiterHint : 0
; COMPUTE_PGM_RSRC2:SCRATCH_EN: 0
; COMPUTE_PGM_RSRC2:USER_SGPR: 15
; COMPUTE_PGM_RSRC2:TRAP_HANDLER: 0
; COMPUTE_PGM_RSRC2:TGID_X_EN: 1
; COMPUTE_PGM_RSRC2:TGID_Y_EN: 0
; COMPUTE_PGM_RSRC2:TGID_Z_EN: 0
; COMPUTE_PGM_RSRC2:TIDIG_COMP_CNT: 1
	.section	.text._ZN4vllm3moe17topkGatingSoftmaxItLi4ELi4ELi8ELi8ELb0ELi4ELNS0_23SharedExpertScoringFuncE1EEEvPKT_PKbPfiPiS9_iiiiii,"axG",@progbits,_ZN4vllm3moe17topkGatingSoftmaxItLi4ELi4ELi8ELi8ELb0ELi4ELNS0_23SharedExpertScoringFuncE1EEEvPKT_PKbPfiPiS9_iiiiii,comdat
	.protected	_ZN4vllm3moe17topkGatingSoftmaxItLi4ELi4ELi8ELi8ELb0ELi4ELNS0_23SharedExpertScoringFuncE1EEEvPKT_PKbPfiPiS9_iiiiii ; -- Begin function _ZN4vllm3moe17topkGatingSoftmaxItLi4ELi4ELi8ELi8ELb0ELi4ELNS0_23SharedExpertScoringFuncE1EEEvPKT_PKbPfiPiS9_iiiiii
	.globl	_ZN4vllm3moe17topkGatingSoftmaxItLi4ELi4ELi8ELi8ELb0ELi4ELNS0_23SharedExpertScoringFuncE1EEEvPKT_PKbPfiPiS9_iiiiii
	.p2align	8
	.type	_ZN4vllm3moe17topkGatingSoftmaxItLi4ELi4ELi8ELi8ELb0ELi4ELNS0_23SharedExpertScoringFuncE1EEEvPKT_PKbPfiPiS9_iiiiii,@function
_ZN4vllm3moe17topkGatingSoftmaxItLi4ELi4ELi8ELi8ELb0ELi4ELNS0_23SharedExpertScoringFuncE1EEEvPKT_PKbPfiPiS9_iiiiii: ; @_ZN4vllm3moe17topkGatingSoftmaxItLi4ELi4ELi8ELi8ELb0ELi4ELNS0_23SharedExpertScoringFuncE1EEEvPKT_PKbPfiPiS9_iiiiii
; %bb.0:
	s_load_b32 s16, s[0:1], 0x18
	v_bfe_u32 v1, v0, 10, 10
	v_and_b32_e32 v8, 0x3ff, v0
	s_lshl_b32 s18, s15, 8
	s_mov_b32 s2, exec_lo
	s_delay_alu instid0(VALU_DEP_2) | instskip(NEXT) | instid1(VALU_DEP_1)
	v_lshlrev_b32_e32 v7, 5, v1
	v_add3_u32 v9, v7, v8, s18
	s_waitcnt lgkmcnt(0)
	s_delay_alu instid0(VALU_DEP_1)
	v_cmpx_gt_i32_e64 s16, v9
	s_cbranch_execz .LBB235_12
; %bb.1:
	s_clause 0x1
	s_load_b128 s[4:7], s[0:1], 0x0
	s_load_b64 s[12:13], s[0:1], 0x10
	s_waitcnt lgkmcnt(0)
	s_cmp_eq_u64 s[6:7], 0
	s_cbranch_scc1 .LBB235_3
; %bb.2:
	v_ashrrev_i32_e32 v1, 31, v9
	v_add_co_u32 v0, vcc_lo, s6, v9
	s_delay_alu instid0(VALU_DEP_2) | instskip(SKIP_3) | instid1(VALU_DEP_1)
	v_add_co_ci_u32_e32 v1, vcc_lo, s7, v1, vcc_lo
	global_load_u8 v0, v[0:1], off
	s_waitcnt vmcnt(0)
	v_and_b32_e32 v0, 1, v0
	v_cmp_eq_u32_e32 vcc_lo, 1, v0
	s_xor_b32 s2, vcc_lo, -1
	s_delay_alu instid0(SALU_CYCLE_1)
	s_or_not1_b32 s17, s2, exec_lo
	s_branch .LBB235_4
.LBB235_3:
	s_mov_b32 s17, -1
.LBB235_4:
	s_clause 0x1
	s_load_b64 s[14:15], s[0:1], 0x40
	s_load_b128 s[8:11], s[0:1], 0x30
	s_waitcnt lgkmcnt(0)
	v_mul_lo_u32 v0, v9, s15
	s_cmp_gt_i32 s8, 0
	s_delay_alu instid0(VALU_DEP_1) | instskip(NEXT) | instid1(VALU_DEP_1)
	v_ashrrev_i32_e32 v1, 31, v0
	v_lshlrev_b64 v[0:1], 1, v[0:1]
	s_delay_alu instid0(VALU_DEP_1) | instskip(NEXT) | instid1(VALU_DEP_2)
	v_add_co_u32 v0, vcc_lo, s4, v0
	v_add_co_ci_u32_e32 v1, vcc_lo, s5, v1, vcc_lo
	global_load_b128 v[1:4], v[0:1], off
	v_mul_lo_u32 v0, v9, s11
	s_cselect_b32 s11, -1, 0
	s_cmp_lt_i32 s8, 1
	s_waitcnt vmcnt(0)
	v_and_b32_e32 v10, 0xffff, v3
	v_lshrrev_b32_e32 v11, 16, v3
	v_and_b32_e32 v12, 0xffff, v4
	v_lshrrev_b32_e32 v13, 16, v4
	v_lshrrev_b32_e32 v24, 16, v1
	v_cvt_f32_u32_e32 v10, v10
	v_add_nc_u32_e32 v5, s8, v0
	v_cvt_f32_u32_e32 v11, v11
	v_cvt_f32_u32_e32 v13, v13
	v_and_b32_e32 v1, 0xffff, v1
	v_mul_f32_e32 v14, 0xbfb8aa3b, v10
	v_ashrrev_i32_e32 v6, 31, v5
	s_delay_alu instid0(VALU_DEP_2) | instskip(NEXT) | instid1(VALU_DEP_2)
	v_fma_f32 v16, 0xbfb8aa3b, v10, -v14
	v_lshlrev_b64 v[3:4], 2, v[5:6]
	v_rndne_f32_e32 v17, v14
	s_delay_alu instid0(VALU_DEP_3) | instskip(NEXT) | instid1(VALU_DEP_3)
	v_fmac_f32_e32 v16, 0xb2a5705f, v10
	v_add_co_u32 v5, vcc_lo, s12, v3
	s_delay_alu instid0(VALU_DEP_3) | instskip(SKIP_2) | instid1(VALU_DEP_3)
	v_dual_mul_f32 v3, 0xbfb8aa3b, v11 :: v_dual_sub_f32 v14, v14, v17
	v_mul_f32_e32 v15, 0xbfb8aa3b, v13
	v_add_co_ci_u32_e32 v6, vcc_lo, s13, v4, vcc_lo
	v_fma_f32 v18, 0xbfb8aa3b, v11, -v3
	s_delay_alu instid0(VALU_DEP_4)
	v_add_f32_e32 v14, v14, v16
	v_rndne_f32_e32 v19, v3
	v_cvt_i32_f32_e32 v17, v17
	v_cmp_nlt_f32_e32 vcc_lo, 0x42ce8ed0, v10
	v_fmac_f32_e32 v18, 0xb2a5705f, v11
	v_exp_f32_e32 v14, v14
	v_sub_f32_e32 v3, v3, v19
	v_cvt_f32_u32_e32 v12, v12
	v_fma_f32 v22, 0xbfb8aa3b, v13, -v15
	v_rndne_f32_e32 v23, v15
	v_lshrrev_b32_e32 v16, 16, v2
	s_delay_alu instid0(VALU_DEP_4) | instskip(SKIP_2) | instid1(TRANS32_DEP_1)
	v_dual_add_f32 v3, v3, v18 :: v_dual_mul_f32 v4, 0xbfb8aa3b, v12
	v_cvt_i32_f32_e32 v18, v19
	v_fmac_f32_e32 v22, 0xb2a5705f, v13
	v_ldexp_f32 v14, v14, v17
	s_delay_alu instid0(VALU_DEP_4) | instskip(SKIP_2) | instid1(VALU_DEP_3)
	v_exp_f32_e32 v3, v3
	v_fma_f32 v20, 0xbfb8aa3b, v12, -v4
	v_rndne_f32_e32 v21, v4
	v_dual_sub_f32 v15, v15, v23 :: v_dual_cndmask_b32 v14, 0, v14
	v_cmp_nlt_f32_e32 vcc_lo, 0x42ce8ed0, v11
	s_delay_alu instid0(VALU_DEP_2) | instskip(SKIP_1) | instid1(TRANS32_DEP_1)
	v_dual_sub_f32 v4, v4, v21 :: v_dual_add_f32 v15, v15, v22
	v_cvt_i32_f32_e32 v19, v21
	v_ldexp_f32 v3, v3, v18
	v_fmac_f32_e32 v20, 0xb2a5705f, v12
	s_delay_alu instid0(VALU_DEP_4) | instskip(NEXT) | instid1(VALU_DEP_1)
	v_exp_f32_e32 v15, v15
	v_dual_cndmask_b32 v3, 0, v3 :: v_dual_add_f32 v4, v4, v20
	v_cvt_i32_f32_e32 v20, v23
	v_cmp_nlt_f32_e32 vcc_lo, 0x42ce8ed0, v12
	s_delay_alu instid0(VALU_DEP_3) | instskip(SKIP_3) | instid1(VALU_DEP_1)
	v_exp_f32_e32 v4, v4
	s_waitcnt_depctr 0xfff
	v_ldexp_f32 v15, v15, v20
	v_ldexp_f32 v4, v4, v19
	v_cndmask_b32_e32 v4, 0, v4, vcc_lo
	v_cmp_nlt_f32_e32 vcc_lo, 0x42ce8ed0, v13
	s_delay_alu instid0(VALU_DEP_4)
	v_cndmask_b32_e32 v15, 0, v15, vcc_lo
	v_cmp_ngt_f32_e32 vcc_lo, 0xc2b17218, v10
	v_cndmask_b32_e32 v10, 0x7f800000, v14, vcc_lo
	v_cmp_ngt_f32_e32 vcc_lo, 0xc2b17218, v11
	v_cvt_f32_u32_e32 v11, v24
	v_cndmask_b32_e32 v3, 0x7f800000, v3, vcc_lo
	v_cmp_ngt_f32_e32 vcc_lo, 0xc2b17218, v12
	v_cndmask_b32_e32 v4, 0x7f800000, v4, vcc_lo
	v_cmp_ngt_f32_e32 vcc_lo, 0xc2b17218, v13
	v_cvt_f32_u32_e32 v13, v1
	s_delay_alu instid0(VALU_DEP_3) | instskip(SKIP_2) | instid1(VALU_DEP_4)
	v_add_f32_e32 v4, 1.0, v4
	v_cndmask_b32_e32 v12, 0x7f800000, v15, vcc_lo
	v_dual_add_f32 v3, 1.0, v3 :: v_dual_and_b32 v2, 0xffff, v2
	v_cmp_lt_f32_e64 s3, v13, v11
	s_delay_alu instid0(VALU_DEP_4) | instskip(NEXT) | instid1(VALU_DEP_4)
	v_div_scale_f32 v19, null, v4, v4, 1.0
	v_add_f32_e32 v17, 1.0, v12
	s_delay_alu instid0(VALU_DEP_4) | instskip(NEXT) | instid1(VALU_DEP_3)
	v_div_scale_f32 v18, null, v3, v3, 1.0
	v_rcp_f32_e32 v22, v19
	v_div_scale_f32 v25, s4, 1.0, v3, 1.0
	s_delay_alu instid0(VALU_DEP_3) | instskip(NEXT) | instid1(VALU_DEP_3)
	v_div_scale_f32 v20, null, v17, v17, 1.0
	v_rcp_f32_e32 v21, v18
	v_div_scale_f32 v26, s5, 1.0, v4, 1.0
	s_delay_alu instid0(VALU_DEP_2) | instskip(SKIP_1) | instid1(TRANS32_DEP_3)
	v_rcp_f32_e32 v23, v20
	v_div_scale_f32 v29, s6, 1.0, v17, 1.0
	v_fma_f32 v27, -v19, v22, 1.0
	v_cndmask_b32_e64 v34, v13, v11, s3
	s_waitcnt_depctr 0xfff
	v_fma_f32 v12, -v18, v21, 1.0
	v_fmac_f32_e32 v22, v27, v22
	v_fma_f32 v28, -v20, v23, 1.0
	s_delay_alu instid0(VALU_DEP_3) | instskip(SKIP_1) | instid1(VALU_DEP_3)
	v_fmac_f32_e32 v21, v12, v21
	v_cvt_f32_u32_e32 v12, v2
	v_fmac_f32_e32 v23, v28, v23
	v_add_f32_e32 v15, 1.0, v10
	s_delay_alu instid0(VALU_DEP_4) | instskip(NEXT) | instid1(VALU_DEP_4)
	v_mul_f32_e32 v27, v25, v21
	v_cmp_lt_f32_e64 s2, v34, v12
	s_delay_alu instid0(VALU_DEP_4) | instskip(NEXT) | instid1(VALU_DEP_4)
	v_mul_f32_e32 v30, v29, v23
	v_div_scale_f32 v14, null, v15, v15, 1.0
	v_div_scale_f32 v24, vcc_lo, 1.0, v15, 1.0
	v_fma_f32 v31, -v18, v27, v25
	s_delay_alu instid0(VALU_DEP_3) | instskip(SKIP_1) | instid1(VALU_DEP_1)
	v_rcp_f32_e32 v1, v14
	v_fma_f32 v33, -v20, v30, v29
	v_dual_fmac_f32 v27, v31, v21 :: v_dual_fmac_f32 v30, v33, v23
	s_delay_alu instid0(VALU_DEP_1) | instskip(SKIP_3) | instid1(VALU_DEP_2)
	v_fma_f32 v18, -v18, v27, v25
	s_waitcnt_depctr 0xfff
	v_fma_f32 v10, -v14, v1, 1.0
	v_fma_f32 v20, -v20, v30, v29
	v_fmac_f32_e32 v1, v10, v1
	v_cvt_f32_u32_e32 v10, v16
	s_delay_alu instid0(VALU_DEP_2) | instskip(NEXT) | instid1(VALU_DEP_1)
	v_mul_f32_e32 v16, v24, v1
	v_fma_f32 v2, -v14, v16, v24
	s_delay_alu instid0(VALU_DEP_1) | instskip(SKIP_1) | instid1(VALU_DEP_2)
	v_fmac_f32_e32 v16, v2, v1
	v_cndmask_b32_e64 v2, v34, v12, s2
	v_fma_f32 v14, -v14, v16, v24
	s_delay_alu instid0(VALU_DEP_1) | instskip(SKIP_3) | instid1(VALU_DEP_2)
	v_div_fmas_f32 v1, v14, v1, v16
	s_mov_b32 vcc_lo, s4
	v_div_fmas_f32 v16, v18, v21, v27
	s_mov_b32 vcc_lo, s5
	v_div_fixup_f32 v1, v1, v15, 1.0
	v_dual_mov_b32 v15, 0 :: v_dual_mul_f32 v28, v26, v22
	s_delay_alu instid0(VALU_DEP_1) | instskip(NEXT) | instid1(VALU_DEP_1)
	v_fma_f32 v32, -v19, v28, v26
	v_fmac_f32_e32 v28, v32, v22
	s_delay_alu instid0(VALU_DEP_1) | instskip(NEXT) | instid1(VALU_DEP_1)
	v_fma_f32 v19, -v19, v28, v26
	v_div_fmas_f32 v18, v19, v22, v28
	s_mov_b32 vcc_lo, s6
	v_div_fmas_f32 v19, v20, v23, v30
	v_cmp_lt_f32_e32 vcc_lo, v2, v10
	v_cndmask_b32_e32 v14, v2, v10, vcc_lo
	v_div_fixup_f32 v2, v16, v3, 1.0
	v_div_fixup_f32 v3, v18, v4, 1.0
	;; [unrolled: 1-line block ×3, first 2 shown]
	global_store_b128 v[5:6], v[1:4], off
	s_cbranch_scc1 .LBB235_8
; %bb.5:
	v_cndmask_b32_e64 v4, 0, 1, s3
	v_sub_f32_e32 v20, v14, v14
	s_load_b128 s[4:7], s[0:1], 0x20
	v_mul_lo_u32 v2, v9, s14
	v_ashrrev_i32_e32 v1, 31, v0
	v_cndmask_b32_e64 v4, v4, 2, s2
	v_mul_lo_u32 v15, v9, s8
	s_delay_alu instid0(VALU_DEP_3) | instskip(NEXT) | instid1(VALU_DEP_3)
	v_lshlrev_b64 v[5:6], 2, v[0:1]
	v_cndmask_b32_e64 v21, v4, 3, vcc_lo
	s_delay_alu instid0(VALU_DEP_3) | instskip(NEXT) | instid1(VALU_DEP_2)
	v_ashrrev_i32_e32 v16, 31, v15
	v_subrev_nc_u32_e32 v22, s9, v21
	v_mul_f32_e32 v3, 0x3fb8aa3b, v20
	v_add_co_u32 v5, vcc_lo, s12, v5
	v_add_co_ci_u32_e32 v6, vcc_lo, s13, v6, vcc_lo
	s_delay_alu instid0(VALU_DEP_3) | instskip(SKIP_3) | instid1(VALU_DEP_4)
	v_rndne_f32_e32 v17, v3
	v_cmp_le_i32_e32 vcc_lo, s9, v21
	v_cmp_gt_i32_e64 s0, s10, v21
	v_cmp_ne_u32_e64 s1, 3, v21
	v_sub_f32_e32 v19, v3, v17
	v_fma_f32 v18, 0x3fb8aa3b, v20, -v3
	v_ashrrev_i32_e32 v3, 31, v2
	s_and_b32 s0, vcc_lo, s0
	v_cndmask_b32_e64 v10, 0xff800000, v10, s1
	s_delay_alu instid0(VALU_DEP_3) | instskip(NEXT) | instid1(VALU_DEP_1)
	v_fmac_f32_e32 v18, 0x32a5705f, v20
	v_add_f32_e32 v1, v19, v18
	s_delay_alu instid0(VALU_DEP_1) | instskip(SKIP_4) | instid1(VALU_DEP_3)
	v_exp_f32_e32 v18, v1
	v_lshlrev_b64 v[1:2], 2, v[2:3]
	v_lshlrev_b64 v[3:4], 2, v[15:16]
	v_cvt_i32_f32_e32 v15, v17
	s_waitcnt lgkmcnt(0)
	v_add_co_u32 v16, vcc_lo, s4, v1
	s_delay_alu instid0(VALU_DEP_4) | instskip(SKIP_3) | instid1(VALU_DEP_2)
	v_add_co_ci_u32_e32 v17, vcc_lo, s5, v2, vcc_lo
	s_waitcnt_depctr 0xfff
	v_ldexp_f32 v15, v18, v15
	v_cmp_ngt_f32_e32 vcc_lo, 0xc2ce8ed0, v20
	v_cndmask_b32_e32 v15, 0, v15, vcc_lo
	v_add_co_u32 v18, vcc_lo, s6, v3
	v_add_co_ci_u32_e32 v19, vcc_lo, s7, v4, vcc_lo
	s_and_b32 vcc_lo, s17, s0
	s_cmp_eq_u32 s8, 1
	v_cndmask_b32_e32 v22, 4, v22, vcc_lo
	v_cmp_nlt_f32_e32 vcc_lo, 0x42b17218, v20
	v_cndmask_b32_e32 v15, 0x7f800000, v15, vcc_lo
	v_cmp_ne_u32_e32 vcc_lo, 2, v21
	global_store_b32 v[5:6], v15, off
	v_cndmask_b32_e32 v12, 0xff800000, v12, vcc_lo
	v_cmp_ne_u32_e32 vcc_lo, 1, v21
	global_store_b32 v[16:17], v22, off
	global_store_b32 v[18:19], v9, off
	v_cndmask_b32_e32 v11, 0xff800000, v11, vcc_lo
	v_cmp_ne_u32_e32 vcc_lo, 0, v21
	v_cndmask_b32_e32 v13, 0xff800000, v13, vcc_lo
	s_cbranch_scc1 .LBB235_8
; %bb.6:
	v_add_co_u32 v3, vcc_lo, v3, s6
	v_add_co_ci_u32_e32 v4, vcc_lo, s7, v4, vcc_lo
	v_add_co_u32 v9, vcc_lo, v1, s4
	v_add_co_ci_u32_e32 v16, vcc_lo, s5, v2, vcc_lo
	s_delay_alu instid0(VALU_DEP_4) | instskip(NEXT) | instid1(VALU_DEP_4)
	v_add_co_u32 v1, vcc_lo, v3, 4
	v_add_co_ci_u32_e32 v2, vcc_lo, 0, v4, vcc_lo
	s_delay_alu instid0(VALU_DEP_4) | instskip(NEXT) | instid1(VALU_DEP_4)
	v_add_co_u32 v3, vcc_lo, v9, 4
	v_add_co_ci_u32_e32 v4, vcc_lo, 0, v16, vcc_lo
	s_add_i32 s18, s18, s16
	v_add_co_u32 v5, vcc_lo, v5, 4
	v_add_co_ci_u32_e32 v6, vcc_lo, 0, v6, vcc_lo
	v_add3_u32 v7, s18, v8, v7
	s_add_i32 s2, s8, -1
.LBB235_7:                              ; =>This Inner Loop Header: Depth=1
	v_cmp_gt_f32_e32 vcc_lo, v11, v13
	s_add_i32 s2, s2, -1
	v_cndmask_b32_e32 v8, v13, v11, vcc_lo
	v_cndmask_b32_e64 v9, 0, 1, vcc_lo
	s_delay_alu instid0(VALU_DEP_2) | instskip(SKIP_1) | instid1(VALU_DEP_3)
	v_cmp_gt_f32_e32 vcc_lo, v12, v8
	v_cndmask_b32_e32 v8, v8, v12, vcc_lo
	v_cndmask_b32_e64 v9, v9, 2, vcc_lo
	s_delay_alu instid0(VALU_DEP_2) | instskip(NEXT) | instid1(VALU_DEP_2)
	v_cmp_gt_f32_e32 vcc_lo, v10, v8
	v_cndmask_b32_e64 v9, v9, 3, vcc_lo
	v_cndmask_b32_e32 v8, v8, v10, vcc_lo
	s_delay_alu instid0(VALU_DEP_2) | instskip(NEXT) | instid1(VALU_DEP_2)
	v_cmp_ne_u32_e64 s1, 3, v9
	v_sub_f32_e32 v8, v8, v14
	v_cmp_le_i32_e32 vcc_lo, s9, v9
	v_cmp_gt_i32_e64 s0, s10, v9
	v_subrev_nc_u32_e32 v17, s9, v9
	v_cndmask_b32_e64 v10, 0xff800000, v10, s1
	v_cmp_ne_u32_e64 s1, 2, v9
	v_mul_f32_e32 v16, 0x3fb8aa3b, v8
	s_and_b32 s0, vcc_lo, s0
	s_delay_alu instid0(SALU_CYCLE_1) | instskip(NEXT) | instid1(VALU_DEP_2)
	s_and_b32 vcc_lo, s17, s0
	v_cndmask_b32_e64 v12, 0xff800000, v12, s1
	v_cmp_ne_u32_e64 s1, 1, v9
	v_rndne_f32_e32 v18, v16
	v_cndmask_b32_e32 v17, 4, v17, vcc_lo
	global_store_b32 v[3:4], v17, off
	global_store_b32 v[1:2], v7, off
	v_cndmask_b32_e64 v11, 0xff800000, v11, s1
	v_cmp_ne_u32_e64 s1, 0, v9
	v_fma_f32 v9, 0x3fb8aa3b, v8, -v16
	v_sub_f32_e32 v16, v16, v18
	v_add_co_u32 v1, vcc_lo, v1, 4
	v_cvt_i32_f32_e32 v18, v18
	s_delay_alu instid0(VALU_DEP_4) | instskip(SKIP_2) | instid1(VALU_DEP_3)
	v_fmac_f32_e32 v9, 0x32a5705f, v8
	v_add_co_ci_u32_e32 v2, vcc_lo, 0, v2, vcc_lo
	v_add_co_u32 v3, vcc_lo, v3, 4
	v_add_f32_e32 v9, v16, v9
	v_add_co_ci_u32_e32 v4, vcc_lo, 0, v4, vcc_lo
	v_cmp_ngt_f32_e32 vcc_lo, 0xc2ce8ed0, v8
	v_cndmask_b32_e64 v13, 0xff800000, v13, s1
	s_delay_alu instid0(VALU_DEP_4) | instskip(SKIP_4) | instid1(VALU_DEP_1)
	v_exp_f32_e32 v9, v9
	v_add_nc_u32_e32 v7, s16, v7
	s_cmp_eq_u32 s2, 0
	s_waitcnt_depctr 0xfff
	v_ldexp_f32 v9, v9, v18
	v_cndmask_b32_e32 v9, 0, v9, vcc_lo
	v_cmp_nlt_f32_e32 vcc_lo, 0x42b17218, v8
	s_delay_alu instid0(VALU_DEP_2)
	v_cndmask_b32_e32 v8, 0x7f800000, v9, vcc_lo
	global_store_b32 v[5:6], v8, off
	v_add_co_u32 v5, vcc_lo, v5, 4
	v_add_f32_e32 v15, v15, v8
	v_add_co_ci_u32_e32 v6, vcc_lo, 0, v6, vcc_lo
	s_cbranch_scc0 .LBB235_7
.LBB235_8:
	v_sub_f32_e32 v4, v10, v14
	s_delay_alu instid0(VALU_DEP_1) | instskip(NEXT) | instid1(VALU_DEP_1)
	v_dual_sub_f32 v1, v13, v14 :: v_dual_mul_f32 v8, 0x3fb8aa3b, v4
	v_dual_sub_f32 v2, v11, v14 :: v_dual_mul_f32 v5, 0x3fb8aa3b, v1
	v_cmp_ngt_f32_e32 vcc_lo, 0xc2ce8ed0, v1
	s_delay_alu instid0(VALU_DEP_3) | instskip(NEXT) | instid1(VALU_DEP_3)
	v_rndne_f32_e32 v17, v8
	v_fma_f32 v9, 0x3fb8aa3b, v1, -v5
	v_rndne_f32_e32 v10, v5
	s_delay_alu instid0(VALU_DEP_2) | instskip(NEXT) | instid1(VALU_DEP_2)
	v_fmac_f32_e32 v9, 0x32a5705f, v1
	v_sub_f32_e32 v5, v5, v10
	s_delay_alu instid0(VALU_DEP_1) | instskip(SKIP_1) | instid1(VALU_DEP_2)
	v_dual_mul_f32 v6, 0x3fb8aa3b, v2 :: v_dual_add_f32 v5, v5, v9
	v_sub_f32_e32 v3, v12, v14
	v_fma_f32 v11, 0x3fb8aa3b, v2, -v6
	v_rndne_f32_e32 v12, v6
	v_cvt_i32_f32_e32 v9, v10
	v_exp_f32_e32 v5, v5
	s_delay_alu instid0(VALU_DEP_2)
	v_dual_fmac_f32 v11, 0x32a5705f, v2 :: v_dual_sub_f32 v6, v6, v12
	v_mul_f32_e32 v7, 0x3fb8aa3b, v3
	v_fma_f32 v16, 0x3fb8aa3b, v4, -v8
	v_sub_f32_e32 v8, v8, v17
	v_cvt_i32_f32_e32 v10, v12
	v_add_f32_e32 v6, v6, v11
	v_fma_f32 v13, 0x3fb8aa3b, v3, -v7
	v_rndne_f32_e32 v14, v7
	v_fmac_f32_e32 v16, 0x32a5705f, v4
	v_ldexp_f32 v5, v5, v9
	v_exp_f32_e32 v6, v6
	v_fmac_f32_e32 v13, 0x32a5705f, v3
	s_delay_alu instid0(VALU_DEP_3) | instskip(NEXT) | instid1(VALU_DEP_3)
	v_dual_sub_f32 v7, v7, v14 :: v_dual_add_f32 v8, v8, v16
	v_cndmask_b32_e32 v5, 0, v5, vcc_lo
	v_cmp_ngt_f32_e32 vcc_lo, 0xc2ce8ed0, v2
	v_cvt_i32_f32_e32 v11, v14
	v_cvt_i32_f32_e32 v9, v17
	v_exp_f32_e32 v8, v8
	s_delay_alu instid0(TRANS32_DEP_2) | instskip(NEXT) | instid1(VALU_DEP_1)
	v_ldexp_f32 v6, v6, v10
	v_dual_add_f32 v7, v7, v13 :: v_dual_cndmask_b32 v6, 0, v6
	s_delay_alu instid0(VALU_DEP_1)
	v_exp_f32_e32 v7, v7
	v_cmp_nlt_f32_e32 vcc_lo, 0x42b17218, v1
	v_cndmask_b32_e32 v1, 0x7f800000, v5, vcc_lo
	v_cmp_nlt_f32_e32 vcc_lo, 0x42b17218, v2
	s_waitcnt_depctr 0xfff
	v_ldexp_f32 v7, v7, v11
	v_cndmask_b32_e32 v2, 0x7f800000, v6, vcc_lo
	v_cmp_ngt_f32_e32 vcc_lo, 0xc2ce8ed0, v3
	v_ldexp_f32 v6, v8, v9
	s_delay_alu instid0(VALU_DEP_3) | instskip(SKIP_2) | instid1(VALU_DEP_2)
	v_add_f32_e32 v1, v1, v2
	v_cndmask_b32_e32 v5, 0, v7, vcc_lo
	v_cmp_nlt_f32_e32 vcc_lo, 0x42b17218, v3
	v_cndmask_b32_e32 v2, 0x7f800000, v5, vcc_lo
	v_cmp_ngt_f32_e32 vcc_lo, 0xc2ce8ed0, v4
	s_delay_alu instid0(VALU_DEP_2) | instskip(SKIP_2) | instid1(VALU_DEP_2)
	v_add_f32_e32 v1, v1, v2
	v_cndmask_b32_e32 v3, 0, v6, vcc_lo
	v_cmp_nlt_f32_e32 vcc_lo, 0x42b17218, v4
	v_cndmask_b32_e32 v2, 0x7f800000, v3, vcc_lo
	s_delay_alu instid0(VALU_DEP_1) | instskip(NEXT) | instid1(VALU_DEP_1)
	v_add_f32_e32 v1, v1, v2
	v_add_f32_e32 v2, v15, v1
	s_delay_alu instid0(VALU_DEP_1)
	v_cmp_neq_f32_e32 vcc_lo, 0, v2
	s_and_b32 exec_lo, exec_lo, vcc_lo
	s_cbranch_execz .LBB235_12
; %bb.9:
	s_and_not1_b32 vcc_lo, exec_lo, s11
	s_cbranch_vccnz .LBB235_12
; %bb.10:
	v_div_scale_f32 v1, null, v2, v2, 1.0
	v_div_scale_f32 v5, vcc_lo, 1.0, v2, 1.0
	s_delay_alu instid0(VALU_DEP_2) | instskip(SKIP_2) | instid1(VALU_DEP_1)
	v_rcp_f32_e32 v3, v1
	s_waitcnt_depctr 0xfff
	v_fma_f32 v4, -v1, v3, 1.0
	v_fmac_f32_e32 v3, v4, v3
	s_delay_alu instid0(VALU_DEP_1) | instskip(NEXT) | instid1(VALU_DEP_1)
	v_mul_f32_e32 v4, v5, v3
	v_fma_f32 v6, -v1, v4, v5
	s_delay_alu instid0(VALU_DEP_1) | instskip(NEXT) | instid1(VALU_DEP_1)
	v_fmac_f32_e32 v4, v6, v3
	v_fma_f32 v5, -v1, v4, v5
	v_ashrrev_i32_e32 v1, 31, v0
	s_delay_alu instid0(VALU_DEP_2) | instskip(NEXT) | instid1(VALU_DEP_2)
	v_div_fmas_f32 v3, v5, v3, v4
	v_lshlrev_b64 v[0:1], 2, v[0:1]
	s_delay_alu instid0(VALU_DEP_2) | instskip(NEXT) | instid1(VALU_DEP_2)
	v_div_fixup_f32 v2, v3, v2, 1.0
	v_add_co_u32 v0, vcc_lo, s12, v0
	s_delay_alu instid0(VALU_DEP_3)
	v_add_co_ci_u32_e32 v1, vcc_lo, s13, v1, vcc_lo
.LBB235_11:                             ; =>This Inner Loop Header: Depth=1
	global_load_b32 v3, v[0:1], off
	s_add_i32 s8, s8, -1
	s_delay_alu instid0(SALU_CYCLE_1)
	s_cmp_lg_u32 s8, 0
	s_waitcnt vmcnt(0)
	v_mul_f32_e32 v3, v2, v3
	global_store_b32 v[0:1], v3, off
	v_add_co_u32 v0, vcc_lo, v0, 4
	v_add_co_ci_u32_e32 v1, vcc_lo, 0, v1, vcc_lo
	s_cbranch_scc1 .LBB235_11
.LBB235_12:
	s_nop 0
	s_sendmsg sendmsg(MSG_DEALLOC_VGPRS)
	s_endpgm
	.section	.rodata,"a",@progbits
	.p2align	6, 0x0
	.amdhsa_kernel _ZN4vllm3moe17topkGatingSoftmaxItLi4ELi4ELi8ELi8ELb0ELi4ELNS0_23SharedExpertScoringFuncE1EEEvPKT_PKbPfiPiS9_iiiiii
		.amdhsa_group_segment_fixed_size 0
		.amdhsa_private_segment_fixed_size 0
		.amdhsa_kernarg_size 72
		.amdhsa_user_sgpr_count 15
		.amdhsa_user_sgpr_dispatch_ptr 0
		.amdhsa_user_sgpr_queue_ptr 0
		.amdhsa_user_sgpr_kernarg_segment_ptr 1
		.amdhsa_user_sgpr_dispatch_id 0
		.amdhsa_user_sgpr_private_segment_size 0
		.amdhsa_wavefront_size32 1
		.amdhsa_uses_dynamic_stack 0
		.amdhsa_enable_private_segment 0
		.amdhsa_system_sgpr_workgroup_id_x 1
		.amdhsa_system_sgpr_workgroup_id_y 0
		.amdhsa_system_sgpr_workgroup_id_z 0
		.amdhsa_system_sgpr_workgroup_info 0
		.amdhsa_system_vgpr_workitem_id 1
		.amdhsa_next_free_vgpr 35
		.amdhsa_next_free_sgpr 19
		.amdhsa_reserve_vcc 1
		.amdhsa_float_round_mode_32 0
		.amdhsa_float_round_mode_16_64 0
		.amdhsa_float_denorm_mode_32 3
		.amdhsa_float_denorm_mode_16_64 3
		.amdhsa_dx10_clamp 1
		.amdhsa_ieee_mode 1
		.amdhsa_fp16_overflow 0
		.amdhsa_workgroup_processor_mode 1
		.amdhsa_memory_ordered 1
		.amdhsa_forward_progress 0
		.amdhsa_shared_vgpr_count 0
		.amdhsa_exception_fp_ieee_invalid_op 0
		.amdhsa_exception_fp_denorm_src 0
		.amdhsa_exception_fp_ieee_div_zero 0
		.amdhsa_exception_fp_ieee_overflow 0
		.amdhsa_exception_fp_ieee_underflow 0
		.amdhsa_exception_fp_ieee_inexact 0
		.amdhsa_exception_int_div_zero 0
	.end_amdhsa_kernel
	.section	.text._ZN4vllm3moe17topkGatingSoftmaxItLi4ELi4ELi8ELi8ELb0ELi4ELNS0_23SharedExpertScoringFuncE1EEEvPKT_PKbPfiPiS9_iiiiii,"axG",@progbits,_ZN4vllm3moe17topkGatingSoftmaxItLi4ELi4ELi8ELi8ELb0ELi4ELNS0_23SharedExpertScoringFuncE1EEEvPKT_PKbPfiPiS9_iiiiii,comdat
.Lfunc_end235:
	.size	_ZN4vllm3moe17topkGatingSoftmaxItLi4ELi4ELi8ELi8ELb0ELi4ELNS0_23SharedExpertScoringFuncE1EEEvPKT_PKbPfiPiS9_iiiiii, .Lfunc_end235-_ZN4vllm3moe17topkGatingSoftmaxItLi4ELi4ELi8ELi8ELb0ELi4ELNS0_23SharedExpertScoringFuncE1EEEvPKT_PKbPfiPiS9_iiiiii
                                        ; -- End function
	.section	.AMDGPU.csdata,"",@progbits
; Kernel info:
; codeLenInByte = 2608
; NumSgprs: 21
; NumVgprs: 35
; ScratchSize: 0
; MemoryBound: 0
; FloatMode: 240
; IeeeMode: 1
; LDSByteSize: 0 bytes/workgroup (compile time only)
; SGPRBlocks: 2
; VGPRBlocks: 4
; NumSGPRsForWavesPerEU: 21
; NumVGPRsForWavesPerEU: 35
; Occupancy: 16
; WaveLimiterHint : 0
; COMPUTE_PGM_RSRC2:SCRATCH_EN: 0
; COMPUTE_PGM_RSRC2:USER_SGPR: 15
; COMPUTE_PGM_RSRC2:TRAP_HANDLER: 0
; COMPUTE_PGM_RSRC2:TGID_X_EN: 1
; COMPUTE_PGM_RSRC2:TGID_Y_EN: 0
; COMPUTE_PGM_RSRC2:TGID_Z_EN: 0
; COMPUTE_PGM_RSRC2:TIDIG_COMP_CNT: 1
	.section	.text._ZN4vllm3moe17topkGatingSoftmaxItLi4ELi4ELi8ELi8ELb1ELi8ELNS0_23SharedExpertScoringFuncE1EEEvPKT_PKbPfiPiS9_iiiiii,"axG",@progbits,_ZN4vllm3moe17topkGatingSoftmaxItLi4ELi4ELi8ELi8ELb1ELi8ELNS0_23SharedExpertScoringFuncE1EEEvPKT_PKbPfiPiS9_iiiiii,comdat
	.protected	_ZN4vllm3moe17topkGatingSoftmaxItLi4ELi4ELi8ELi8ELb1ELi8ELNS0_23SharedExpertScoringFuncE1EEEvPKT_PKbPfiPiS9_iiiiii ; -- Begin function _ZN4vllm3moe17topkGatingSoftmaxItLi4ELi4ELi8ELi8ELb1ELi8ELNS0_23SharedExpertScoringFuncE1EEEvPKT_PKbPfiPiS9_iiiiii
	.globl	_ZN4vllm3moe17topkGatingSoftmaxItLi4ELi4ELi8ELi8ELb1ELi8ELNS0_23SharedExpertScoringFuncE1EEEvPKT_PKbPfiPiS9_iiiiii
	.p2align	8
	.type	_ZN4vllm3moe17topkGatingSoftmaxItLi4ELi4ELi8ELi8ELb1ELi8ELNS0_23SharedExpertScoringFuncE1EEEvPKT_PKbPfiPiS9_iiiiii,@function
_ZN4vllm3moe17topkGatingSoftmaxItLi4ELi4ELi8ELi8ELb1ELi8ELNS0_23SharedExpertScoringFuncE1EEEvPKT_PKbPfiPiS9_iiiiii: ; @_ZN4vllm3moe17topkGatingSoftmaxItLi4ELi4ELi8ELi8ELb1ELi8ELNS0_23SharedExpertScoringFuncE1EEEvPKT_PKbPfiPiS9_iiiiii
; %bb.0:
	s_load_b32 s9, s[0:1], 0x18
	v_bfe_u32 v1, v0, 10, 10
	v_and_b32_e32 v8, 0x3ff, v0
	s_lshl_b32 s19, s15, 8
	s_mov_b32 s2, exec_lo
	s_delay_alu instid0(VALU_DEP_2) | instskip(NEXT) | instid1(VALU_DEP_1)
	v_lshlrev_b32_e32 v7, 5, v1
	v_add3_u32 v9, v7, v8, s19
	s_waitcnt lgkmcnt(0)
	s_delay_alu instid0(VALU_DEP_1)
	v_cmpx_gt_i32_e64 s9, v9
	s_cbranch_execz .LBB236_12
; %bb.1:
	s_clause 0x1
	s_load_b128 s[4:7], s[0:1], 0x0
	s_load_b64 s[10:11], s[0:1], 0x10
	s_waitcnt lgkmcnt(0)
	s_cmp_eq_u64 s[6:7], 0
	s_cbranch_scc1 .LBB236_3
; %bb.2:
	v_ashrrev_i32_e32 v1, 31, v9
	v_add_co_u32 v0, vcc_lo, s6, v9
	s_delay_alu instid0(VALU_DEP_2) | instskip(SKIP_3) | instid1(VALU_DEP_1)
	v_add_co_ci_u32_e32 v1, vcc_lo, s7, v1, vcc_lo
	global_load_u8 v0, v[0:1], off
	s_waitcnt vmcnt(0)
	v_and_b32_e32 v0, 1, v0
	v_cmp_eq_u32_e32 vcc_lo, 1, v0
	s_xor_b32 s2, vcc_lo, -1
	s_delay_alu instid0(SALU_CYCLE_1)
	s_or_not1_b32 s18, s2, exec_lo
	s_branch .LBB236_4
.LBB236_3:
	s_mov_b32 s18, -1
.LBB236_4:
	s_clause 0x1
	s_load_b64 s[16:17], s[0:1], 0x40
	s_load_b128 s[12:15], s[0:1], 0x30
	s_waitcnt lgkmcnt(0)
	v_mul_lo_u32 v0, v9, s17
	s_cmp_gt_i32 s12, 0
	s_delay_alu instid0(VALU_DEP_1) | instskip(NEXT) | instid1(VALU_DEP_1)
	v_ashrrev_i32_e32 v1, 31, v0
	v_lshlrev_b64 v[0:1], 1, v[0:1]
	s_delay_alu instid0(VALU_DEP_1) | instskip(NEXT) | instid1(VALU_DEP_2)
	v_add_co_u32 v4, vcc_lo, s4, v0
	v_add_co_ci_u32_e32 v5, vcc_lo, s5, v1, vcc_lo
	s_clause 0x1
	global_load_b128 v[0:3], v[4:5], off
	global_load_b64 v[5:6], v[4:5], off offset:16
	v_mul_lo_u32 v4, v9, s15
	s_delay_alu instid0(VALU_DEP_1) | instskip(NEXT) | instid1(VALU_DEP_1)
	v_add_nc_u32_e32 v10, s12, v4
	v_ashrrev_i32_e32 v11, 31, v10
	s_delay_alu instid0(VALU_DEP_1) | instskip(NEXT) | instid1(VALU_DEP_1)
	v_lshlrev_b64 v[10:11], 2, v[10:11]
	v_add_co_u32 v20, vcc_lo, s10, v10
	s_delay_alu instid0(VALU_DEP_2)
	v_add_co_ci_u32_e32 v21, vcc_lo, s11, v11, vcc_lo
	s_waitcnt vmcnt(1)
	v_lshrrev_b32_e32 v10, 16, v2
	v_lshrrev_b32_e32 v11, 16, v3
	s_waitcnt vmcnt(0)
	v_lshrrev_b32_e32 v12, 16, v5
	v_lshrrev_b32_e32 v13, 16, v6
	v_cvt_f32_u32_e32 v10, v10
	v_cvt_f32_u32_e32 v11, v11
	s_delay_alu instid0(VALU_DEP_4) | instskip(NEXT) | instid1(VALU_DEP_4)
	v_cvt_f32_u32_e32 v12, v12
	v_cvt_f32_u32_e32 v13, v13
	s_delay_alu instid0(VALU_DEP_4) | instskip(NEXT) | instid1(VALU_DEP_4)
	v_mul_f32_e32 v15, 0xbfb8aa3b, v10
	v_mul_f32_e32 v17, 0xbfb8aa3b, v11
	s_delay_alu instid0(VALU_DEP_4) | instskip(NEXT) | instid1(VALU_DEP_4)
	v_mul_f32_e32 v19, 0xbfb8aa3b, v12
	v_mul_f32_e32 v23, 0xbfb8aa3b, v13
	s_delay_alu instid0(VALU_DEP_4) | instskip(SKIP_3) | instid1(VALU_DEP_4)
	v_rndne_f32_e32 v27, v15
	v_and_b32_e32 v2, 0xffff, v2
	v_fma_f32 v26, 0xbfb8aa3b, v10, -v15
	v_rndne_f32_e32 v31, v17
	v_dual_sub_f32 v15, v15, v27 :: v_dual_and_b32 v6, 0xffff, v6
	s_delay_alu instid0(VALU_DEP_4) | instskip(SKIP_1) | instid1(VALU_DEP_4)
	v_cvt_f32_u32_e32 v2, v2
	v_fma_f32 v30, 0xbfb8aa3b, v11, -v17
	v_sub_f32_e32 v17, v17, v31
	s_delay_alu instid0(VALU_DEP_4)
	v_cvt_f32_u32_e32 v6, v6
	v_cvt_i32_f32_e32 v27, v27
	v_mul_f32_e32 v14, 0xbfb8aa3b, v2
	v_cmp_nlt_f32_e32 vcc_lo, 0x42ce8ed0, v2
	v_cvt_i32_f32_e32 v31, v31
	v_mul_f32_e32 v22, 0xbfb8aa3b, v6
	v_rndne_f32_e32 v39, v23
	v_fma_f32 v24, 0xbfb8aa3b, v2, -v14
	v_rndne_f32_e32 v25, v14
	v_and_b32_e32 v3, 0xffff, v3
	v_fma_f32 v38, 0xbfb8aa3b, v13, -v23
	s_delay_alu instid0(VALU_DEP_4) | instskip(NEXT) | instid1(VALU_DEP_4)
	v_dual_sub_f32 v23, v23, v39 :: v_dual_fmac_f32 v24, 0xb2a5705f, v2
	v_sub_f32_e32 v14, v14, v25
	v_and_b32_e32 v5, 0xffff, v5
	v_cvt_f32_u32_e32 v3, v3
	v_fma_f32 v34, 0xbfb8aa3b, v12, -v19
	v_rndne_f32_e32 v35, v19
	v_add_f32_e32 v14, v14, v24
	v_cvt_f32_u32_e32 v5, v5
	v_cvt_i32_f32_e32 v25, v25
	v_mul_f32_e32 v16, 0xbfb8aa3b, v3
	v_fmac_f32_e32 v34, 0xb2a5705f, v12
	v_exp_f32_e32 v14, v14
	v_dual_mul_f32 v18, 0xbfb8aa3b, v5 :: v_dual_sub_f32 v19, v19, v35
	s_delay_alu instid0(VALU_DEP_3) | instskip(SKIP_2) | instid1(VALU_DEP_4)
	v_fma_f32 v28, 0xbfb8aa3b, v3, -v16
	v_rndne_f32_e32 v29, v16
	v_fmac_f32_e32 v30, 0xb2a5705f, v11
	v_fma_f32 v32, 0xbfb8aa3b, v5, -v18
	v_add_f32_e32 v19, v19, v34
	v_rndne_f32_e32 v33, v18
	s_delay_alu instid0(VALU_DEP_4) | instskip(NEXT) | instid1(TRANS32_DEP_1)
	v_dual_sub_f32 v16, v16, v29 :: v_dual_add_f32 v17, v17, v30
	v_ldexp_f32 v14, v14, v25
	s_delay_alu instid0(VALU_DEP_4)
	v_exp_f32_e32 v19, v19
	v_cvt_i32_f32_e32 v35, v35
	v_fmac_f32_e32 v38, 0xb2a5705f, v13
	v_fmac_f32_e32 v32, 0xb2a5705f, v5
	v_cndmask_b32_e32 v14, 0, v14, vcc_lo
	v_cmp_nlt_f32_e32 vcc_lo, 0x42ce8ed0, v10
	v_fmac_f32_e32 v26, 0xb2a5705f, v10
	v_fmac_f32_e32 v28, 0xb2a5705f, v3
	v_cvt_i32_f32_e32 v29, v29
	v_add_f32_e32 v23, v23, v38
	v_ldexp_f32 v19, v19, v35
	s_delay_alu instid0(VALU_DEP_4) | instskip(SKIP_3) | instid1(VALU_DEP_2)
	v_dual_add_f32 v15, v15, v26 :: v_dual_add_f32 v16, v16, v28
	v_sub_f32_e32 v18, v18, v33
	v_exp_f32_e32 v17, v17
	v_exp_f32_e32 v23, v23
	;; [unrolled: 1-line block ×4, first 2 shown]
	v_add_f32_e32 v18, v18, v32
	v_fma_f32 v36, 0xbfb8aa3b, v6, -v22
	v_rndne_f32_e32 v37, v22
	v_cvt_i32_f32_e32 v33, v33
	v_cvt_i32_f32_e32 v26, v39
	v_exp_f32_e32 v18, v18
	v_ldexp_f32 v17, v17, v31
	v_cvt_i32_f32_e32 v24, v37
	v_ldexp_f32 v15, v15, v27
	v_ldexp_f32 v16, v16, v29
	;; [unrolled: 1-line block ×3, first 2 shown]
	s_delay_alu instid0(VALU_DEP_3) | instskip(SKIP_1) | instid1(TRANS32_DEP_1)
	v_dual_fmac_f32 v36, 0xb2a5705f, v6 :: v_dual_cndmask_b32 v15, 0, v15
	v_cmp_nlt_f32_e32 vcc_lo, 0x42ce8ed0, v3
	v_ldexp_f32 v18, v18, v33
	v_cndmask_b32_e32 v16, 0, v16, vcc_lo
	v_cmp_nlt_f32_e32 vcc_lo, 0x42ce8ed0, v11
	v_sub_f32_e32 v22, v22, v37
	v_cndmask_b32_e32 v17, 0, v17, vcc_lo
	v_cmp_nlt_f32_e32 vcc_lo, 0x42ce8ed0, v5
	v_cndmask_b32_e32 v18, 0, v18, vcc_lo
	s_delay_alu instid0(VALU_DEP_4) | instskip(SKIP_1) | instid1(VALU_DEP_2)
	v_add_f32_e32 v22, v22, v36
	v_cmp_nlt_f32_e32 vcc_lo, 0x42ce8ed0, v12
	v_exp_f32_e32 v22, v22
	v_cndmask_b32_e32 v19, 0, v19, vcc_lo
	v_cmp_nlt_f32_e32 vcc_lo, 0x42ce8ed0, v6
	s_waitcnt_depctr 0xfff
	v_ldexp_f32 v22, v22, v24
	s_delay_alu instid0(VALU_DEP_1)
	v_cndmask_b32_e32 v22, 0, v22, vcc_lo
	v_cmp_nlt_f32_e32 vcc_lo, 0x42ce8ed0, v13
	v_cndmask_b32_e32 v23, 0, v23, vcc_lo
	v_cmp_ngt_f32_e32 vcc_lo, 0xc2b17218, v2
	v_cndmask_b32_e32 v2, 0x7f800000, v14, vcc_lo
	v_cmp_ngt_f32_e32 vcc_lo, 0xc2b17218, v10
	;; [unrolled: 2-line block ×4, first 2 shown]
	s_delay_alu instid0(VALU_DEP_2) | instskip(SKIP_2) | instid1(VALU_DEP_3)
	v_add_f32_e32 v3, 1.0, v3
	v_cndmask_b32_e32 v11, 0x7f800000, v17, vcc_lo
	v_cmp_ngt_f32_e32 vcc_lo, 0xc2b17218, v5
	v_div_scale_f32 v16, null, v3, v3, 1.0
	v_cndmask_b32_e32 v5, 0x7f800000, v18, vcc_lo
	v_cmp_ngt_f32_e32 vcc_lo, 0xc2b17218, v12
	v_add_f32_e32 v11, 1.0, v11
	s_delay_alu instid0(VALU_DEP_4) | instskip(SKIP_3) | instid1(VALU_DEP_2)
	v_rcp_f32_e32 v33, v16
	v_div_scale_f32 v18, s3, 1.0, v3, 1.0
	v_dual_add_f32 v5, 1.0, v5 :: v_dual_cndmask_b32 v12, 0x7f800000, v19
	v_cmp_ngt_f32_e32 vcc_lo, 0xc2b17218, v6
	v_div_scale_f32 v24, null, v5, v5, 1.0
	s_waitcnt_depctr 0xfff
	v_fma_f32 v42, -v16, v33, 1.0
	v_div_scale_f32 v25, s5, 1.0, v5, 1.0
	v_rcp_f32_e32 v35, v24
	s_delay_alu instid0(VALU_DEP_2)
	v_fmac_f32_e32 v33, v42, v33
	s_waitcnt_depctr 0xfff
	v_fma_f32 v44, -v24, v35, 1.0
	v_cndmask_b32_e32 v6, 0x7f800000, v22, vcc_lo
	v_cmp_ngt_f32_e32 vcc_lo, 0xc2b17218, v13
	v_div_scale_f32 v22, null, v11, v11, 1.0
	s_delay_alu instid0(VALU_DEP_3) | instskip(SKIP_1) | instid1(VALU_DEP_3)
	v_dual_fmac_f32 v35, v44, v35 :: v_dual_add_f32 v6, 1.0, v6
	v_cndmask_b32_e32 v13, 0x7f800000, v23, vcc_lo
	v_rcp_f32_e32 v34, v22
	v_div_scale_f32 v23, s4, 1.0, v11, 1.0
	s_delay_alu instid0(VALU_DEP_3) | instskip(NEXT) | instid1(VALU_DEP_3)
	v_div_scale_f32 v28, null, v6, v6, 1.0
	v_dual_add_f32 v19, 1.0, v13 :: v_dual_mul_f32 v44, v25, v35
	s_delay_alu instid0(VALU_DEP_2) | instskip(NEXT) | instid1(VALU_DEP_1)
	v_rcp_f32_e32 v37, v28
	v_div_scale_f32 v30, null, v19, v19, 1.0
	v_div_scale_f32 v39, s8, 1.0, v19, 1.0
	s_delay_alu instid0(TRANS32_DEP_2) | instskip(NEXT) | instid1(VALU_DEP_3)
	v_fma_f32 v43, -v22, v34, 1.0
	v_rcp_f32_e32 v38, v30
	v_fma_f32 v52, -v24, v44, v25
	s_waitcnt_depctr 0xfff
	v_fma_f32 v46, -v28, v37, 1.0
	s_delay_alu instid0(VALU_DEP_1) | instskip(SKIP_2) | instid1(VALU_DEP_2)
	v_dual_fmac_f32 v44, v52, v35 :: v_dual_fmac_f32 v37, v46, v37
	v_add_f32_e32 v17, 1.0, v12
	v_fma_f32 v47, -v30, v38, 1.0
	v_div_scale_f32 v26, null, v17, v17, 1.0
	s_delay_alu instid0(VALU_DEP_2) | instskip(SKIP_1) | instid1(VALU_DEP_3)
	v_fmac_f32_e32 v38, v47, v38
	v_div_scale_f32 v27, s6, 1.0, v17, 1.0
	v_rcp_f32_e32 v36, v26
	s_delay_alu instid0(VALU_DEP_2) | instskip(NEXT) | instid1(VALU_DEP_1)
	v_mul_f32_e32 v47, v39, v38
	v_fma_f32 v55, -v30, v47, v39
	v_mul_f32_e32 v42, v18, v33
	s_waitcnt_depctr 0xfff
	v_fma_f32 v45, -v26, v36, 1.0
	v_fma_f32 v50, -v16, v42, v18
	s_delay_alu instid0(VALU_DEP_2) | instskip(SKIP_1) | instid1(VALU_DEP_2)
	v_fmac_f32_e32 v36, v45, v36
	v_add_f32_e32 v10, 1.0, v10
	v_dual_fmac_f32 v42, v50, v33 :: v_dual_mul_f32 v45, v27, v36
	s_delay_alu instid0(VALU_DEP_2) | instskip(SKIP_1) | instid1(VALU_DEP_3)
	v_div_scale_f32 v14, null, v10, v10, 1.0
	v_div_scale_f32 v15, s2, 1.0, v10, 1.0
	v_fma_f32 v53, -v26, v45, v27
	s_delay_alu instid0(VALU_DEP_3) | instskip(NEXT) | instid1(VALU_DEP_1)
	v_rcp_f32_e32 v32, v14
	v_dual_fmac_f32 v34, v43, v34 :: v_dual_fmac_f32 v45, v53, v36
	s_delay_alu instid0(VALU_DEP_1) | instskip(SKIP_3) | instid1(VALU_DEP_2)
	v_mul_f32_e32 v43, v23, v34
	s_waitcnt_depctr 0xfff
	v_fma_f32 v41, -v14, v32, 1.0
	v_fma_f32 v51, -v22, v43, v23
	v_fmac_f32_e32 v32, v41, v32
	v_add_f32_e32 v2, 1.0, v2
	s_delay_alu instid0(VALU_DEP_3) | instskip(NEXT) | instid1(VALU_DEP_3)
	v_fmac_f32_e32 v43, v51, v34
	v_mul_f32_e32 v41, v15, v32
	s_delay_alu instid0(VALU_DEP_3) | instskip(SKIP_1) | instid1(VALU_DEP_3)
	v_div_scale_f32 v12, null, v2, v2, 1.0
	v_div_scale_f32 v13, vcc_lo, 1.0, v2, 1.0
	v_fma_f32 v49, -v14, v41, v15
	s_delay_alu instid0(VALU_DEP_3) | instskip(NEXT) | instid1(VALU_DEP_1)
	v_rcp_f32_e32 v31, v12
	v_fmac_f32_e32 v41, v49, v32
	v_div_scale_f32 v29, s7, 1.0, v6, 1.0
	s_waitcnt_depctr 0xfff
	v_fma_f32 v40, -v12, v31, 1.0
	s_delay_alu instid0(VALU_DEP_1) | instskip(NEXT) | instid1(VALU_DEP_1)
	v_dual_mul_f32 v46, v29, v37 :: v_dual_fmac_f32 v31, v40, v31
	v_fma_f32 v54, -v28, v46, v29
	s_delay_alu instid0(VALU_DEP_2) | instskip(NEXT) | instid1(VALU_DEP_2)
	v_mul_f32_e32 v40, v13, v31
	v_fmac_f32_e32 v46, v54, v37
	s_delay_alu instid0(VALU_DEP_2) | instskip(NEXT) | instid1(VALU_DEP_1)
	v_fma_f32 v48, -v12, v40, v13
	v_fmac_f32_e32 v40, v48, v31
	s_delay_alu instid0(VALU_DEP_1)
	v_fma_f32 v12, -v12, v40, v13
	v_fma_f32 v13, -v14, v41, v15
	;; [unrolled: 1-line block ×5, first 2 shown]
	v_div_fmas_f32 v12, v12, v31, v40
	s_mov_b32 vcc_lo, s2
	v_fma_f32 v18, -v26, v45, v27
	v_div_fmas_f32 v13, v13, v32, v41
	s_mov_b32 vcc_lo, s3
	v_div_fixup_f32 v12, v12, v2, 1.0
	v_div_fmas_f32 v14, v14, v33, v42
	s_mov_b32 vcc_lo, s4
	v_fma_f32 v22, -v28, v46, v29
	v_div_fmas_f32 v2, v15, v34, v43
	s_mov_b32 vcc_lo, s5
	v_div_fixup_f32 v13, v13, v10, 1.0
	v_div_fmas_f32 v10, v16, v35, v44
	s_mov_b32 vcc_lo, s6
	v_div_fixup_f32 v15, v2, v11, 1.0
	v_mov_b32_e32 v11, 0
	v_fmac_f32_e32 v47, v55, v38
	v_div_fixup_f32 v14, v14, v3, 1.0
	v_div_fmas_f32 v3, v18, v36, v45
	s_mov_b32 vcc_lo, s7
	v_div_fixup_f32 v16, v10, v5, 1.0
	v_fma_f32 v23, -v30, v47, v39
	v_div_fmas_f32 v18, v22, v37, v46
	s_mov_b32 vcc_lo, s8
	v_div_fixup_f32 v17, v3, v17, 1.0
	s_cselect_b32 s2, -1, 0
	v_div_fmas_f32 v22, v23, v38, v47
	v_div_fixup_f32 v18, v18, v6, 1.0
	s_cmp_lt_i32 s12, 1
	s_delay_alu instid0(VALU_DEP_2)
	v_div_fixup_f32 v19, v22, v19, 1.0
	s_clause 0x1
	global_store_b128 v[20:21], v[12:15], off
	global_store_b128 v[20:21], v[16:19], off offset:16
	s_cbranch_scc1 .LBB236_8
; %bb.5:
	v_lshrrev_b32_e32 v2, 16, v0
	v_and_b32_e32 v0, 0xffff, v0
	v_ashrrev_i32_e32 v5, 31, v4
	s_load_b128 s[4:7], s[0:1], 0x20
	s_delay_alu instid0(VALU_DEP_3) | instskip(NEXT) | instid1(VALU_DEP_3)
	v_cvt_f32_u32_e32 v13, v2
	v_cvt_f32_u32_e32 v14, v0
	s_delay_alu instid0(VALU_DEP_3) | instskip(NEXT) | instid1(VALU_DEP_2)
	v_lshlrev_b64 v[5:6], 2, v[4:5]
	v_cmp_lt_f32_e32 vcc_lo, v14, v13
	v_cndmask_b32_e32 v2, v14, v13, vcc_lo
	v_and_b32_e32 v0, 0xffff, v1
	v_lshrrev_b32_e32 v1, 16, v1
	s_delay_alu instid0(VALU_DEP_2) | instskip(SKIP_1) | instid1(VALU_DEP_3)
	v_cvt_f32_u32_e32 v12, v0
	v_cndmask_b32_e64 v0, 0, 1, vcc_lo
	v_cvt_f32_u32_e32 v16, v1
	s_delay_alu instid0(VALU_DEP_3) | instskip(SKIP_1) | instid1(VALU_DEP_4)
	v_cmp_lt_f32_e32 vcc_lo, v2, v12
	v_cndmask_b32_e32 v1, v2, v12, vcc_lo
	v_cndmask_b32_e64 v0, v0, 2, vcc_lo
	v_mul_lo_u32 v2, v9, s12
	s_delay_alu instid0(VALU_DEP_3) | instskip(SKIP_1) | instid1(VALU_DEP_4)
	v_cmp_lt_f32_e32 vcc_lo, v1, v16
	v_cndmask_b32_e32 v10, v1, v16, vcc_lo
	v_cndmask_b32_e64 v15, v0, 3, vcc_lo
	v_add_co_u32 v5, vcc_lo, s10, v5
	v_add_co_ci_u32_e32 v6, vcc_lo, s11, v6, vcc_lo
	s_delay_alu instid0(VALU_DEP_4) | instskip(NEXT) | instid1(VALU_DEP_4)
	v_sub_f32_e32 v11, v10, v10
	v_cmp_le_i32_e32 vcc_lo, s13, v15
	v_cmp_gt_i32_e64 s0, s14, v15
	v_subrev_nc_u32_e32 v19, s13, v15
	s_delay_alu instid0(VALU_DEP_4) | instskip(NEXT) | instid1(VALU_DEP_3)
	v_mul_f32_e32 v0, 0x3fb8aa3b, v11
	s_and_b32 s0, vcc_lo, s0
	v_cmp_ngt_f32_e32 vcc_lo, 0xc2ce8ed0, v11
	s_delay_alu instid0(VALU_DEP_2) | instskip(SKIP_1) | instid1(VALU_DEP_2)
	v_fma_f32 v1, 0x3fb8aa3b, v11, -v0
	v_rndne_f32_e32 v17, v0
	v_fmac_f32_e32 v1, 0x32a5705f, v11
	s_delay_alu instid0(VALU_DEP_2) | instskip(SKIP_2) | instid1(VALU_DEP_3)
	v_sub_f32_e32 v3, v0, v17
	v_mul_lo_u32 v0, v9, s16
	v_cvt_i32_f32_e32 v17, v17
	v_add_f32_e32 v3, v3, v1
	s_delay_alu instid0(VALU_DEP_3) | instskip(NEXT) | instid1(VALU_DEP_2)
	v_ashrrev_i32_e32 v1, 31, v0
	v_exp_f32_e32 v18, v3
	v_ashrrev_i32_e32 v3, 31, v2
	s_delay_alu instid0(VALU_DEP_2) | instskip(NEXT) | instid1(VALU_DEP_2)
	v_lshlrev_b64 v[0:1], 2, v[0:1]
	v_lshlrev_b64 v[2:3], 2, v[2:3]
	s_waitcnt_depctr 0xfff
	v_ldexp_f32 v17, v18, v17
	s_delay_alu instid0(VALU_DEP_1)
	v_cndmask_b32_e32 v20, 0, v17, vcc_lo
	s_waitcnt lgkmcnt(0)
	v_add_co_u32 v17, vcc_lo, s4, v0
	v_add_co_ci_u32_e32 v18, vcc_lo, s5, v1, vcc_lo
	s_and_b32 vcc_lo, s18, s0
	s_cmp_eq_u32 s12, 1
	v_cndmask_b32_e32 v21, 4, v19, vcc_lo
	v_cmp_nlt_f32_e32 vcc_lo, 0x42b17218, v11
	v_cndmask_b32_e32 v11, 0x7f800000, v20, vcc_lo
	v_add_co_u32 v19, vcc_lo, s6, v2
	v_add_co_ci_u32_e32 v20, vcc_lo, s7, v3, vcc_lo
	global_store_b32 v[17:18], v21, off
	global_store_b32 v[5:6], v11, off
	;; [unrolled: 1-line block ×3, first 2 shown]
	s_cbranch_scc1 .LBB236_8
; %bb.6:
	v_cmp_ne_u32_e32 vcc_lo, 3, v15
	s_add_i32 s19, s19, s9
	s_add_i32 s3, s12, -1
	v_add3_u32 v7, s19, v8, v7
	v_cndmask_b32_e32 v9, 0xff800000, v16, vcc_lo
	v_cmp_ne_u32_e32 vcc_lo, 2, v15
	v_cndmask_b32_e32 v12, 0xff800000, v12, vcc_lo
	v_cmp_ne_u32_e32 vcc_lo, 1, v15
	;; [unrolled: 2-line block ×3, first 2 shown]
	v_cndmask_b32_e32 v14, 0xff800000, v14, vcc_lo
	v_add_co_u32 v2, vcc_lo, v2, s6
	v_add_co_ci_u32_e32 v3, vcc_lo, s7, v3, vcc_lo
	v_add_co_u32 v15, vcc_lo, v0, s4
	v_add_co_ci_u32_e32 v16, vcc_lo, s5, v1, vcc_lo
	s_delay_alu instid0(VALU_DEP_4) | instskip(NEXT) | instid1(VALU_DEP_4)
	v_add_co_u32 v0, vcc_lo, v2, 4
	v_add_co_ci_u32_e32 v1, vcc_lo, 0, v3, vcc_lo
	s_delay_alu instid0(VALU_DEP_4) | instskip(NEXT) | instid1(VALU_DEP_4)
	v_add_co_u32 v2, vcc_lo, v15, 4
	v_add_co_ci_u32_e32 v3, vcc_lo, 0, v16, vcc_lo
	v_add_co_u32 v5, vcc_lo, v5, 4
	v_add_co_ci_u32_e32 v6, vcc_lo, 0, v6, vcc_lo
.LBB236_7:                              ; =>This Inner Loop Header: Depth=1
	v_cmp_gt_f32_e32 vcc_lo, v13, v14
	s_add_i32 s3, s3, -1
	v_cndmask_b32_e32 v8, v14, v13, vcc_lo
	v_cndmask_b32_e64 v15, 0, 1, vcc_lo
	s_delay_alu instid0(VALU_DEP_2) | instskip(SKIP_1) | instid1(VALU_DEP_3)
	v_cmp_gt_f32_e32 vcc_lo, v12, v8
	v_cndmask_b32_e32 v8, v8, v12, vcc_lo
	v_cndmask_b32_e64 v15, v15, 2, vcc_lo
	s_delay_alu instid0(VALU_DEP_2) | instskip(NEXT) | instid1(VALU_DEP_2)
	v_cmp_gt_f32_e32 vcc_lo, v9, v8
	v_cndmask_b32_e64 v15, v15, 3, vcc_lo
	v_cndmask_b32_e32 v8, v8, v9, vcc_lo
	s_delay_alu instid0(VALU_DEP_2) | instskip(SKIP_3) | instid1(VALU_DEP_3)
	v_cmp_le_i32_e32 vcc_lo, s13, v15
	v_cmp_gt_i32_e64 s0, s14, v15
	v_subrev_nc_u32_e32 v17, s13, v15
	v_cmp_ne_u32_e64 s1, 3, v15
	s_and_b32 s0, vcc_lo, s0
	s_delay_alu instid0(SALU_CYCLE_1) | instskip(NEXT) | instid1(VALU_DEP_1)
	s_and_b32 vcc_lo, s18, s0
	v_cndmask_b32_e64 v9, 0xff800000, v9, s1
	v_cndmask_b32_e32 v17, 4, v17, vcc_lo
	v_cmp_ne_u32_e64 s1, 2, v15
	s_cmp_eq_u32 s3, 0
	global_store_b32 v[2:3], v17, off
	global_store_b32 v[0:1], v7, off
	v_dual_sub_f32 v8, v8, v10 :: v_dual_add_nc_u32 v7, s9, v7
	v_cndmask_b32_e64 v12, 0xff800000, v12, s1
	v_cmp_ne_u32_e64 s1, 1, v15
	v_add_co_u32 v0, vcc_lo, v0, 4
	s_delay_alu instid0(VALU_DEP_4) | instskip(SKIP_1) | instid1(VALU_DEP_4)
	v_mul_f32_e32 v16, 0x3fb8aa3b, v8
	v_add_co_ci_u32_e32 v1, vcc_lo, 0, v1, vcc_lo
	v_cndmask_b32_e64 v13, 0xff800000, v13, s1
	v_cmp_ne_u32_e64 s1, 0, v15
	s_delay_alu instid0(VALU_DEP_4) | instskip(SKIP_3) | instid1(VALU_DEP_3)
	v_fma_f32 v15, 0x3fb8aa3b, v8, -v16
	v_rndne_f32_e32 v18, v16
	v_add_co_u32 v2, vcc_lo, v2, 4
	v_add_co_ci_u32_e32 v3, vcc_lo, 0, v3, vcc_lo
	v_dual_fmac_f32 v15, 0x32a5705f, v8 :: v_dual_sub_f32 v16, v16, v18
	v_cvt_i32_f32_e32 v18, v18
	v_cmp_ngt_f32_e32 vcc_lo, 0xc2ce8ed0, v8
	v_cndmask_b32_e64 v14, 0xff800000, v14, s1
	s_delay_alu instid0(VALU_DEP_4) | instskip(NEXT) | instid1(VALU_DEP_1)
	v_add_f32_e32 v15, v16, v15
	v_exp_f32_e32 v15, v15
	s_waitcnt_depctr 0xfff
	v_ldexp_f32 v15, v15, v18
	s_delay_alu instid0(VALU_DEP_1) | instskip(SKIP_1) | instid1(VALU_DEP_2)
	v_cndmask_b32_e32 v15, 0, v15, vcc_lo
	v_cmp_nlt_f32_e32 vcc_lo, 0x42b17218, v8
	v_cndmask_b32_e32 v8, 0x7f800000, v15, vcc_lo
	global_store_b32 v[5:6], v8, off
	v_add_co_u32 v5, vcc_lo, v5, 4
	v_add_f32_e32 v11, v11, v8
	v_add_co_ci_u32_e32 v6, vcc_lo, 0, v6, vcc_lo
	s_cbranch_scc0 .LBB236_7
.LBB236_8:
	s_delay_alu instid0(VALU_DEP_2)
	v_cmp_neq_f32_e32 vcc_lo, 0, v11
	s_and_b32 exec_lo, exec_lo, vcc_lo
	s_cbranch_execz .LBB236_12
; %bb.9:
	s_and_not1_b32 vcc_lo, exec_lo, s2
	s_cbranch_vccnz .LBB236_12
; %bb.10:
	v_div_scale_f32 v0, null, v11, v11, 1.0
	v_div_scale_f32 v3, vcc_lo, 1.0, v11, 1.0
	s_delay_alu instid0(VALU_DEP_2) | instskip(SKIP_2) | instid1(VALU_DEP_1)
	v_rcp_f32_e32 v1, v0
	s_waitcnt_depctr 0xfff
	v_fma_f32 v2, -v0, v1, 1.0
	v_fmac_f32_e32 v1, v2, v1
	s_delay_alu instid0(VALU_DEP_1) | instskip(NEXT) | instid1(VALU_DEP_1)
	v_mul_f32_e32 v2, v3, v1
	v_fma_f32 v5, -v0, v2, v3
	s_delay_alu instid0(VALU_DEP_1) | instskip(SKIP_1) | instid1(VALU_DEP_2)
	v_fmac_f32_e32 v2, v5, v1
	v_ashrrev_i32_e32 v5, 31, v4
	v_fma_f32 v0, -v0, v2, v3
	s_delay_alu instid0(VALU_DEP_1) | instskip(NEXT) | instid1(VALU_DEP_3)
	v_div_fmas_f32 v2, v0, v1, v2
	v_lshlrev_b64 v[0:1], 2, v[4:5]
	s_delay_alu instid0(VALU_DEP_2) | instskip(NEXT) | instid1(VALU_DEP_2)
	v_div_fixup_f32 v2, v2, v11, 1.0
	v_add_co_u32 v0, vcc_lo, s10, v0
	s_delay_alu instid0(VALU_DEP_3)
	v_add_co_ci_u32_e32 v1, vcc_lo, s11, v1, vcc_lo
.LBB236_11:                             ; =>This Inner Loop Header: Depth=1
	global_load_b32 v3, v[0:1], off
	s_add_i32 s12, s12, -1
	s_delay_alu instid0(SALU_CYCLE_1)
	s_cmp_lg_u32 s12, 0
	s_waitcnt vmcnt(0)
	v_mul_f32_e32 v3, v2, v3
	global_store_b32 v[0:1], v3, off
	v_add_co_u32 v0, vcc_lo, v0, 4
	v_add_co_ci_u32_e32 v1, vcc_lo, 0, v1, vcc_lo
	s_cbranch_scc1 .LBB236_11
.LBB236_12:
	s_nop 0
	s_sendmsg sendmsg(MSG_DEALLOC_VGPRS)
	s_endpgm
	.section	.rodata,"a",@progbits
	.p2align	6, 0x0
	.amdhsa_kernel _ZN4vllm3moe17topkGatingSoftmaxItLi4ELi4ELi8ELi8ELb1ELi8ELNS0_23SharedExpertScoringFuncE1EEEvPKT_PKbPfiPiS9_iiiiii
		.amdhsa_group_segment_fixed_size 0
		.amdhsa_private_segment_fixed_size 0
		.amdhsa_kernarg_size 72
		.amdhsa_user_sgpr_count 15
		.amdhsa_user_sgpr_dispatch_ptr 0
		.amdhsa_user_sgpr_queue_ptr 0
		.amdhsa_user_sgpr_kernarg_segment_ptr 1
		.amdhsa_user_sgpr_dispatch_id 0
		.amdhsa_user_sgpr_private_segment_size 0
		.amdhsa_wavefront_size32 1
		.amdhsa_uses_dynamic_stack 0
		.amdhsa_enable_private_segment 0
		.amdhsa_system_sgpr_workgroup_id_x 1
		.amdhsa_system_sgpr_workgroup_id_y 0
		.amdhsa_system_sgpr_workgroup_id_z 0
		.amdhsa_system_sgpr_workgroup_info 0
		.amdhsa_system_vgpr_workitem_id 1
		.amdhsa_next_free_vgpr 56
		.amdhsa_next_free_sgpr 20
		.amdhsa_reserve_vcc 1
		.amdhsa_float_round_mode_32 0
		.amdhsa_float_round_mode_16_64 0
		.amdhsa_float_denorm_mode_32 3
		.amdhsa_float_denorm_mode_16_64 3
		.amdhsa_dx10_clamp 1
		.amdhsa_ieee_mode 1
		.amdhsa_fp16_overflow 0
		.amdhsa_workgroup_processor_mode 1
		.amdhsa_memory_ordered 1
		.amdhsa_forward_progress 0
		.amdhsa_shared_vgpr_count 0
		.amdhsa_exception_fp_ieee_invalid_op 0
		.amdhsa_exception_fp_denorm_src 0
		.amdhsa_exception_fp_ieee_div_zero 0
		.amdhsa_exception_fp_ieee_overflow 0
		.amdhsa_exception_fp_ieee_underflow 0
		.amdhsa_exception_fp_ieee_inexact 0
		.amdhsa_exception_int_div_zero 0
	.end_amdhsa_kernel
	.section	.text._ZN4vllm3moe17topkGatingSoftmaxItLi4ELi4ELi8ELi8ELb1ELi8ELNS0_23SharedExpertScoringFuncE1EEEvPKT_PKbPfiPiS9_iiiiii,"axG",@progbits,_ZN4vllm3moe17topkGatingSoftmaxItLi4ELi4ELi8ELi8ELb1ELi8ELNS0_23SharedExpertScoringFuncE1EEEvPKT_PKbPfiPiS9_iiiiii,comdat
.Lfunc_end236:
	.size	_ZN4vllm3moe17topkGatingSoftmaxItLi4ELi4ELi8ELi8ELb1ELi8ELNS0_23SharedExpertScoringFuncE1EEEvPKT_PKbPfiPiS9_iiiiii, .Lfunc_end236-_ZN4vllm3moe17topkGatingSoftmaxItLi4ELi4ELi8ELi8ELb1ELi8ELNS0_23SharedExpertScoringFuncE1EEEvPKT_PKbPfiPiS9_iiiiii
                                        ; -- End function
	.section	.AMDGPU.csdata,"",@progbits
; Kernel info:
; codeLenInByte = 2992
; NumSgprs: 22
; NumVgprs: 56
; ScratchSize: 0
; MemoryBound: 0
; FloatMode: 240
; IeeeMode: 1
; LDSByteSize: 0 bytes/workgroup (compile time only)
; SGPRBlocks: 2
; VGPRBlocks: 6
; NumSGPRsForWavesPerEU: 22
; NumVGPRsForWavesPerEU: 56
; Occupancy: 16
; WaveLimiterHint : 0
; COMPUTE_PGM_RSRC2:SCRATCH_EN: 0
; COMPUTE_PGM_RSRC2:USER_SGPR: 15
; COMPUTE_PGM_RSRC2:TRAP_HANDLER: 0
; COMPUTE_PGM_RSRC2:TGID_X_EN: 1
; COMPUTE_PGM_RSRC2:TGID_Y_EN: 0
; COMPUTE_PGM_RSRC2:TGID_Z_EN: 0
; COMPUTE_PGM_RSRC2:TIDIG_COMP_CNT: 1
	.section	.text._ZN4vllm3moe17topkGatingSoftmaxItLi4ELi4ELi8ELi8ELb0ELi8ELNS0_23SharedExpertScoringFuncE1EEEvPKT_PKbPfiPiS9_iiiiii,"axG",@progbits,_ZN4vllm3moe17topkGatingSoftmaxItLi4ELi4ELi8ELi8ELb0ELi8ELNS0_23SharedExpertScoringFuncE1EEEvPKT_PKbPfiPiS9_iiiiii,comdat
	.protected	_ZN4vllm3moe17topkGatingSoftmaxItLi4ELi4ELi8ELi8ELb0ELi8ELNS0_23SharedExpertScoringFuncE1EEEvPKT_PKbPfiPiS9_iiiiii ; -- Begin function _ZN4vllm3moe17topkGatingSoftmaxItLi4ELi4ELi8ELi8ELb0ELi8ELNS0_23SharedExpertScoringFuncE1EEEvPKT_PKbPfiPiS9_iiiiii
	.globl	_ZN4vllm3moe17topkGatingSoftmaxItLi4ELi4ELi8ELi8ELb0ELi8ELNS0_23SharedExpertScoringFuncE1EEEvPKT_PKbPfiPiS9_iiiiii
	.p2align	8
	.type	_ZN4vllm3moe17topkGatingSoftmaxItLi4ELi4ELi8ELi8ELb0ELi8ELNS0_23SharedExpertScoringFuncE1EEEvPKT_PKbPfiPiS9_iiiiii,@function
_ZN4vllm3moe17topkGatingSoftmaxItLi4ELi4ELi8ELi8ELb0ELi8ELNS0_23SharedExpertScoringFuncE1EEEvPKT_PKbPfiPiS9_iiiiii: ; @_ZN4vllm3moe17topkGatingSoftmaxItLi4ELi4ELi8ELi8ELb0ELi8ELNS0_23SharedExpertScoringFuncE1EEEvPKT_PKbPfiPiS9_iiiiii
; %bb.0:
	s_load_b32 s20, s[0:1], 0x18
	v_bfe_u32 v1, v0, 10, 10
	v_and_b32_e32 v8, 0x3ff, v0
	s_lshl_b32 s22, s15, 8
	s_mov_b32 s2, exec_lo
	s_delay_alu instid0(VALU_DEP_2) | instskip(NEXT) | instid1(VALU_DEP_1)
	v_lshlrev_b32_e32 v7, 5, v1
	v_add3_u32 v9, v7, v8, s22
	s_waitcnt lgkmcnt(0)
	s_delay_alu instid0(VALU_DEP_1)
	v_cmpx_gt_i32_e64 s20, v9
	s_cbranch_execz .LBB237_12
; %bb.1:
	s_clause 0x1
	s_load_b128 s[4:7], s[0:1], 0x0
	s_load_b64 s[16:17], s[0:1], 0x10
	s_waitcnt lgkmcnt(0)
	s_cmp_eq_u64 s[6:7], 0
	s_cbranch_scc1 .LBB237_3
; %bb.2:
	v_ashrrev_i32_e32 v1, 31, v9
	v_add_co_u32 v0, vcc_lo, s6, v9
	s_delay_alu instid0(VALU_DEP_2) | instskip(SKIP_3) | instid1(VALU_DEP_1)
	v_add_co_ci_u32_e32 v1, vcc_lo, s7, v1, vcc_lo
	global_load_u8 v0, v[0:1], off
	s_waitcnt vmcnt(0)
	v_and_b32_e32 v0, 1, v0
	v_cmp_eq_u32_e32 vcc_lo, 1, v0
	s_xor_b32 s2, vcc_lo, -1
	s_delay_alu instid0(SALU_CYCLE_1)
	s_or_not1_b32 s21, s2, exec_lo
	s_branch .LBB237_4
.LBB237_3:
	s_mov_b32 s21, -1
.LBB237_4:
	s_clause 0x1
	s_load_b64 s[18:19], s[0:1], 0x40
	s_load_b128 s[12:15], s[0:1], 0x30
	s_waitcnt lgkmcnt(0)
	v_mul_lo_u32 v0, v9, s19
	s_cmp_gt_i32 s12, 0
	s_delay_alu instid0(VALU_DEP_1) | instskip(NEXT) | instid1(VALU_DEP_1)
	v_ashrrev_i32_e32 v1, 31, v0
	v_lshlrev_b64 v[0:1], 1, v[0:1]
	s_delay_alu instid0(VALU_DEP_1) | instskip(NEXT) | instid1(VALU_DEP_2)
	v_add_co_u32 v5, vcc_lo, s4, v0
	v_add_co_ci_u32_e32 v6, vcc_lo, s5, v1, vcc_lo
	v_mul_lo_u32 v0, v9, s15
	s_clause 0x1
	global_load_b128 v[1:4], v[5:6], off
	global_load_b64 v[5:6], v[5:6], off offset:16
	v_add_nc_u32_e32 v10, s12, v0
	s_delay_alu instid0(VALU_DEP_1) | instskip(NEXT) | instid1(VALU_DEP_1)
	v_ashrrev_i32_e32 v11, 31, v10
	v_lshlrev_b64 v[10:11], 2, v[10:11]
	s_delay_alu instid0(VALU_DEP_1) | instskip(NEXT) | instid1(VALU_DEP_2)
	v_add_co_u32 v20, vcc_lo, s16, v10
	v_add_co_ci_u32_e32 v21, vcc_lo, s17, v11, vcc_lo
	s_waitcnt vmcnt(1)
	v_lshrrev_b32_e32 v14, 16, v3
	s_waitcnt vmcnt(0)
	v_lshrrev_b32_e32 v16, 16, v5
	v_and_b32_e32 v5, 0xffff, v5
	v_lshrrev_b32_e32 v15, 16, v4
	v_lshrrev_b32_e32 v10, 16, v1
	v_and_b32_e32 v1, 0xffff, v1
	v_and_b32_e32 v3, 0xffff, v3
	;; [unrolled: 1-line block ×3, first 2 shown]
	v_cvt_f32_u32_e32 v5, v5
	v_lshrrev_b32_e32 v11, 16, v2
	v_and_b32_e32 v2, 0xffff, v2
	v_lshrrev_b32_e32 v17, 16, v6
	v_cvt_f32_u32_e32 v13, v1
	v_cvt_f32_u32_e32 v1, v3
	;; [unrolled: 1-line block ×5, first 2 shown]
	v_mul_f32_e32 v22, 0xbfb8aa3b, v5
	v_cvt_f32_u32_e32 v12, v10
	v_cvt_f32_u32_e32 v10, v11
	;; [unrolled: 1-line block ×3, first 2 shown]
	v_mul_f32_e32 v23, 0xbfb8aa3b, v15
	v_cvt_f32_u32_e32 v2, v14
	v_cvt_f32_u32_e32 v16, v17
	v_dual_mul_f32 v14, 0xbfb8aa3b, v1 :: v_dual_mul_f32 v19, 0xbfb8aa3b, v4
	v_mul_f32_e32 v18, 0xbfb8aa3b, v3
	v_fma_f32 v35, 0xbfb8aa3b, v5, -v22
	s_delay_alu instid0(VALU_DEP_4) | instskip(SKIP_4) | instid1(VALU_DEP_4)
	v_mul_f32_e32 v25, 0xbfb8aa3b, v16
	v_rndne_f32_e32 v36, v22
	v_fma_f32 v33, 0xbfb8aa3b, v4, -v19
	v_rndne_f32_e32 v32, v18
	v_rndne_f32_e32 v34, v19
	v_dual_fmac_f32 v35, 0xb2a5705f, v5 :: v_dual_sub_f32 v22, v22, v36
	v_fma_f32 v31, 0xbfb8aa3b, v3, -v18
	s_delay_alu instid0(VALU_DEP_4) | instskip(SKIP_1) | instid1(VALU_DEP_4)
	v_sub_f32_e32 v18, v18, v32
	v_fmac_f32_e32 v33, 0xb2a5705f, v4
	v_dual_sub_f32 v19, v19, v34 :: v_dual_add_f32 v22, v22, v35
	v_and_b32_e32 v6, 0xffff, v6
	v_fma_f32 v37, 0xbfb8aa3b, v15, -v23
	v_rndne_f32_e32 v38, v23
	s_delay_alu instid0(VALU_DEP_4)
	v_add_f32_e32 v19, v19, v33
	v_mul_f32_e32 v17, 0xbfb8aa3b, v2
	v_cvt_f32_u32_e32 v6, v6
	v_cmp_lt_f32_e64 s2, v13, v12
	v_fma_f32 v27, 0xbfb8aa3b, v1, -v14
	v_rndne_f32_e32 v28, v14
	v_fmac_f32_e32 v37, 0xb2a5705f, v15
	v_sub_f32_e32 v23, v23, v38
	v_mul_f32_e32 v24, 0xbfb8aa3b, v6
	v_cndmask_b32_e64 v26, v13, v12, s2
	v_fma_f32 v29, 0xbfb8aa3b, v2, -v17
	s_delay_alu instid0(VALU_DEP_4) | instskip(NEXT) | instid1(VALU_DEP_4)
	v_dual_sub_f32 v14, v14, v28 :: v_dual_add_f32 v23, v23, v37
	v_rndne_f32_e32 v40, v24
	v_fmac_f32_e32 v27, 0xb2a5705f, v1
	v_fma_f32 v39, 0xbfb8aa3b, v6, -v24
	v_cmp_lt_f32_e64 s3, v26, v11
	v_rndne_f32_e32 v30, v17
	v_dual_sub_f32 v24, v24, v40 :: v_dual_fmac_f32 v29, 0xb2a5705f, v2
	v_add_f32_e32 v14, v14, v27
	s_delay_alu instid0(VALU_DEP_4)
	v_cndmask_b32_e64 v26, v26, v11, s3
	v_cvt_i32_f32_e32 v28, v28
	v_sub_f32_e32 v17, v17, v30
	v_cmp_nlt_f32_e32 vcc_lo, 0x42ce8ed0, v1
	v_exp_f32_e32 v27, v14
	v_cmp_lt_f32_e64 s4, v26, v10
	v_cvt_i32_f32_e32 v30, v30
	v_add_f32_e32 v17, v17, v29
	v_cvt_i32_f32_e32 v32, v32
	v_exp_f32_e32 v19, v19
	v_cndmask_b32_e64 v14, v26, v10, s4
	v_cvt_i32_f32_e32 v34, v34
	v_exp_f32_e32 v17, v17
	v_exp_f32_e32 v22, v22
	v_ldexp_f32 v26, v27, v28
	v_fmac_f32_e32 v31, 0xb2a5705f, v3
	v_fma_f32 v41, 0xbfb8aa3b, v16, -v25
	v_rndne_f32_e32 v42, v25
	v_cvt_i32_f32_e32 v36, v36
	v_cndmask_b32_e32 v26, 0, v26, vcc_lo
	v_add_f32_e32 v18, v18, v31
	v_cmp_nlt_f32_e32 vcc_lo, 0x42ce8ed0, v2
	v_ldexp_f32 v17, v17, v30
	v_fmac_f32_e32 v39, 0xb2a5705f, v6
	v_ldexp_f32 v19, v19, v34
	v_exp_f32_e32 v18, v18
	v_exp_f32_e32 v23, v23
	v_cndmask_b32_e32 v17, 0, v17, vcc_lo
	v_cmp_nlt_f32_e32 vcc_lo, 0x42ce8ed0, v3
	v_dual_sub_f32 v25, v25, v42 :: v_dual_add_f32 v24, v24, v39
	v_ldexp_f32 v22, v22, v36
	v_cvt_i32_f32_e32 v38, v38
	v_cvt_i32_f32_e32 v40, v40
	;; [unrolled: 1-line block ×3, first 2 shown]
	s_delay_alu instid0(TRANS32_DEP_2) | instskip(SKIP_2) | instid1(VALU_DEP_2)
	v_ldexp_f32 v18, v18, v32
	v_exp_f32_e32 v24, v24
	v_ldexp_f32 v23, v23, v38
	v_cndmask_b32_e32 v18, 0, v18, vcc_lo
	v_cmp_nlt_f32_e32 vcc_lo, 0x42ce8ed0, v4
	v_cndmask_b32_e32 v19, 0, v19, vcc_lo
	v_cmp_nlt_f32_e32 vcc_lo, 0x42ce8ed0, v5
	v_fmac_f32_e32 v41, 0xb2a5705f, v16
	s_delay_alu instid0(TRANS32_DEP_1) | instskip(NEXT) | instid1(VALU_DEP_2)
	v_ldexp_f32 v24, v24, v40
	v_dual_cndmask_b32 v22, 0, v22 :: v_dual_add_f32 v25, v25, v41
	v_cmp_nlt_f32_e32 vcc_lo, 0x42ce8ed0, v15
	s_delay_alu instid0(VALU_DEP_2)
	v_exp_f32_e32 v25, v25
	v_cndmask_b32_e32 v23, 0, v23, vcc_lo
	v_cmp_nlt_f32_e32 vcc_lo, 0x42ce8ed0, v6
	v_cndmask_b32_e32 v24, 0, v24, vcc_lo
	v_cmp_nlt_f32_e32 vcc_lo, 0x42ce8ed0, v16
	s_waitcnt_depctr 0xfff
	v_ldexp_f32 v25, v25, v42
	s_delay_alu instid0(VALU_DEP_1)
	v_cndmask_b32_e32 v25, 0, v25, vcc_lo
	v_cmp_ngt_f32_e32 vcc_lo, 0xc2b17218, v1
	v_cndmask_b32_e32 v1, 0x7f800000, v26, vcc_lo
	v_cmp_ngt_f32_e32 vcc_lo, 0xc2b17218, v2
	;; [unrolled: 2-line block ×3, first 2 shown]
	s_delay_alu instid0(VALU_DEP_2) | instskip(SKIP_2) | instid1(VALU_DEP_3)
	v_add_f32_e32 v2, 1.0, v2
	v_cndmask_b32_e32 v3, 0x7f800000, v18, vcc_lo
	v_cmp_ngt_f32_e32 vcc_lo, 0xc2b17218, v4
	v_div_scale_f32 v18, null, v2, v2, 1.0
	v_cndmask_b32_e32 v4, 0x7f800000, v19, vcc_lo
	v_cmp_ngt_f32_e32 vcc_lo, 0xc2b17218, v5
	s_delay_alu instid0(VALU_DEP_3) | instskip(NEXT) | instid1(VALU_DEP_2)
	v_rcp_f32_e32 v35, v18
	v_add_f32_e32 v4, 1.0, v4
	s_delay_alu instid0(VALU_DEP_1)
	v_div_scale_f32 v26, s7, 1.0, v4, 1.0
	v_cndmask_b32_e32 v5, 0x7f800000, v22, vcc_lo
	s_waitcnt_depctr 0xfff
	v_fma_f32 v44, -v18, v35, 1.0
	v_div_scale_f32 v22, s5, 1.0, v2, 1.0
	v_cmp_ngt_f32_e32 vcc_lo, 0xc2b17218, v15
	s_delay_alu instid0(VALU_DEP_3) | instskip(SKIP_2) | instid1(VALU_DEP_3)
	v_fmac_f32_e32 v35, v44, v35
	v_cndmask_b32_e32 v15, 0x7f800000, v23, vcc_lo
	v_cmp_ngt_f32_e32 vcc_lo, 0xc2b17218, v6
	v_mul_f32_e32 v44, v22, v35
	v_dual_add_f32 v3, 1.0, v3 :: v_dual_cndmask_b32 v6, 0x7f800000, v24
	v_cmp_ngt_f32_e32 vcc_lo, 0xc2b17218, v16
	s_delay_alu instid0(VALU_DEP_2) | instskip(NEXT) | instid1(VALU_DEP_4)
	v_div_scale_f32 v23, null, v3, v3, 1.0
	v_fma_f32 v52, -v18, v44, v22
	s_delay_alu instid0(VALU_DEP_4) | instskip(NEXT) | instid1(VALU_DEP_3)
	v_add_f32_e32 v6, 1.0, v6
	v_rcp_f32_e32 v36, v23
	s_delay_alu instid0(VALU_DEP_1) | instskip(SKIP_1) | instid1(VALU_DEP_2)
	v_div_scale_f32 v31, null, v6, v6, 1.0
	v_div_scale_f32 v32, s10, 1.0, v6, 1.0
	v_rcp_f32_e32 v40, v31
	s_waitcnt_depctr 0xfff
	v_fma_f32 v45, -v23, v36, 1.0
	s_delay_alu instid0(VALU_DEP_1) | instskip(SKIP_3) | instid1(VALU_DEP_2)
	v_fmac_f32_e32 v36, v45, v36
	v_cndmask_b32_e32 v16, 0x7f800000, v25, vcc_lo
	v_div_scale_f32 v25, null, v4, v4, 1.0
	v_fma_f32 v49, -v31, v40, 1.0
	v_rcp_f32_e32 v37, v25
	s_delay_alu instid0(VALU_DEP_1) | instskip(NEXT) | instid1(VALU_DEP_1)
	v_dual_fmac_f32 v40, v49, v40 :: v_dual_add_f32 v1, 1.0, v1
	v_mul_f32_e32 v49, v32, v40
	s_delay_alu instid0(VALU_DEP_2) | instskip(SKIP_3) | instid1(VALU_DEP_2)
	v_div_scale_f32 v17, vcc_lo, 1.0, v1, 1.0
	s_waitcnt_depctr 0xfff
	v_fma_f32 v46, -v25, v37, 1.0
	v_fma_f32 v57, -v31, v49, v32
	v_fmac_f32_e32 v37, v46, v37
	s_delay_alu instid0(VALU_DEP_1) | instskip(SKIP_1) | instid1(VALU_DEP_2)
	v_dual_fmac_f32 v49, v57, v40 :: v_dual_mul_f32 v46, v26, v37
	v_add_f32_e32 v5, 1.0, v5
	v_fma_f32 v54, -v25, v46, v26
	s_delay_alu instid0(VALU_DEP_2) | instskip(NEXT) | instid1(VALU_DEP_1)
	v_div_scale_f32 v27, null, v5, v5, 1.0
	v_rcp_f32_e32 v38, v27
	s_waitcnt_depctr 0xfff
	v_fma_f32 v47, -v27, v38, 1.0
	s_delay_alu instid0(VALU_DEP_1) | instskip(NEXT) | instid1(VALU_DEP_1)
	v_dual_fmac_f32 v38, v47, v38 :: v_dual_add_f32 v15, 1.0, v15
	v_div_scale_f32 v29, null, v15, v15, 1.0
	v_div_scale_f32 v30, s9, 1.0, v15, 1.0
	s_delay_alu instid0(VALU_DEP_2) | instskip(SKIP_2) | instid1(VALU_DEP_1)
	v_rcp_f32_e32 v39, v29
	s_waitcnt_depctr 0xfff
	v_fma_f32 v48, -v29, v39, 1.0
	v_fmac_f32_e32 v39, v48, v39
	s_delay_alu instid0(VALU_DEP_1) | instskip(SKIP_1) | instid1(VALU_DEP_2)
	v_mul_f32_e32 v48, v30, v39
	v_div_scale_f32 v28, s8, 1.0, v5, 1.0
	v_fma_f32 v56, -v29, v48, v30
	s_delay_alu instid0(VALU_DEP_2) | instskip(NEXT) | instid1(VALU_DEP_2)
	v_mul_f32_e32 v47, v28, v38
	v_fmac_f32_e32 v48, v56, v39
	v_dual_fmac_f32 v46, v54, v37 :: v_dual_add_f32 v19, 1.0, v16
	v_fmac_f32_e32 v44, v52, v35
	v_div_scale_f32 v16, null, v1, v1, 1.0
	v_fma_f32 v55, -v27, v47, v28
	s_delay_alu instid0(VALU_DEP_4) | instskip(NEXT) | instid1(VALU_DEP_3)
	v_div_scale_f32 v33, null, v19, v19, 1.0
	v_rcp_f32_e32 v34, v16
	v_div_scale_f32 v42, s11, 1.0, v19, 1.0
	s_delay_alu instid0(VALU_DEP_2) | instskip(SKIP_4) | instid1(VALU_DEP_1)
	v_rcp_f32_e32 v41, v33
	v_fmac_f32_e32 v47, v55, v38
	s_waitcnt_depctr 0xfff
	v_fma_f32 v43, -v16, v34, 1.0
	v_fma_f32 v50, -v33, v41, 1.0
	v_dual_fmac_f32 v34, v43, v34 :: v_dual_fmac_f32 v41, v50, v41
	s_delay_alu instid0(VALU_DEP_1) | instskip(SKIP_1) | instid1(VALU_DEP_2)
	v_dual_mul_f32 v43, v17, v34 :: v_dual_mul_f32 v50, v42, v41
	v_div_scale_f32 v24, s6, 1.0, v3, 1.0
	v_fma_f32 v51, -v16, v43, v17
	s_delay_alu instid0(VALU_DEP_3) | instskip(NEXT) | instid1(VALU_DEP_3)
	v_fma_f32 v58, -v33, v50, v42
	v_mul_f32_e32 v45, v24, v36
	s_delay_alu instid0(VALU_DEP_2) | instskip(NEXT) | instid1(VALU_DEP_2)
	v_dual_fmac_f32 v43, v51, v34 :: v_dual_fmac_f32 v50, v58, v41
	v_fma_f32 v53, -v23, v45, v24
	s_delay_alu instid0(VALU_DEP_2) | instskip(SKIP_2) | instid1(VALU_DEP_4)
	v_fma_f32 v16, -v16, v43, v17
	v_fma_f32 v17, -v18, v44, v22
	;; [unrolled: 1-line block ×3, first 2 shown]
	v_fmac_f32_e32 v45, v53, v36
	v_fma_f32 v25, -v31, v49, v32
	v_div_fmas_f32 v16, v16, v34, v43
	s_mov_b32 vcc_lo, s5
	v_fma_f32 v26, -v33, v50, v42
	v_fma_f32 v18, -v23, v45, v24
	v_div_fmas_f32 v17, v17, v35, v44
	s_mov_b32 vcc_lo, s6
	v_fma_f32 v23, -v27, v47, v28
	v_fma_f32 v24, -v29, v48, v30
	v_div_fmas_f32 v18, v18, v36, v45
	s_mov_b32 vcc_lo, s7
	v_div_fixup_f32 v1, v16, v1, 1.0
	v_div_fmas_f32 v16, v22, v37, v46
	s_mov_b32 vcc_lo, s8
	v_div_fixup_f32 v2, v17, v2, 1.0
	;; [unrolled: 3-line block ×5, first 2 shown]
	v_div_fmas_f32 v23, v26, v41, v50
	v_div_fixup_f32 v17, v18, v15, 1.0
	v_mov_b32_e32 v15, 0
	v_div_fixup_f32 v18, v22, v6, 1.0
	s_cselect_b32 s5, -1, 0
	v_div_fixup_f32 v19, v23, v19, 1.0
	s_cmp_lt_i32 s12, 1
	s_clause 0x1
	global_store_b128 v[20:21], v[1:4], off
	global_store_b128 v[20:21], v[16:19], off offset:16
	s_cbranch_scc1 .LBB237_8
; %bb.5:
	v_cndmask_b32_e64 v4, 0, 1, s2
	v_sub_f32_e32 v20, v14, v14
	s_load_b128 s[8:11], s[0:1], 0x20
	v_mul_lo_u32 v2, v9, s18
	v_ashrrev_i32_e32 v1, 31, v0
	v_cndmask_b32_e64 v4, v4, 2, s3
	v_mul_lo_u32 v15, v9, s12
	s_delay_alu instid0(VALU_DEP_3) | instskip(NEXT) | instid1(VALU_DEP_3)
	v_lshlrev_b64 v[5:6], 2, v[0:1]
	v_cndmask_b32_e64 v21, v4, 3, s4
	s_delay_alu instid0(VALU_DEP_3) | instskip(NEXT) | instid1(VALU_DEP_2)
	v_ashrrev_i32_e32 v16, 31, v15
	v_subrev_nc_u32_e32 v22, s13, v21
	v_mul_f32_e32 v3, 0x3fb8aa3b, v20
	v_add_co_u32 v5, vcc_lo, s16, v5
	v_add_co_ci_u32_e32 v6, vcc_lo, s17, v6, vcc_lo
	s_delay_alu instid0(VALU_DEP_3) | instskip(SKIP_3) | instid1(VALU_DEP_4)
	v_rndne_f32_e32 v17, v3
	v_cmp_le_i32_e32 vcc_lo, s13, v21
	v_cmp_gt_i32_e64 s0, s14, v21
	v_cmp_ne_u32_e64 s1, 3, v21
	v_sub_f32_e32 v19, v3, v17
	v_fma_f32 v18, 0x3fb8aa3b, v20, -v3
	v_ashrrev_i32_e32 v3, 31, v2
	s_and_b32 s0, vcc_lo, s0
	v_cndmask_b32_e64 v10, 0xff800000, v10, s1
	s_delay_alu instid0(VALU_DEP_3) | instskip(NEXT) | instid1(VALU_DEP_1)
	v_fmac_f32_e32 v18, 0x32a5705f, v20
	v_add_f32_e32 v1, v19, v18
	s_delay_alu instid0(VALU_DEP_1) | instskip(SKIP_4) | instid1(VALU_DEP_3)
	v_exp_f32_e32 v18, v1
	v_lshlrev_b64 v[1:2], 2, v[2:3]
	v_lshlrev_b64 v[3:4], 2, v[15:16]
	v_cvt_i32_f32_e32 v15, v17
	s_waitcnt lgkmcnt(0)
	v_add_co_u32 v16, vcc_lo, s8, v1
	s_delay_alu instid0(VALU_DEP_4) | instskip(SKIP_3) | instid1(VALU_DEP_2)
	v_add_co_ci_u32_e32 v17, vcc_lo, s9, v2, vcc_lo
	s_waitcnt_depctr 0xfff
	v_ldexp_f32 v15, v18, v15
	v_cmp_ngt_f32_e32 vcc_lo, 0xc2ce8ed0, v20
	v_cndmask_b32_e32 v15, 0, v15, vcc_lo
	v_add_co_u32 v18, vcc_lo, s10, v3
	v_add_co_ci_u32_e32 v19, vcc_lo, s11, v4, vcc_lo
	s_and_b32 vcc_lo, s21, s0
	s_cmp_eq_u32 s12, 1
	v_cndmask_b32_e32 v22, 4, v22, vcc_lo
	v_cmp_nlt_f32_e32 vcc_lo, 0x42b17218, v20
	v_cndmask_b32_e32 v15, 0x7f800000, v15, vcc_lo
	v_cmp_ne_u32_e32 vcc_lo, 2, v21
	global_store_b32 v[5:6], v15, off
	v_cndmask_b32_e32 v11, 0xff800000, v11, vcc_lo
	v_cmp_ne_u32_e32 vcc_lo, 1, v21
	global_store_b32 v[16:17], v22, off
	global_store_b32 v[18:19], v9, off
	v_cndmask_b32_e32 v12, 0xff800000, v12, vcc_lo
	v_cmp_ne_u32_e32 vcc_lo, 0, v21
	v_cndmask_b32_e32 v13, 0xff800000, v13, vcc_lo
	s_cbranch_scc1 .LBB237_8
; %bb.6:
	v_add_co_u32 v3, vcc_lo, v3, s10
	v_add_co_ci_u32_e32 v4, vcc_lo, s11, v4, vcc_lo
	v_add_co_u32 v9, vcc_lo, v1, s8
	v_add_co_ci_u32_e32 v16, vcc_lo, s9, v2, vcc_lo
	s_delay_alu instid0(VALU_DEP_4) | instskip(NEXT) | instid1(VALU_DEP_4)
	v_add_co_u32 v1, vcc_lo, v3, 4
	v_add_co_ci_u32_e32 v2, vcc_lo, 0, v4, vcc_lo
	s_delay_alu instid0(VALU_DEP_4) | instskip(NEXT) | instid1(VALU_DEP_4)
	v_add_co_u32 v3, vcc_lo, v9, 4
	v_add_co_ci_u32_e32 v4, vcc_lo, 0, v16, vcc_lo
	s_add_i32 s22, s22, s20
	v_add_co_u32 v5, vcc_lo, v5, 4
	v_add_co_ci_u32_e32 v6, vcc_lo, 0, v6, vcc_lo
	v_add3_u32 v7, s22, v8, v7
	s_add_i32 s2, s12, -1
.LBB237_7:                              ; =>This Inner Loop Header: Depth=1
	v_cmp_gt_f32_e32 vcc_lo, v12, v13
	s_add_i32 s2, s2, -1
	v_cndmask_b32_e32 v8, v13, v12, vcc_lo
	v_cndmask_b32_e64 v9, 0, 1, vcc_lo
	s_delay_alu instid0(VALU_DEP_2) | instskip(SKIP_1) | instid1(VALU_DEP_3)
	v_cmp_gt_f32_e32 vcc_lo, v11, v8
	v_cndmask_b32_e32 v8, v8, v11, vcc_lo
	v_cndmask_b32_e64 v9, v9, 2, vcc_lo
	s_delay_alu instid0(VALU_DEP_2) | instskip(NEXT) | instid1(VALU_DEP_2)
	v_cmp_gt_f32_e32 vcc_lo, v10, v8
	v_cndmask_b32_e64 v9, v9, 3, vcc_lo
	v_cndmask_b32_e32 v8, v8, v10, vcc_lo
	s_delay_alu instid0(VALU_DEP_2) | instskip(SKIP_3) | instid1(VALU_DEP_3)
	v_cmp_le_i32_e32 vcc_lo, s13, v9
	v_cmp_gt_i32_e64 s0, s14, v9
	v_subrev_nc_u32_e32 v17, s13, v9
	v_cmp_ne_u32_e64 s1, 3, v9
	s_and_b32 s0, vcc_lo, s0
	s_delay_alu instid0(SALU_CYCLE_1) | instskip(NEXT) | instid1(VALU_DEP_1)
	s_and_b32 vcc_lo, s21, s0
	v_cndmask_b32_e64 v10, 0xff800000, v10, s1
	v_cndmask_b32_e32 v17, 4, v17, vcc_lo
	v_cmp_ne_u32_e64 s1, 2, v9
	s_cmp_eq_u32 s2, 0
	global_store_b32 v[3:4], v17, off
	global_store_b32 v[1:2], v7, off
	v_dual_sub_f32 v8, v8, v14 :: v_dual_add_nc_u32 v7, s20, v7
	v_cndmask_b32_e64 v11, 0xff800000, v11, s1
	v_cmp_ne_u32_e64 s1, 1, v9
	v_add_co_u32 v1, vcc_lo, v1, 4
	s_delay_alu instid0(VALU_DEP_4) | instskip(SKIP_1) | instid1(VALU_DEP_4)
	v_mul_f32_e32 v16, 0x3fb8aa3b, v8
	v_add_co_ci_u32_e32 v2, vcc_lo, 0, v2, vcc_lo
	v_cndmask_b32_e64 v12, 0xff800000, v12, s1
	v_cmp_ne_u32_e64 s1, 0, v9
	s_delay_alu instid0(VALU_DEP_4) | instskip(SKIP_3) | instid1(VALU_DEP_3)
	v_fma_f32 v9, 0x3fb8aa3b, v8, -v16
	v_rndne_f32_e32 v18, v16
	v_add_co_u32 v3, vcc_lo, v3, 4
	v_add_co_ci_u32_e32 v4, vcc_lo, 0, v4, vcc_lo
	v_dual_fmac_f32 v9, 0x32a5705f, v8 :: v_dual_sub_f32 v16, v16, v18
	v_cvt_i32_f32_e32 v18, v18
	v_cmp_ngt_f32_e32 vcc_lo, 0xc2ce8ed0, v8
	v_cndmask_b32_e64 v13, 0xff800000, v13, s1
	s_delay_alu instid0(VALU_DEP_4) | instskip(NEXT) | instid1(VALU_DEP_1)
	v_add_f32_e32 v9, v16, v9
	v_exp_f32_e32 v9, v9
	s_waitcnt_depctr 0xfff
	v_ldexp_f32 v9, v9, v18
	s_delay_alu instid0(VALU_DEP_1) | instskip(SKIP_1) | instid1(VALU_DEP_2)
	v_cndmask_b32_e32 v9, 0, v9, vcc_lo
	v_cmp_nlt_f32_e32 vcc_lo, 0x42b17218, v8
	v_cndmask_b32_e32 v8, 0x7f800000, v9, vcc_lo
	global_store_b32 v[5:6], v8, off
	v_add_co_u32 v5, vcc_lo, v5, 4
	v_add_f32_e32 v15, v15, v8
	v_add_co_ci_u32_e32 v6, vcc_lo, 0, v6, vcc_lo
	s_cbranch_scc0 .LBB237_7
.LBB237_8:
	v_sub_f32_e32 v4, v10, v14
	s_delay_alu instid0(VALU_DEP_1) | instskip(NEXT) | instid1(VALU_DEP_1)
	v_dual_sub_f32 v1, v13, v14 :: v_dual_mul_f32 v8, 0x3fb8aa3b, v4
	v_dual_sub_f32 v2, v12, v14 :: v_dual_mul_f32 v5, 0x3fb8aa3b, v1
	v_cmp_ngt_f32_e32 vcc_lo, 0xc2ce8ed0, v1
	s_delay_alu instid0(VALU_DEP_3) | instskip(NEXT) | instid1(VALU_DEP_3)
	v_rndne_f32_e32 v17, v8
	v_fma_f32 v9, 0x3fb8aa3b, v1, -v5
	v_rndne_f32_e32 v10, v5
	s_delay_alu instid0(VALU_DEP_2) | instskip(NEXT) | instid1(VALU_DEP_2)
	v_fmac_f32_e32 v9, 0x32a5705f, v1
	v_sub_f32_e32 v5, v5, v10
	s_delay_alu instid0(VALU_DEP_1) | instskip(NEXT) | instid1(VALU_DEP_1)
	v_dual_mul_f32 v6, 0x3fb8aa3b, v2 :: v_dual_add_f32 v5, v5, v9
	v_rndne_f32_e32 v12, v6
	v_sub_f32_e32 v3, v11, v14
	v_fma_f32 v11, 0x3fb8aa3b, v2, -v6
	v_cvt_i32_f32_e32 v9, v10
	v_exp_f32_e32 v5, v5
	s_delay_alu instid0(VALU_DEP_3) | instskip(NEXT) | instid1(VALU_DEP_3)
	v_dual_sub_f32 v6, v6, v12 :: v_dual_mul_f32 v7, 0x3fb8aa3b, v3
	v_fmac_f32_e32 v11, 0x32a5705f, v2
	v_fma_f32 v16, 0x3fb8aa3b, v4, -v8
	v_sub_f32_e32 v8, v8, v17
	v_cvt_i32_f32_e32 v10, v12
	v_fma_f32 v13, 0x3fb8aa3b, v3, -v7
	v_add_f32_e32 v6, v6, v11
	v_rndne_f32_e32 v14, v7
	v_fmac_f32_e32 v16, 0x32a5705f, v4
	v_ldexp_f32 v5, v5, v9
	v_fmac_f32_e32 v13, 0x32a5705f, v3
	v_exp_f32_e32 v6, v6
	s_delay_alu instid0(VALU_DEP_3) | instskip(NEXT) | instid1(VALU_DEP_3)
	v_dual_sub_f32 v7, v7, v14 :: v_dual_add_f32 v8, v8, v16
	v_cndmask_b32_e32 v5, 0, v5, vcc_lo
	v_cmp_ngt_f32_e32 vcc_lo, 0xc2ce8ed0, v2
	v_cvt_i32_f32_e32 v11, v14
	v_cvt_i32_f32_e32 v9, v17
	v_exp_f32_e32 v8, v8
	s_delay_alu instid0(TRANS32_DEP_2) | instskip(NEXT) | instid1(VALU_DEP_1)
	v_ldexp_f32 v6, v6, v10
	v_dual_add_f32 v7, v7, v13 :: v_dual_cndmask_b32 v6, 0, v6
	s_delay_alu instid0(VALU_DEP_1)
	v_exp_f32_e32 v7, v7
	v_cmp_nlt_f32_e32 vcc_lo, 0x42b17218, v1
	v_cndmask_b32_e32 v1, 0x7f800000, v5, vcc_lo
	v_cmp_nlt_f32_e32 vcc_lo, 0x42b17218, v2
	s_waitcnt_depctr 0xfff
	v_ldexp_f32 v7, v7, v11
	v_cndmask_b32_e32 v2, 0x7f800000, v6, vcc_lo
	v_cmp_ngt_f32_e32 vcc_lo, 0xc2ce8ed0, v3
	v_ldexp_f32 v6, v8, v9
	s_delay_alu instid0(VALU_DEP_3) | instskip(SKIP_2) | instid1(VALU_DEP_2)
	v_add_f32_e32 v1, v1, v2
	v_cndmask_b32_e32 v5, 0, v7, vcc_lo
	v_cmp_nlt_f32_e32 vcc_lo, 0x42b17218, v3
	v_cndmask_b32_e32 v2, 0x7f800000, v5, vcc_lo
	v_cmp_ngt_f32_e32 vcc_lo, 0xc2ce8ed0, v4
	s_delay_alu instid0(VALU_DEP_2) | instskip(SKIP_2) | instid1(VALU_DEP_2)
	v_add_f32_e32 v1, v1, v2
	v_cndmask_b32_e32 v3, 0, v6, vcc_lo
	v_cmp_nlt_f32_e32 vcc_lo, 0x42b17218, v4
	v_cndmask_b32_e32 v2, 0x7f800000, v3, vcc_lo
	s_delay_alu instid0(VALU_DEP_1) | instskip(NEXT) | instid1(VALU_DEP_1)
	v_add_f32_e32 v1, v1, v2
	v_add_f32_e32 v2, v15, v1
	s_delay_alu instid0(VALU_DEP_1)
	v_cmp_neq_f32_e32 vcc_lo, 0, v2
	s_and_b32 exec_lo, exec_lo, vcc_lo
	s_cbranch_execz .LBB237_12
; %bb.9:
	s_and_not1_b32 vcc_lo, exec_lo, s5
	s_cbranch_vccnz .LBB237_12
; %bb.10:
	v_div_scale_f32 v1, null, v2, v2, 1.0
	v_div_scale_f32 v5, vcc_lo, 1.0, v2, 1.0
	s_delay_alu instid0(VALU_DEP_2) | instskip(SKIP_2) | instid1(VALU_DEP_1)
	v_rcp_f32_e32 v3, v1
	s_waitcnt_depctr 0xfff
	v_fma_f32 v4, -v1, v3, 1.0
	v_fmac_f32_e32 v3, v4, v3
	s_delay_alu instid0(VALU_DEP_1) | instskip(NEXT) | instid1(VALU_DEP_1)
	v_mul_f32_e32 v4, v5, v3
	v_fma_f32 v6, -v1, v4, v5
	s_delay_alu instid0(VALU_DEP_1) | instskip(NEXT) | instid1(VALU_DEP_1)
	v_fmac_f32_e32 v4, v6, v3
	v_fma_f32 v5, -v1, v4, v5
	v_ashrrev_i32_e32 v1, 31, v0
	s_delay_alu instid0(VALU_DEP_2) | instskip(NEXT) | instid1(VALU_DEP_2)
	v_div_fmas_f32 v3, v5, v3, v4
	v_lshlrev_b64 v[0:1], 2, v[0:1]
	s_delay_alu instid0(VALU_DEP_2) | instskip(NEXT) | instid1(VALU_DEP_2)
	v_div_fixup_f32 v2, v3, v2, 1.0
	v_add_co_u32 v0, vcc_lo, s16, v0
	s_delay_alu instid0(VALU_DEP_3)
	v_add_co_ci_u32_e32 v1, vcc_lo, s17, v1, vcc_lo
.LBB237_11:                             ; =>This Inner Loop Header: Depth=1
	global_load_b32 v3, v[0:1], off
	s_add_i32 s12, s12, -1
	s_delay_alu instid0(SALU_CYCLE_1)
	s_cmp_lg_u32 s12, 0
	s_waitcnt vmcnt(0)
	v_mul_f32_e32 v3, v2, v3
	global_store_b32 v[0:1], v3, off
	v_add_co_u32 v0, vcc_lo, v0, 4
	v_add_co_ci_u32_e32 v1, vcc_lo, 0, v1, vcc_lo
	s_cbranch_scc1 .LBB237_11
.LBB237_12:
	s_nop 0
	s_sendmsg sendmsg(MSG_DEALLOC_VGPRS)
	s_endpgm
	.section	.rodata,"a",@progbits
	.p2align	6, 0x0
	.amdhsa_kernel _ZN4vllm3moe17topkGatingSoftmaxItLi4ELi4ELi8ELi8ELb0ELi8ELNS0_23SharedExpertScoringFuncE1EEEvPKT_PKbPfiPiS9_iiiiii
		.amdhsa_group_segment_fixed_size 0
		.amdhsa_private_segment_fixed_size 0
		.amdhsa_kernarg_size 72
		.amdhsa_user_sgpr_count 15
		.amdhsa_user_sgpr_dispatch_ptr 0
		.amdhsa_user_sgpr_queue_ptr 0
		.amdhsa_user_sgpr_kernarg_segment_ptr 1
		.amdhsa_user_sgpr_dispatch_id 0
		.amdhsa_user_sgpr_private_segment_size 0
		.amdhsa_wavefront_size32 1
		.amdhsa_uses_dynamic_stack 0
		.amdhsa_enable_private_segment 0
		.amdhsa_system_sgpr_workgroup_id_x 1
		.amdhsa_system_sgpr_workgroup_id_y 0
		.amdhsa_system_sgpr_workgroup_id_z 0
		.amdhsa_system_sgpr_workgroup_info 0
		.amdhsa_system_vgpr_workitem_id 1
		.amdhsa_next_free_vgpr 59
		.amdhsa_next_free_sgpr 23
		.amdhsa_reserve_vcc 1
		.amdhsa_float_round_mode_32 0
		.amdhsa_float_round_mode_16_64 0
		.amdhsa_float_denorm_mode_32 3
		.amdhsa_float_denorm_mode_16_64 3
		.amdhsa_dx10_clamp 1
		.amdhsa_ieee_mode 1
		.amdhsa_fp16_overflow 0
		.amdhsa_workgroup_processor_mode 1
		.amdhsa_memory_ordered 1
		.amdhsa_forward_progress 0
		.amdhsa_shared_vgpr_count 0
		.amdhsa_exception_fp_ieee_invalid_op 0
		.amdhsa_exception_fp_denorm_src 0
		.amdhsa_exception_fp_ieee_div_zero 0
		.amdhsa_exception_fp_ieee_overflow 0
		.amdhsa_exception_fp_ieee_underflow 0
		.amdhsa_exception_fp_ieee_inexact 0
		.amdhsa_exception_int_div_zero 0
	.end_amdhsa_kernel
	.section	.text._ZN4vllm3moe17topkGatingSoftmaxItLi4ELi4ELi8ELi8ELb0ELi8ELNS0_23SharedExpertScoringFuncE1EEEvPKT_PKbPfiPiS9_iiiiii,"axG",@progbits,_ZN4vllm3moe17topkGatingSoftmaxItLi4ELi4ELi8ELi8ELb0ELi8ELNS0_23SharedExpertScoringFuncE1EEEvPKT_PKbPfiPiS9_iiiiii,comdat
.Lfunc_end237:
	.size	_ZN4vllm3moe17topkGatingSoftmaxItLi4ELi4ELi8ELi8ELb0ELi8ELNS0_23SharedExpertScoringFuncE1EEEvPKT_PKbPfiPiS9_iiiiii, .Lfunc_end237-_ZN4vllm3moe17topkGatingSoftmaxItLi4ELi4ELi8ELi8ELb0ELi8ELNS0_23SharedExpertScoringFuncE1EEEvPKT_PKbPfiPiS9_iiiiii
                                        ; -- End function
	.section	.AMDGPU.csdata,"",@progbits
; Kernel info:
; codeLenInByte = 3388
; NumSgprs: 25
; NumVgprs: 59
; ScratchSize: 0
; MemoryBound: 0
; FloatMode: 240
; IeeeMode: 1
; LDSByteSize: 0 bytes/workgroup (compile time only)
; SGPRBlocks: 3
; VGPRBlocks: 7
; NumSGPRsForWavesPerEU: 25
; NumVGPRsForWavesPerEU: 59
; Occupancy: 16
; WaveLimiterHint : 0
; COMPUTE_PGM_RSRC2:SCRATCH_EN: 0
; COMPUTE_PGM_RSRC2:USER_SGPR: 15
; COMPUTE_PGM_RSRC2:TRAP_HANDLER: 0
; COMPUTE_PGM_RSRC2:TGID_X_EN: 1
; COMPUTE_PGM_RSRC2:TGID_Y_EN: 0
; COMPUTE_PGM_RSRC2:TGID_Z_EN: 0
; COMPUTE_PGM_RSRC2:TIDIG_COMP_CNT: 1
	.section	.text._ZN4vllm3moe17topkGatingSoftmaxItLi8ELi8ELi8ELi16ELb1ELi0ELNS0_23SharedExpertScoringFuncE0EEEvPKT_PKbPfiPiS9_iiiiii,"axG",@progbits,_ZN4vllm3moe17topkGatingSoftmaxItLi8ELi8ELi8ELi16ELb1ELi0ELNS0_23SharedExpertScoringFuncE0EEEvPKT_PKbPfiPiS9_iiiiii,comdat
	.protected	_ZN4vllm3moe17topkGatingSoftmaxItLi8ELi8ELi8ELi16ELb1ELi0ELNS0_23SharedExpertScoringFuncE0EEEvPKT_PKbPfiPiS9_iiiiii ; -- Begin function _ZN4vllm3moe17topkGatingSoftmaxItLi8ELi8ELi8ELi16ELb1ELi0ELNS0_23SharedExpertScoringFuncE0EEEvPKT_PKbPfiPiS9_iiiiii
	.globl	_ZN4vllm3moe17topkGatingSoftmaxItLi8ELi8ELi8ELi16ELb1ELi0ELNS0_23SharedExpertScoringFuncE0EEEvPKT_PKbPfiPiS9_iiiiii
	.p2align	8
	.type	_ZN4vllm3moe17topkGatingSoftmaxItLi8ELi8ELi8ELi16ELb1ELi0ELNS0_23SharedExpertScoringFuncE0EEEvPKT_PKbPfiPiS9_iiiiii,@function
_ZN4vllm3moe17topkGatingSoftmaxItLi8ELi8ELi8ELi16ELb1ELi0ELNS0_23SharedExpertScoringFuncE0EEEvPKT_PKbPfiPiS9_iiiiii: ; @_ZN4vllm3moe17topkGatingSoftmaxItLi8ELi8ELi8ELi16ELb1ELi0ELNS0_23SharedExpertScoringFuncE0EEEvPKT_PKbPfiPiS9_iiiiii
; %bb.0:
	s_load_b32 s16, s[0:1], 0x18
	v_bfe_u32 v1, v0, 10, 10
	v_and_b32_e32 v10, 0x3ff, v0
	s_lshl_b32 s19, s15, 8
	s_mov_b32 s2, exec_lo
	s_delay_alu instid0(VALU_DEP_2) | instskip(NEXT) | instid1(VALU_DEP_1)
	v_lshlrev_b32_e32 v9, 5, v1
	v_add3_u32 v6, v9, v10, s19
	s_waitcnt lgkmcnt(0)
	s_delay_alu instid0(VALU_DEP_1)
	v_cmpx_gt_i32_e64 s16, v6
	s_cbranch_execz .LBB238_13
; %bb.1:
	s_clause 0x1
	s_load_b128 s[12:15], s[0:1], 0x0
	s_load_b64 s[2:3], s[0:1], 0x10
	s_waitcnt lgkmcnt(0)
	s_cmp_eq_u64 s[14:15], 0
	s_cbranch_scc1 .LBB238_3
; %bb.2:
	v_ashrrev_i32_e32 v1, 31, v6
	v_add_co_u32 v0, vcc_lo, s14, v6
	s_delay_alu instid0(VALU_DEP_2) | instskip(SKIP_3) | instid1(VALU_DEP_1)
	v_add_co_ci_u32_e32 v1, vcc_lo, s15, v1, vcc_lo
	global_load_u8 v0, v[0:1], off
	s_waitcnt vmcnt(0)
	v_and_b32_e32 v0, 1, v0
	v_cmp_eq_u32_e32 vcc_lo, 1, v0
	s_xor_b32 s4, vcc_lo, -1
	s_delay_alu instid0(SALU_CYCLE_1)
	s_or_not1_b32 s18, s4, exec_lo
	s_branch .LBB238_4
.LBB238_3:
	s_mov_b32 s18, -1
.LBB238_4:
	s_load_b128 s[4:7], s[0:1], 0x30
	s_waitcnt lgkmcnt(0)
	s_cmp_gt_i32 s4, 0
	s_cselect_b32 s17, -1, 0
	s_cmp_lt_i32 s4, 1
	s_cbranch_scc1 .LBB238_9
; %bb.5:
	s_clause 0x1
	s_load_b64 s[14:15], s[0:1], 0x40
	s_load_b128 s[8:11], s[0:1], 0x20
	s_waitcnt lgkmcnt(0)
	v_mul_lo_u32 v0, v6, s15
	v_mul_lo_u32 v20, v6, s14
	s_delay_alu instid0(VALU_DEP_2) | instskip(NEXT) | instid1(VALU_DEP_1)
	v_ashrrev_i32_e32 v1, 31, v0
	v_lshlrev_b64 v[0:1], 1, v[0:1]
	s_delay_alu instid0(VALU_DEP_1) | instskip(NEXT) | instid1(VALU_DEP_2)
	v_add_co_u32 v0, vcc_lo, s12, v0
	v_add_co_ci_u32_e32 v1, vcc_lo, s13, v1, vcc_lo
	global_load_b128 v[0:3], v[0:1], off
	s_waitcnt vmcnt(0)
	v_lshrrev_b32_e32 v4, 16, v0
	v_and_b32_e32 v0, 0xffff, v0
	s_delay_alu instid0(VALU_DEP_2) | instskip(NEXT) | instid1(VALU_DEP_2)
	v_cvt_f32_u32_e32 v17, v4
	v_cvt_f32_u32_e32 v18, v0
	s_delay_alu instid0(VALU_DEP_1) | instskip(SKIP_3) | instid1(VALU_DEP_2)
	v_cmp_lt_f32_e32 vcc_lo, v18, v17
	v_cndmask_b32_e32 v4, v18, v17, vcc_lo
	v_and_b32_e32 v0, 0xffff, v1
	v_lshrrev_b32_e32 v1, 16, v1
	v_cvt_f32_u32_e32 v16, v0
	v_cndmask_b32_e64 v0, 0, 1, vcc_lo
	s_delay_alu instid0(VALU_DEP_3) | instskip(NEXT) | instid1(VALU_DEP_3)
	v_cvt_f32_u32_e32 v15, v1
	v_cmp_lt_f32_e32 vcc_lo, v4, v16
	v_cndmask_b32_e32 v1, v4, v16, vcc_lo
	s_delay_alu instid0(VALU_DEP_4) | instskip(SKIP_2) | instid1(VALU_DEP_4)
	v_cndmask_b32_e64 v0, v0, 2, vcc_lo
	v_and_b32_e32 v4, 0xffff, v2
	v_lshrrev_b32_e32 v2, 16, v2
	v_cmp_lt_f32_e32 vcc_lo, v1, v15
	s_delay_alu instid0(VALU_DEP_3) | instskip(NEXT) | instid1(VALU_DEP_3)
	v_cvt_f32_u32_e32 v14, v4
	v_cvt_f32_u32_e32 v13, v2
	v_cndmask_b32_e32 v1, v1, v15, vcc_lo
	v_cndmask_b32_e64 v0, v0, 3, vcc_lo
	s_delay_alu instid0(VALU_DEP_2) | instskip(SKIP_1) | instid1(VALU_DEP_3)
	v_cmp_lt_f32_e32 vcc_lo, v1, v14
	v_cndmask_b32_e32 v1, v1, v14, vcc_lo
	v_cndmask_b32_e64 v0, v0, 4, vcc_lo
	s_delay_alu instid0(VALU_DEP_2) | instskip(SKIP_1) | instid1(VALU_DEP_3)
	v_cmp_lt_f32_e32 vcc_lo, v1, v13
	v_dual_cndmask_b32 v1, v1, v13 :: v_dual_and_b32 v2, 0xffff, v3
	v_cndmask_b32_e64 v0, v0, 5, vcc_lo
	s_delay_alu instid0(VALU_DEP_2) | instskip(SKIP_1) | instid1(VALU_DEP_2)
	v_cvt_f32_u32_e32 v12, v2
	v_lshrrev_b32_e32 v2, 16, v3
	v_cmp_lt_f32_e32 vcc_lo, v1, v12
	s_delay_alu instid0(VALU_DEP_2) | instskip(SKIP_3) | instid1(VALU_DEP_2)
	v_cvt_f32_u32_e32 v11, v2
	v_mul_lo_u32 v2, v6, s4
	v_cndmask_b32_e32 v1, v1, v12, vcc_lo
	v_cndmask_b32_e64 v0, v0, 6, vcc_lo
	v_cmp_lt_f32_e32 vcc_lo, v1, v11
	v_cndmask_b32_e32 v7, v1, v11, vcc_lo
	s_delay_alu instid0(VALU_DEP_3) | instskip(SKIP_1) | instid1(VALU_DEP_3)
	v_cndmask_b32_e64 v19, v0, 7, vcc_lo
	v_mul_lo_u32 v0, v6, s7
	v_sub_f32_e32 v8, v7, v7
	s_delay_alu instid0(VALU_DEP_3) | instskip(SKIP_1) | instid1(VALU_DEP_3)
	v_cmp_le_i32_e32 vcc_lo, s5, v19
	v_cmp_gt_i32_e64 s0, s6, v19
	v_mul_f32_e32 v1, 0x3fb8aa3b, v8
	s_delay_alu instid0(VALU_DEP_2) | instskip(SKIP_1) | instid1(VALU_DEP_2)
	s_and_b32 s0, vcc_lo, s0
	v_cmp_ngt_f32_e32 vcc_lo, 0xc2ce8ed0, v8
	v_fma_f32 v3, 0x3fb8aa3b, v8, -v1
	v_rndne_f32_e32 v22, v1
	s_delay_alu instid0(VALU_DEP_1) | instskip(SKIP_1) | instid1(VALU_DEP_2)
	v_dual_fmac_f32 v3, 0x32a5705f, v8 :: v_dual_sub_f32 v4, v1, v22
	v_ashrrev_i32_e32 v1, 31, v0
	v_add_f32_e32 v21, v4, v3
	v_ashrrev_i32_e32 v3, 31, v2
	s_delay_alu instid0(VALU_DEP_3) | instskip(NEXT) | instid1(VALU_DEP_3)
	v_lshlrev_b64 v[4:5], 2, v[0:1]
	v_exp_f32_e32 v23, v21
	s_delay_alu instid0(VALU_DEP_2) | instskip(SKIP_2) | instid1(VALU_DEP_4)
	v_lshlrev_b64 v[0:1], 2, v[2:3]
	v_ashrrev_i32_e32 v21, 31, v20
	v_cvt_i32_f32_e32 v2, v22
	v_add_co_u32 v4, s1, s2, v4
	s_delay_alu instid0(VALU_DEP_1) | instskip(SKIP_4) | instid1(VALU_DEP_3)
	v_add_co_ci_u32_e64 v5, s1, s3, v5, s1
	s_waitcnt_depctr 0xfff
	v_ldexp_f32 v22, v23, v2
	v_lshlrev_b64 v[2:3], 2, v[20:21]
	v_subrev_nc_u32_e32 v23, s5, v19
	v_cndmask_b32_e32 v22, 0, v22, vcc_lo
	s_delay_alu instid0(VALU_DEP_3) | instskip(NEXT) | instid1(VALU_DEP_4)
	v_add_co_u32 v20, vcc_lo, s8, v2
	v_add_co_ci_u32_e32 v21, vcc_lo, s9, v3, vcc_lo
	s_and_b32 vcc_lo, s18, s0
	s_cmp_eq_u32 s4, 1
	v_cndmask_b32_e32 v24, 8, v23, vcc_lo
	v_cmp_nlt_f32_e32 vcc_lo, 0x42b17218, v8
	v_cndmask_b32_e32 v8, 0x7f800000, v22, vcc_lo
	v_add_co_u32 v22, vcc_lo, s10, v0
	v_add_co_ci_u32_e32 v23, vcc_lo, s11, v1, vcc_lo
	global_store_b32 v[20:21], v24, off
	global_store_b32 v[4:5], v8, off
	;; [unrolled: 1-line block ×3, first 2 shown]
	s_cbranch_scc1 .LBB238_8
; %bb.6:
	v_cmp_ne_u32_e32 vcc_lo, 7, v19
	s_add_i32 s19, s19, s16
	s_delay_alu instid0(SALU_CYCLE_1)
	v_add3_u32 v9, s19, v10, v9
	v_cndmask_b32_e32 v11, 0xff800000, v11, vcc_lo
	v_cmp_ne_u32_e32 vcc_lo, 6, v19
	v_cndmask_b32_e32 v12, 0xff800000, v12, vcc_lo
	v_cmp_ne_u32_e32 vcc_lo, 5, v19
	;; [unrolled: 2-line block ×7, first 2 shown]
	v_cndmask_b32_e32 v18, 0xff800000, v18, vcc_lo
	v_add_co_u32 v0, vcc_lo, v0, s10
	v_add_co_ci_u32_e32 v1, vcc_lo, s11, v1, vcc_lo
	v_add_co_u32 v2, vcc_lo, v2, s8
	v_add_co_ci_u32_e32 v3, vcc_lo, s9, v3, vcc_lo
	s_delay_alu instid0(VALU_DEP_4) | instskip(NEXT) | instid1(VALU_DEP_4)
	v_add_co_u32 v0, vcc_lo, v0, 4
	v_add_co_ci_u32_e32 v1, vcc_lo, 0, v1, vcc_lo
	s_delay_alu instid0(VALU_DEP_4) | instskip(NEXT) | instid1(VALU_DEP_4)
	v_add_co_u32 v2, vcc_lo, v2, 4
	v_add_co_ci_u32_e32 v3, vcc_lo, 0, v3, vcc_lo
	v_add_co_u32 v4, vcc_lo, v4, 4
	v_add_co_ci_u32_e32 v5, vcc_lo, 0, v5, vcc_lo
	s_add_i32 s8, s4, -1
.LBB238_7:                              ; =>This Inner Loop Header: Depth=1
	v_cmp_gt_f32_e32 vcc_lo, v17, v18
	s_add_i32 s8, s8, -1
	v_cndmask_b32_e32 v10, v18, v17, vcc_lo
	v_cndmask_b32_e64 v19, 0, 1, vcc_lo
	s_delay_alu instid0(VALU_DEP_2) | instskip(SKIP_1) | instid1(VALU_DEP_3)
	v_cmp_gt_f32_e32 vcc_lo, v16, v10
	v_cndmask_b32_e32 v10, v10, v16, vcc_lo
	v_cndmask_b32_e64 v19, v19, 2, vcc_lo
	s_delay_alu instid0(VALU_DEP_2) | instskip(SKIP_1) | instid1(VALU_DEP_3)
	v_cmp_gt_f32_e32 vcc_lo, v15, v10
	;; [unrolled: 4-line block ×5, first 2 shown]
	v_cndmask_b32_e32 v10, v10, v12, vcc_lo
	v_cndmask_b32_e64 v19, v19, 6, vcc_lo
	s_delay_alu instid0(VALU_DEP_2) | instskip(NEXT) | instid1(VALU_DEP_2)
	v_cmp_gt_f32_e32 vcc_lo, v11, v10
	v_cndmask_b32_e64 v19, v19, 7, vcc_lo
	v_cndmask_b32_e32 v10, v10, v11, vcc_lo
	s_delay_alu instid0(VALU_DEP_2) | instskip(NEXT) | instid1(VALU_DEP_2)
	v_cmp_ne_u32_e64 s1, 7, v19
	v_sub_f32_e32 v10, v10, v7
	v_cmp_le_i32_e32 vcc_lo, s5, v19
	v_cmp_gt_i32_e64 s0, s6, v19
	v_subrev_nc_u32_e32 v21, s5, v19
	v_cndmask_b32_e64 v11, 0xff800000, v11, s1
	v_cmp_ne_u32_e64 s1, 6, v19
	v_mul_f32_e32 v20, 0x3fb8aa3b, v10
	s_and_b32 s0, vcc_lo, s0
	s_delay_alu instid0(SALU_CYCLE_1) | instskip(NEXT) | instid1(VALU_DEP_2)
	s_and_b32 vcc_lo, s18, s0
	v_cndmask_b32_e64 v12, 0xff800000, v12, s1
	v_cmp_ne_u32_e64 s1, 5, v19
	v_rndne_f32_e32 v22, v20
	v_cndmask_b32_e32 v21, 8, v21, vcc_lo
	global_store_b32 v[2:3], v21, off
	global_store_b32 v[0:1], v9, off
	v_cndmask_b32_e64 v13, 0xff800000, v13, s1
	v_cmp_ne_u32_e64 s1, 4, v19
	v_add_co_u32 v0, vcc_lo, v0, 4
	v_add_co_ci_u32_e32 v1, vcc_lo, 0, v1, vcc_lo
	s_delay_alu instid0(VALU_DEP_3) | instskip(SKIP_3) | instid1(VALU_DEP_3)
	v_cndmask_b32_e64 v14, 0xff800000, v14, s1
	v_cmp_ne_u32_e64 s1, 3, v19
	v_add_co_u32 v2, vcc_lo, v2, 4
	v_add_co_ci_u32_e32 v3, vcc_lo, 0, v3, vcc_lo
	v_cndmask_b32_e64 v15, 0xff800000, v15, s1
	v_cmp_ne_u32_e64 s1, 2, v19
	v_cmp_ngt_f32_e32 vcc_lo, 0xc2ce8ed0, v10
	v_add_nc_u32_e32 v9, s16, v9
	s_cmp_eq_u32 s8, 0
	s_delay_alu instid0(VALU_DEP_3) | instskip(SKIP_1) | instid1(VALU_DEP_1)
	v_cndmask_b32_e64 v16, 0xff800000, v16, s1
	v_cmp_ne_u32_e64 s1, 1, v19
	v_cndmask_b32_e64 v17, 0xff800000, v17, s1
	v_cmp_ne_u32_e64 s1, 0, v19
	v_fma_f32 v19, 0x3fb8aa3b, v10, -v20
	v_sub_f32_e32 v20, v20, v22
	v_cvt_i32_f32_e32 v22, v22
	s_delay_alu instid0(VALU_DEP_4) | instskip(NEXT) | instid1(VALU_DEP_4)
	v_cndmask_b32_e64 v18, 0xff800000, v18, s1
	v_fmac_f32_e32 v19, 0x32a5705f, v10
	s_delay_alu instid0(VALU_DEP_1) | instskip(NEXT) | instid1(VALU_DEP_1)
	v_add_f32_e32 v19, v20, v19
	v_exp_f32_e32 v19, v19
	s_waitcnt_depctr 0xfff
	v_ldexp_f32 v19, v19, v22
	s_delay_alu instid0(VALU_DEP_1) | instskip(SKIP_1) | instid1(VALU_DEP_2)
	v_cndmask_b32_e32 v19, 0, v19, vcc_lo
	v_cmp_nlt_f32_e32 vcc_lo, 0x42b17218, v10
	v_cndmask_b32_e32 v10, 0x7f800000, v19, vcc_lo
	global_store_b32 v[4:5], v10, off
	v_add_co_u32 v4, vcc_lo, v4, 4
	v_add_f32_e32 v8, v8, v10
	v_add_co_ci_u32_e32 v5, vcc_lo, 0, v5, vcc_lo
	s_cbranch_scc0 .LBB238_7
.LBB238_8:
	s_delay_alu instid0(VALU_DEP_2)
	v_cmp_neq_f32_e32 vcc_lo, 0, v8
	s_and_b32 exec_lo, exec_lo, vcc_lo
	s_cbranch_execnz .LBB238_10
	s_branch .LBB238_13
.LBB238_9:
	v_mov_b32_e32 v8, 0
	s_delay_alu instid0(VALU_DEP_1)
	v_cmp_neq_f32_e32 vcc_lo, 0, v8
	s_and_b32 exec_lo, exec_lo, vcc_lo
	s_cbranch_execz .LBB238_13
.LBB238_10:
	s_and_not1_b32 vcc_lo, exec_lo, s17
	s_cbranch_vccnz .LBB238_13
; %bb.11:
	v_div_scale_f32 v1, null, v8, v8, 1.0
	v_div_scale_f32 v3, vcc_lo, 1.0, v8, 1.0
	s_delay_alu instid0(VALU_DEP_2) | instskip(SKIP_2) | instid1(VALU_DEP_1)
	v_rcp_f32_e32 v2, v1
	s_waitcnt_depctr 0xfff
	v_fma_f32 v0, -v1, v2, 1.0
	v_fmac_f32_e32 v2, v0, v2
	v_mul_lo_u32 v0, v6, s7
	s_delay_alu instid0(VALU_DEP_2) | instskip(NEXT) | instid1(VALU_DEP_1)
	v_mul_f32_e32 v4, v3, v2
	v_fma_f32 v5, -v1, v4, v3
	s_delay_alu instid0(VALU_DEP_1) | instskip(NEXT) | instid1(VALU_DEP_1)
	v_fmac_f32_e32 v4, v5, v2
	v_fma_f32 v3, -v1, v4, v3
	v_ashrrev_i32_e32 v1, 31, v0
	s_delay_alu instid0(VALU_DEP_2) | instskip(NEXT) | instid1(VALU_DEP_2)
	v_div_fmas_f32 v2, v3, v2, v4
	v_lshlrev_b64 v[0:1], 2, v[0:1]
	s_delay_alu instid0(VALU_DEP_2) | instskip(NEXT) | instid1(VALU_DEP_2)
	v_div_fixup_f32 v2, v2, v8, 1.0
	v_add_co_u32 v0, vcc_lo, s2, v0
	s_delay_alu instid0(VALU_DEP_3)
	v_add_co_ci_u32_e32 v1, vcc_lo, s3, v1, vcc_lo
.LBB238_12:                             ; =>This Inner Loop Header: Depth=1
	global_load_b32 v3, v[0:1], off
	s_add_i32 s4, s4, -1
	s_delay_alu instid0(SALU_CYCLE_1)
	s_cmp_lg_u32 s4, 0
	s_waitcnt vmcnt(0)
	v_mul_f32_e32 v3, v2, v3
	global_store_b32 v[0:1], v3, off
	v_add_co_u32 v0, vcc_lo, v0, 4
	v_add_co_ci_u32_e32 v1, vcc_lo, 0, v1, vcc_lo
	s_cbranch_scc1 .LBB238_12
.LBB238_13:
	s_nop 0
	s_sendmsg sendmsg(MSG_DEALLOC_VGPRS)
	s_endpgm
	.section	.rodata,"a",@progbits
	.p2align	6, 0x0
	.amdhsa_kernel _ZN4vllm3moe17topkGatingSoftmaxItLi8ELi8ELi8ELi16ELb1ELi0ELNS0_23SharedExpertScoringFuncE0EEEvPKT_PKbPfiPiS9_iiiiii
		.amdhsa_group_segment_fixed_size 0
		.amdhsa_private_segment_fixed_size 0
		.amdhsa_kernarg_size 72
		.amdhsa_user_sgpr_count 15
		.amdhsa_user_sgpr_dispatch_ptr 0
		.amdhsa_user_sgpr_queue_ptr 0
		.amdhsa_user_sgpr_kernarg_segment_ptr 1
		.amdhsa_user_sgpr_dispatch_id 0
		.amdhsa_user_sgpr_private_segment_size 0
		.amdhsa_wavefront_size32 1
		.amdhsa_uses_dynamic_stack 0
		.amdhsa_enable_private_segment 0
		.amdhsa_system_sgpr_workgroup_id_x 1
		.amdhsa_system_sgpr_workgroup_id_y 0
		.amdhsa_system_sgpr_workgroup_id_z 0
		.amdhsa_system_sgpr_workgroup_info 0
		.amdhsa_system_vgpr_workitem_id 1
		.amdhsa_next_free_vgpr 25
		.amdhsa_next_free_sgpr 20
		.amdhsa_reserve_vcc 1
		.amdhsa_float_round_mode_32 0
		.amdhsa_float_round_mode_16_64 0
		.amdhsa_float_denorm_mode_32 3
		.amdhsa_float_denorm_mode_16_64 3
		.amdhsa_dx10_clamp 1
		.amdhsa_ieee_mode 1
		.amdhsa_fp16_overflow 0
		.amdhsa_workgroup_processor_mode 1
		.amdhsa_memory_ordered 1
		.amdhsa_forward_progress 0
		.amdhsa_shared_vgpr_count 0
		.amdhsa_exception_fp_ieee_invalid_op 0
		.amdhsa_exception_fp_denorm_src 0
		.amdhsa_exception_fp_ieee_div_zero 0
		.amdhsa_exception_fp_ieee_overflow 0
		.amdhsa_exception_fp_ieee_underflow 0
		.amdhsa_exception_fp_ieee_inexact 0
		.amdhsa_exception_int_div_zero 0
	.end_amdhsa_kernel
	.section	.text._ZN4vllm3moe17topkGatingSoftmaxItLi8ELi8ELi8ELi16ELb1ELi0ELNS0_23SharedExpertScoringFuncE0EEEvPKT_PKbPfiPiS9_iiiiii,"axG",@progbits,_ZN4vllm3moe17topkGatingSoftmaxItLi8ELi8ELi8ELi16ELb1ELi0ELNS0_23SharedExpertScoringFuncE0EEEvPKT_PKbPfiPiS9_iiiiii,comdat
.Lfunc_end238:
	.size	_ZN4vllm3moe17topkGatingSoftmaxItLi8ELi8ELi8ELi16ELb1ELi0ELNS0_23SharedExpertScoringFuncE0EEEvPKT_PKbPfiPiS9_iiiiii, .Lfunc_end238-_ZN4vllm3moe17topkGatingSoftmaxItLi8ELi8ELi8ELi16ELb1ELi0ELNS0_23SharedExpertScoringFuncE0EEEvPKT_PKbPfiPiS9_iiiiii
                                        ; -- End function
	.section	.AMDGPU.csdata,"",@progbits
; Kernel info:
; codeLenInByte = 1728
; NumSgprs: 22
; NumVgprs: 25
; ScratchSize: 0
; MemoryBound: 0
; FloatMode: 240
; IeeeMode: 1
; LDSByteSize: 0 bytes/workgroup (compile time only)
; SGPRBlocks: 2
; VGPRBlocks: 3
; NumSGPRsForWavesPerEU: 22
; NumVGPRsForWavesPerEU: 25
; Occupancy: 16
; WaveLimiterHint : 0
; COMPUTE_PGM_RSRC2:SCRATCH_EN: 0
; COMPUTE_PGM_RSRC2:USER_SGPR: 15
; COMPUTE_PGM_RSRC2:TRAP_HANDLER: 0
; COMPUTE_PGM_RSRC2:TGID_X_EN: 1
; COMPUTE_PGM_RSRC2:TGID_Y_EN: 0
; COMPUTE_PGM_RSRC2:TGID_Z_EN: 0
; COMPUTE_PGM_RSRC2:TIDIG_COMP_CNT: 1
	.section	.text._ZN4vllm3moe17topkGatingSoftmaxItLi8ELi8ELi8ELi16ELb0ELi0ELNS0_23SharedExpertScoringFuncE0EEEvPKT_PKbPfiPiS9_iiiiii,"axG",@progbits,_ZN4vllm3moe17topkGatingSoftmaxItLi8ELi8ELi8ELi16ELb0ELi0ELNS0_23SharedExpertScoringFuncE0EEEvPKT_PKbPfiPiS9_iiiiii,comdat
	.protected	_ZN4vllm3moe17topkGatingSoftmaxItLi8ELi8ELi8ELi16ELb0ELi0ELNS0_23SharedExpertScoringFuncE0EEEvPKT_PKbPfiPiS9_iiiiii ; -- Begin function _ZN4vllm3moe17topkGatingSoftmaxItLi8ELi8ELi8ELi16ELb0ELi0ELNS0_23SharedExpertScoringFuncE0EEEvPKT_PKbPfiPiS9_iiiiii
	.globl	_ZN4vllm3moe17topkGatingSoftmaxItLi8ELi8ELi8ELi16ELb0ELi0ELNS0_23SharedExpertScoringFuncE0EEEvPKT_PKbPfiPiS9_iiiiii
	.p2align	8
	.type	_ZN4vllm3moe17topkGatingSoftmaxItLi8ELi8ELi8ELi16ELb0ELi0ELNS0_23SharedExpertScoringFuncE0EEEvPKT_PKbPfiPiS9_iiiiii,@function
_ZN4vllm3moe17topkGatingSoftmaxItLi8ELi8ELi8ELi16ELb0ELi0ELNS0_23SharedExpertScoringFuncE0EEEvPKT_PKbPfiPiS9_iiiiii: ; @_ZN4vllm3moe17topkGatingSoftmaxItLi8ELi8ELi8ELi16ELb0ELi0ELNS0_23SharedExpertScoringFuncE0EEEvPKT_PKbPfiPiS9_iiiiii
; %bb.0:
	s_load_b32 s16, s[0:1], 0x18
	v_bfe_u32 v1, v0, 10, 10
	v_and_b32_e32 v18, 0x3ff, v0
	s_lshl_b32 s18, s15, 8
	s_mov_b32 s2, exec_lo
	s_delay_alu instid0(VALU_DEP_2) | instskip(NEXT) | instid1(VALU_DEP_1)
	v_lshlrev_b32_e32 v17, 5, v1
	v_add3_u32 v6, v17, v18, s18
	s_waitcnt lgkmcnt(0)
	s_delay_alu instid0(VALU_DEP_1)
	v_cmpx_gt_i32_e64 s16, v6
	s_cbranch_execz .LBB239_13
; %bb.1:
	s_clause 0x1
	s_load_b128 s[4:7], s[0:1], 0x0
	s_load_b64 s[12:13], s[0:1], 0x10
	s_waitcnt lgkmcnt(0)
	s_cmp_eq_u64 s[6:7], 0
	s_cbranch_scc1 .LBB239_3
; %bb.2:
	v_ashrrev_i32_e32 v1, 31, v6
	v_add_co_u32 v0, vcc_lo, s6, v6
	s_delay_alu instid0(VALU_DEP_2) | instskip(SKIP_3) | instid1(VALU_DEP_1)
	v_add_co_ci_u32_e32 v1, vcc_lo, s7, v1, vcc_lo
	global_load_u8 v0, v[0:1], off
	s_waitcnt vmcnt(0)
	v_and_b32_e32 v0, 1, v0
	v_cmp_eq_u32_e32 vcc_lo, 1, v0
	s_xor_b32 s2, vcc_lo, -1
	s_delay_alu instid0(SALU_CYCLE_1)
	s_or_not1_b32 s17, s2, exec_lo
	s_branch .LBB239_4
.LBB239_3:
	s_mov_b32 s17, -1
.LBB239_4:
	s_clause 0x1
	s_load_b64 s[14:15], s[0:1], 0x40
	s_load_b128 s[8:11], s[0:1], 0x30
	s_waitcnt lgkmcnt(0)
	v_mul_lo_u32 v0, v6, s15
	s_cmp_gt_i32 s8, 0
	s_cselect_b32 s15, -1, 0
	s_cmp_lt_i32 s8, 1
	s_delay_alu instid0(VALU_DEP_1) | instskip(NEXT) | instid1(VALU_DEP_1)
	v_ashrrev_i32_e32 v1, 31, v0
	v_lshlrev_b64 v[0:1], 1, v[0:1]
	s_delay_alu instid0(VALU_DEP_1) | instskip(NEXT) | instid1(VALU_DEP_2)
	v_add_co_u32 v0, vcc_lo, s4, v0
	v_add_co_ci_u32_e32 v1, vcc_lo, s5, v1, vcc_lo
	global_load_b128 v[0:3], v[0:1], off
	s_waitcnt vmcnt(0)
	v_lshrrev_b32_e32 v4, 16, v0
	v_and_b32_e32 v0, 0xffff, v0
	v_and_b32_e32 v5, 0xffff, v1
	s_delay_alu instid0(VALU_DEP_3) | instskip(NEXT) | instid1(VALU_DEP_3)
	v_cvt_f32_u32_e32 v15, v4
	v_cvt_f32_u32_e32 v16, v0
	v_lshrrev_b32_e32 v0, 16, v1
	s_delay_alu instid0(VALU_DEP_4) | instskip(SKIP_1) | instid1(VALU_DEP_4)
	v_cvt_f32_u32_e32 v14, v5
	v_and_b32_e32 v4, 0xffff, v2
	v_cmp_lt_f32_e64 s7, v16, v15
	s_delay_alu instid0(VALU_DEP_4) | instskip(NEXT) | instid1(VALU_DEP_3)
	v_cvt_f32_u32_e32 v13, v0
	v_cvt_f32_u32_e32 v11, v4
	s_delay_alu instid0(VALU_DEP_3) | instskip(NEXT) | instid1(VALU_DEP_1)
	v_cndmask_b32_e64 v1, v16, v15, s7
	v_cmp_lt_f32_e64 s2, v1, v14
	s_delay_alu instid0(VALU_DEP_1) | instskip(SKIP_2) | instid1(VALU_DEP_3)
	v_cndmask_b32_e64 v0, v1, v14, s2
	v_lshrrev_b32_e32 v1, 16, v2
	v_and_b32_e32 v2, 0xffff, v3
	v_cmp_lt_f32_e64 s5, v0, v13
	s_delay_alu instid0(VALU_DEP_3) | instskip(NEXT) | instid1(VALU_DEP_3)
	v_cvt_f32_u32_e32 v10, v1
	v_cvt_f32_u32_e32 v9, v2
	v_lshrrev_b32_e32 v1, 16, v3
	s_delay_alu instid0(VALU_DEP_4) | instskip(NEXT) | instid1(VALU_DEP_2)
	v_cndmask_b32_e64 v0, v0, v13, s5
	v_cvt_f32_u32_e32 v7, v1
	s_delay_alu instid0(VALU_DEP_2) | instskip(NEXT) | instid1(VALU_DEP_1)
	v_cmp_lt_f32_e64 s6, v0, v11
	v_cndmask_b32_e64 v0, v0, v11, s6
	s_delay_alu instid0(VALU_DEP_1) | instskip(NEXT) | instid1(VALU_DEP_1)
	v_cmp_lt_f32_e64 s4, v0, v10
	v_cndmask_b32_e64 v0, v0, v10, s4
	s_delay_alu instid0(VALU_DEP_1) | instskip(NEXT) | instid1(VALU_DEP_1)
	v_cmp_lt_f32_e64 s3, v0, v9
	v_cndmask_b32_e64 v0, v0, v9, s3
	s_delay_alu instid0(VALU_DEP_1)
	v_cmp_lt_f32_e32 vcc_lo, v0, v7
	v_cndmask_b32_e32 v8, v0, v7, vcc_lo
	s_cbranch_scc1 .LBB239_8
; %bb.5:
	v_cndmask_b32_e64 v0, 0, 1, s7
	s_delay_alu instid0(VALU_DEP_2) | instskip(SKIP_1) | instid1(VALU_DEP_3)
	v_sub_f32_e32 v12, v8, v8
	v_mul_lo_u32 v2, v6, s14
	v_cndmask_b32_e64 v0, v0, 2, s2
	s_delay_alu instid0(VALU_DEP_3) | instskip(NEXT) | instid1(VALU_DEP_2)
	v_mul_f32_e32 v1, 0x3fb8aa3b, v12
	v_cndmask_b32_e64 v0, v0, 3, s5
	s_delay_alu instid0(VALU_DEP_2) | instskip(SKIP_1) | instid1(VALU_DEP_3)
	v_rndne_f32_e32 v21, v1
	v_fma_f32 v3, 0x3fb8aa3b, v12, -v1
	v_cndmask_b32_e64 v4, v0, 4, s6
	s_delay_alu instid0(VALU_DEP_3) | instskip(NEXT) | instid1(VALU_DEP_3)
	v_sub_f32_e32 v1, v1, v21
	v_fmac_f32_e32 v3, 0x32a5705f, v12
	v_mul_lo_u32 v0, v6, s11
	v_cvt_i32_f32_e32 v21, v21
	v_cndmask_b32_e64 v5, v4, 5, s4
	s_load_b128 s[4:7], s[0:1], 0x20
	v_add_f32_e32 v3, v1, v3
	v_mul_lo_u32 v4, v6, s8
	s_delay_alu instid0(VALU_DEP_3) | instskip(SKIP_1) | instid1(VALU_DEP_4)
	v_cndmask_b32_e64 v19, v5, 6, s3
	v_ashrrev_i32_e32 v1, 31, v0
	v_exp_f32_e32 v22, v3
	v_ashrrev_i32_e32 v3, 31, v2
	s_delay_alu instid0(VALU_DEP_3) | instskip(NEXT) | instid1(VALU_DEP_3)
	v_cndmask_b32_e64 v23, v19, 7, vcc_lo
	v_lshlrev_b64 v[19:20], 2, v[0:1]
	v_ashrrev_i32_e32 v5, 31, v4
	s_delay_alu instid0(VALU_DEP_4) | instskip(NEXT) | instid1(VALU_DEP_4)
	v_lshlrev_b64 v[0:1], 2, v[2:3]
	v_cmp_le_i32_e32 vcc_lo, s9, v23
	v_cmp_gt_i32_e64 s0, s10, v23
	s_delay_alu instid0(TRANS32_DEP_1) | instskip(SKIP_2) | instid1(VALU_DEP_4)
	v_ldexp_f32 v21, v22, v21
	v_lshlrev_b64 v[2:3], 2, v[4:5]
	v_add_co_u32 v4, s1, s12, v19
	s_and_b32 s0, vcc_lo, s0
	v_cmp_ngt_f32_e32 vcc_lo, 0xc2ce8ed0, v12
	v_subrev_nc_u32_e32 v22, s9, v23
	v_add_co_ci_u32_e64 v5, s1, s13, v20, s1
	v_cndmask_b32_e32 v21, 0, v21, vcc_lo
	s_waitcnt lgkmcnt(0)
	v_add_co_u32 v19, vcc_lo, s4, v0
	v_add_co_ci_u32_e32 v20, vcc_lo, s5, v1, vcc_lo
	s_and_b32 vcc_lo, s17, s0
	s_cmp_eq_u32 s8, 1
	v_cndmask_b32_e32 v24, 8, v22, vcc_lo
	v_cmp_nlt_f32_e32 vcc_lo, 0x42b17218, v12
	v_cndmask_b32_e32 v12, 0x7f800000, v21, vcc_lo
	v_add_co_u32 v21, vcc_lo, s6, v2
	v_add_co_ci_u32_e32 v22, vcc_lo, s7, v3, vcc_lo
	v_cmp_ne_u32_e32 vcc_lo, 7, v23
	global_store_b32 v[4:5], v12, off
	global_store_b32 v[19:20], v24, off
	;; [unrolled: 1-line block ×3, first 2 shown]
	v_cndmask_b32_e32 v7, 0xff800000, v7, vcc_lo
	v_cmp_ne_u32_e32 vcc_lo, 6, v23
	v_cndmask_b32_e32 v9, 0xff800000, v9, vcc_lo
	v_cmp_ne_u32_e32 vcc_lo, 5, v23
	v_cndmask_b32_e32 v10, 0xff800000, v10, vcc_lo
	v_cmp_ne_u32_e32 vcc_lo, 4, v23
	v_cndmask_b32_e32 v11, 0xff800000, v11, vcc_lo
	v_cmp_ne_u32_e32 vcc_lo, 3, v23
	v_cndmask_b32_e32 v13, 0xff800000, v13, vcc_lo
	v_cmp_ne_u32_e32 vcc_lo, 2, v23
	v_cndmask_b32_e32 v14, 0xff800000, v14, vcc_lo
	v_cmp_ne_u32_e32 vcc_lo, 1, v23
	v_cndmask_b32_e32 v15, 0xff800000, v15, vcc_lo
	v_cmp_ne_u32_e32 vcc_lo, 0, v23
	v_cndmask_b32_e32 v16, 0xff800000, v16, vcc_lo
	s_cbranch_scc1 .LBB239_9
; %bb.6:
	v_add_co_u32 v2, vcc_lo, v2, s6
	v_add_co_ci_u32_e32 v3, vcc_lo, s7, v3, vcc_lo
	v_add_co_u32 v19, vcc_lo, v0, s4
	v_add_co_ci_u32_e32 v20, vcc_lo, s5, v1, vcc_lo
	s_delay_alu instid0(VALU_DEP_4) | instskip(NEXT) | instid1(VALU_DEP_4)
	v_add_co_u32 v0, vcc_lo, v2, 4
	v_add_co_ci_u32_e32 v1, vcc_lo, 0, v3, vcc_lo
	s_delay_alu instid0(VALU_DEP_4) | instskip(NEXT) | instid1(VALU_DEP_4)
	v_add_co_u32 v2, vcc_lo, v19, 4
	v_add_co_ci_u32_e32 v3, vcc_lo, 0, v20, vcc_lo
	s_add_i32 s18, s18, s16
	v_add_co_u32 v4, vcc_lo, v4, 4
	v_add_co_ci_u32_e32 v5, vcc_lo, 0, v5, vcc_lo
	v_add3_u32 v17, s18, v18, v17
	s_add_i32 s2, s8, -1
.LBB239_7:                              ; =>This Inner Loop Header: Depth=1
	v_cmp_gt_f32_e32 vcc_lo, v15, v16
	s_add_i32 s2, s2, -1
	v_cndmask_b32_e32 v18, v16, v15, vcc_lo
	v_cndmask_b32_e64 v19, 0, 1, vcc_lo
	s_delay_alu instid0(VALU_DEP_2) | instskip(SKIP_1) | instid1(VALU_DEP_3)
	v_cmp_gt_f32_e32 vcc_lo, v14, v18
	v_cndmask_b32_e32 v18, v18, v14, vcc_lo
	v_cndmask_b32_e64 v19, v19, 2, vcc_lo
	s_delay_alu instid0(VALU_DEP_2) | instskip(SKIP_1) | instid1(VALU_DEP_3)
	v_cmp_gt_f32_e32 vcc_lo, v13, v18
	;; [unrolled: 4-line block ×5, first 2 shown]
	v_cndmask_b32_e32 v18, v18, v9, vcc_lo
	v_cndmask_b32_e64 v19, v19, 6, vcc_lo
	s_delay_alu instid0(VALU_DEP_2) | instskip(NEXT) | instid1(VALU_DEP_2)
	v_cmp_gt_f32_e32 vcc_lo, v7, v18
	v_cndmask_b32_e64 v19, v19, 7, vcc_lo
	v_cndmask_b32_e32 v18, v18, v7, vcc_lo
	s_delay_alu instid0(VALU_DEP_2) | instskip(NEXT) | instid1(VALU_DEP_2)
	v_cmp_ne_u32_e64 s1, 7, v19
	v_sub_f32_e32 v18, v18, v8
	v_cmp_le_i32_e32 vcc_lo, s9, v19
	v_cmp_gt_i32_e64 s0, s10, v19
	v_subrev_nc_u32_e32 v21, s9, v19
	v_cndmask_b32_e64 v7, 0xff800000, v7, s1
	v_cmp_ne_u32_e64 s1, 6, v19
	v_mul_f32_e32 v20, 0x3fb8aa3b, v18
	s_and_b32 s0, vcc_lo, s0
	s_delay_alu instid0(SALU_CYCLE_1) | instskip(NEXT) | instid1(VALU_DEP_2)
	s_and_b32 vcc_lo, s17, s0
	v_cndmask_b32_e64 v9, 0xff800000, v9, s1
	v_cmp_ne_u32_e64 s1, 5, v19
	v_rndne_f32_e32 v22, v20
	v_cndmask_b32_e32 v21, 8, v21, vcc_lo
	global_store_b32 v[2:3], v21, off
	global_store_b32 v[0:1], v17, off
	v_add_nc_u32_e32 v17, s16, v17
	v_cndmask_b32_e64 v10, 0xff800000, v10, s1
	v_cmp_ne_u32_e64 s1, 4, v19
	v_add_co_u32 v0, vcc_lo, v0, 4
	v_add_co_ci_u32_e32 v1, vcc_lo, 0, v1, vcc_lo
	s_delay_alu instid0(VALU_DEP_3) | instskip(SKIP_3) | instid1(VALU_DEP_3)
	v_cndmask_b32_e64 v11, 0xff800000, v11, s1
	v_cmp_ne_u32_e64 s1, 3, v19
	v_add_co_u32 v2, vcc_lo, v2, 4
	v_add_co_ci_u32_e32 v3, vcc_lo, 0, v3, vcc_lo
	v_cndmask_b32_e64 v13, 0xff800000, v13, s1
	v_cmp_ne_u32_e64 s1, 2, v19
	v_cmp_ngt_f32_e32 vcc_lo, 0xc2ce8ed0, v18
	s_cmp_eq_u32 s2, 0
	s_delay_alu instid0(VALU_DEP_2) | instskip(SKIP_1) | instid1(VALU_DEP_1)
	v_cndmask_b32_e64 v14, 0xff800000, v14, s1
	v_cmp_ne_u32_e64 s1, 1, v19
	v_cndmask_b32_e64 v15, 0xff800000, v15, s1
	v_cmp_ne_u32_e64 s1, 0, v19
	v_fma_f32 v19, 0x3fb8aa3b, v18, -v20
	v_sub_f32_e32 v20, v20, v22
	v_cvt_i32_f32_e32 v22, v22
	s_delay_alu instid0(VALU_DEP_4) | instskip(NEXT) | instid1(VALU_DEP_4)
	v_cndmask_b32_e64 v16, 0xff800000, v16, s1
	v_fmac_f32_e32 v19, 0x32a5705f, v18
	s_delay_alu instid0(VALU_DEP_1) | instskip(NEXT) | instid1(VALU_DEP_1)
	v_add_f32_e32 v19, v20, v19
	v_exp_f32_e32 v19, v19
	s_waitcnt_depctr 0xfff
	v_ldexp_f32 v19, v19, v22
	s_delay_alu instid0(VALU_DEP_1) | instskip(SKIP_1) | instid1(VALU_DEP_2)
	v_cndmask_b32_e32 v19, 0, v19, vcc_lo
	v_cmp_nlt_f32_e32 vcc_lo, 0x42b17218, v18
	v_cndmask_b32_e32 v18, 0x7f800000, v19, vcc_lo
	global_store_b32 v[4:5], v18, off
	v_add_co_u32 v4, vcc_lo, v4, 4
	v_add_f32_e32 v12, v12, v18
	v_add_co_ci_u32_e32 v5, vcc_lo, 0, v5, vcc_lo
	s_cbranch_scc0 .LBB239_7
	s_branch .LBB239_9
.LBB239_8:
	v_mov_b32_e32 v12, 0
.LBB239_9:
	s_delay_alu instid0(VALU_DEP_2) | instskip(SKIP_3) | instid1(VALU_DEP_4)
	v_sub_f32_e32 v3, v13, v8
	v_sub_f32_e32 v1, v15, v8
	;; [unrolled: 1-line block ×4, first 2 shown]
	v_dual_sub_f32 v9, v9, v8 :: v_dual_mul_f32 v14, 0x3fb8aa3b, v3
	s_delay_alu instid0(VALU_DEP_4) | instskip(NEXT) | instid1(VALU_DEP_2)
	v_dual_sub_f32 v0, v16, v8 :: v_dual_mul_f32 v5, 0x3fb8aa3b, v1
	v_rndne_f32_e32 v22, v14
	s_delay_alu instid0(VALU_DEP_2) | instskip(NEXT) | instid1(VALU_DEP_3)
	v_cmp_ngt_f32_e32 vcc_lo, 0xc2ce8ed0, v0
	v_fma_f32 v17, 0x3fb8aa3b, v1, -v5
	v_rndne_f32_e32 v18, v5
	s_delay_alu instid0(VALU_DEP_2) | instskip(SKIP_1) | instid1(VALU_DEP_3)
	v_fmac_f32_e32 v17, 0x32a5705f, v1
	v_dual_mul_f32 v4, 0x3fb8aa3b, v0 :: v_dual_mul_f32 v13, 0x3fb8aa3b, v2
	v_sub_f32_e32 v5, v5, v18
	s_delay_alu instid0(VALU_DEP_2) | instskip(SKIP_1) | instid1(VALU_DEP_4)
	v_fma_f32 v15, 0x3fb8aa3b, v0, -v4
	v_rndne_f32_e32 v16, v4
	v_fma_f32 v19, 0x3fb8aa3b, v2, -v13
	v_rndne_f32_e32 v20, v13
	s_delay_alu instid0(VALU_DEP_4) | instskip(NEXT) | instid1(VALU_DEP_4)
	v_fmac_f32_e32 v15, 0x32a5705f, v0
	v_sub_f32_e32 v4, v4, v16
	s_delay_alu instid0(VALU_DEP_1)
	v_add_f32_e32 v4, v4, v15
	v_cvt_i32_f32_e32 v15, v16
	v_cvt_i32_f32_e32 v16, v18
	v_fma_f32 v21, 0x3fb8aa3b, v3, -v14
	v_sub_f32_e32 v14, v14, v22
	v_exp_f32_e32 v4, v4
	s_waitcnt_depctr 0xfff
	v_ldexp_f32 v4, v4, v15
	v_add_f32_e32 v5, v5, v17
	v_cvt_i32_f32_e32 v15, v20
	s_delay_alu instid0(VALU_DEP_3) | instskip(NEXT) | instid1(VALU_DEP_3)
	v_cndmask_b32_e32 v4, 0, v4, vcc_lo
	v_exp_f32_e32 v5, v5
	v_cmp_ngt_f32_e32 vcc_lo, 0xc2ce8ed0, v1
	s_waitcnt_depctr 0xfff
	v_ldexp_f32 v5, v5, v16
	s_delay_alu instid0(VALU_DEP_1) | instskip(SKIP_3) | instid1(VALU_DEP_4)
	v_cndmask_b32_e32 v5, 0, v5, vcc_lo
	v_cmp_nlt_f32_e32 vcc_lo, 0x42b17218, v0
	v_cndmask_b32_e32 v0, 0x7f800000, v4, vcc_lo
	v_cmp_nlt_f32_e32 vcc_lo, 0x42b17218, v1
	v_cndmask_b32_e32 v1, 0x7f800000, v5, vcc_lo
	v_sub_f32_e32 v13, v13, v20
	v_cmp_ngt_f32_e32 vcc_lo, 0xc2ce8ed0, v2
	v_fmac_f32_e32 v21, 0x32a5705f, v3
	s_delay_alu instid0(VALU_DEP_4) | instskip(SKIP_2) | instid1(VALU_DEP_3)
	v_dual_fmac_f32 v19, 0x32a5705f, v2 :: v_dual_add_f32 v0, v0, v1
	v_sub_f32_e32 v5, v11, v8
	v_cvt_i32_f32_e32 v11, v22
	v_dual_add_f32 v14, v14, v21 :: v_dual_add_f32 v13, v13, v19
	s_delay_alu instid0(VALU_DEP_1) | instskip(NEXT) | instid1(VALU_DEP_1)
	v_exp_f32_e32 v14, v14
	v_exp_f32_e32 v13, v13
	s_waitcnt_depctr 0xfff
	v_ldexp_f32 v13, v13, v15
	s_delay_alu instid0(VALU_DEP_1) | instskip(SKIP_1) | instid1(VALU_DEP_2)
	v_cndmask_b32_e32 v4, 0, v13, vcc_lo
	v_cmp_nlt_f32_e32 vcc_lo, 0x42b17218, v2
	v_cndmask_b32_e32 v1, 0x7f800000, v4, vcc_lo
	v_ldexp_f32 v4, v14, v11
	v_cmp_ngt_f32_e32 vcc_lo, 0xc2ce8ed0, v3
	s_delay_alu instid0(VALU_DEP_3) | instskip(SKIP_1) | instid1(VALU_DEP_4)
	v_add_f32_e32 v0, v0, v1
	v_mul_f32_e32 v2, 0x3fb8aa3b, v5
	v_cndmask_b32_e32 v4, 0, v4, vcc_lo
	v_cmp_nlt_f32_e32 vcc_lo, 0x42b17218, v3
	s_delay_alu instid0(VALU_DEP_3) | instskip(SKIP_1) | instid1(VALU_DEP_4)
	v_fma_f32 v1, 0x3fb8aa3b, v5, -v2
	v_rndne_f32_e32 v11, v2
	v_cndmask_b32_e32 v3, 0x7f800000, v4, vcc_lo
	v_mul_f32_e32 v4, 0x3fb8aa3b, v10
	v_cmp_ngt_f32_e32 vcc_lo, 0xc2ce8ed0, v5
	s_delay_alu instid0(VALU_DEP_4) | instskip(NEXT) | instid1(VALU_DEP_4)
	v_dual_fmac_f32 v1, 0x32a5705f, v5 :: v_dual_sub_f32 v2, v2, v11
	v_add_f32_e32 v0, v0, v3
	s_delay_alu instid0(VALU_DEP_4)
	v_rndne_f32_e32 v3, v4
	v_mul_f32_e32 v13, 0x3fb8aa3b, v9
	v_cvt_i32_f32_e32 v11, v11
	v_add_f32_e32 v1, v2, v1
	v_fma_f32 v2, 0x3fb8aa3b, v10, -v4
	v_dual_sub_f32 v4, v4, v3 :: v_dual_sub_f32 v7, v7, v8
	v_fma_f32 v8, 0x3fb8aa3b, v9, -v13
	s_delay_alu instid0(VALU_DEP_4) | instskip(NEXT) | instid1(VALU_DEP_3)
	v_exp_f32_e32 v1, v1
	v_fmac_f32_e32 v2, 0x32a5705f, v10
	v_rndne_f32_e32 v14, v13
	v_mul_f32_e32 v15, 0x3fb8aa3b, v7
	v_cvt_i32_f32_e32 v3, v3
	s_delay_alu instid0(VALU_DEP_4) | instskip(NEXT) | instid1(VALU_DEP_4)
	v_add_f32_e32 v2, v4, v2
	v_sub_f32_e32 v4, v13, v14
	s_delay_alu instid0(VALU_DEP_4) | instskip(SKIP_1) | instid1(TRANS32_DEP_1)
	v_fma_f32 v13, 0x3fb8aa3b, v7, -v15
	v_fmac_f32_e32 v8, 0x32a5705f, v9
	v_ldexp_f32 v1, v1, v11
	v_exp_f32_e32 v2, v2
	v_rndne_f32_e32 v16, v15
	s_delay_alu instid0(VALU_DEP_3) | instskip(NEXT) | instid1(VALU_DEP_3)
	v_dual_fmac_f32 v13, 0x32a5705f, v7 :: v_dual_add_f32 v4, v4, v8
	v_cndmask_b32_e32 v1, 0, v1, vcc_lo
	v_cmp_nlt_f32_e32 vcc_lo, 0x42b17218, v5
	s_delay_alu instid0(VALU_DEP_4) | instskip(NEXT) | instid1(VALU_DEP_4)
	v_sub_f32_e32 v8, v15, v16
	v_exp_f32_e32 v4, v4
	s_delay_alu instid0(VALU_DEP_3) | instskip(NEXT) | instid1(TRANS32_DEP_2)
	v_cndmask_b32_e32 v1, 0x7f800000, v1, vcc_lo
	v_ldexp_f32 v2, v2, v3
	v_cvt_i32_f32_e32 v3, v14
	v_cmp_ngt_f32_e32 vcc_lo, 0xc2ce8ed0, v10
	v_add_f32_e32 v8, v8, v13
	v_add_f32_e32 v0, v0, v1
	s_delay_alu instid0(TRANS32_DEP_1) | instid1(VALU_DEP_4)
	v_ldexp_f32 v1, v4, v3
	v_cndmask_b32_e32 v2, 0, v2, vcc_lo
	v_cmp_nlt_f32_e32 vcc_lo, 0x42b17218, v10
	v_exp_f32_e32 v5, v8
	v_cvt_i32_f32_e32 v3, v16
	s_delay_alu instid0(VALU_DEP_3)
	v_cndmask_b32_e32 v2, 0x7f800000, v2, vcc_lo
	v_cmp_ngt_f32_e32 vcc_lo, 0xc2ce8ed0, v9
	v_cndmask_b32_e32 v1, 0, v1, vcc_lo
	v_cmp_nlt_f32_e32 vcc_lo, 0x42b17218, v9
	s_waitcnt_depctr 0xfff
	v_ldexp_f32 v3, v5, v3
	v_dual_add_f32 v0, v0, v2 :: v_dual_cndmask_b32 v1, 0x7f800000, v1
	v_cmp_ngt_f32_e32 vcc_lo, 0xc2ce8ed0, v7
	s_delay_alu instid0(VALU_DEP_2) | instskip(NEXT) | instid1(VALU_DEP_4)
	v_add_f32_e32 v0, v0, v1
	v_cndmask_b32_e32 v2, 0, v3, vcc_lo
	v_cmp_nlt_f32_e32 vcc_lo, 0x42b17218, v7
	s_delay_alu instid0(VALU_DEP_2) | instskip(NEXT) | instid1(VALU_DEP_1)
	v_cndmask_b32_e32 v1, 0x7f800000, v2, vcc_lo
	v_add_f32_e32 v0, v0, v1
	s_delay_alu instid0(VALU_DEP_1) | instskip(NEXT) | instid1(VALU_DEP_1)
	v_add_f32_e32 v0, v12, v0
	v_cmp_neq_f32_e32 vcc_lo, 0, v0
	s_and_b32 exec_lo, exec_lo, vcc_lo
	s_cbranch_execz .LBB239_13
; %bb.10:
	s_and_not1_b32 vcc_lo, exec_lo, s15
	s_cbranch_vccnz .LBB239_13
; %bb.11:
	v_div_scale_f32 v2, null, v0, v0, 1.0
	v_div_scale_f32 v4, vcc_lo, 1.0, v0, 1.0
	s_delay_alu instid0(VALU_DEP_2) | instskip(SKIP_2) | instid1(VALU_DEP_1)
	v_rcp_f32_e32 v3, v2
	s_waitcnt_depctr 0xfff
	v_fma_f32 v1, -v2, v3, 1.0
	v_fmac_f32_e32 v3, v1, v3
	v_mul_lo_u32 v1, v6, s11
	s_delay_alu instid0(VALU_DEP_2) | instskip(NEXT) | instid1(VALU_DEP_1)
	v_mul_f32_e32 v5, v4, v3
	v_fma_f32 v7, -v2, v5, v4
	s_delay_alu instid0(VALU_DEP_1) | instskip(NEXT) | instid1(VALU_DEP_1)
	v_fmac_f32_e32 v5, v7, v3
	v_fma_f32 v4, -v2, v5, v4
	v_ashrrev_i32_e32 v2, 31, v1
	s_delay_alu instid0(VALU_DEP_2) | instskip(NEXT) | instid1(VALU_DEP_2)
	v_div_fmas_f32 v5, v4, v3, v5
	v_lshlrev_b64 v[3:4], 2, v[1:2]
	s_delay_alu instid0(VALU_DEP_2) | instskip(NEXT) | instid1(VALU_DEP_2)
	v_div_fixup_f32 v2, v5, v0, 1.0
	v_add_co_u32 v0, vcc_lo, s12, v3
	s_delay_alu instid0(VALU_DEP_3)
	v_add_co_ci_u32_e32 v1, vcc_lo, s13, v4, vcc_lo
.LBB239_12:                             ; =>This Inner Loop Header: Depth=1
	global_load_b32 v3, v[0:1], off
	s_add_i32 s8, s8, -1
	s_delay_alu instid0(SALU_CYCLE_1)
	s_cmp_lg_u32 s8, 0
	s_waitcnt vmcnt(0)
	v_mul_f32_e32 v3, v2, v3
	global_store_b32 v[0:1], v3, off
	v_add_co_u32 v0, vcc_lo, v0, 4
	v_add_co_ci_u32_e32 v1, vcc_lo, 0, v1, vcc_lo
	s_cbranch_scc1 .LBB239_12
.LBB239_13:
	s_nop 0
	s_sendmsg sendmsg(MSG_DEALLOC_VGPRS)
	s_endpgm
	.section	.rodata,"a",@progbits
	.p2align	6, 0x0
	.amdhsa_kernel _ZN4vllm3moe17topkGatingSoftmaxItLi8ELi8ELi8ELi16ELb0ELi0ELNS0_23SharedExpertScoringFuncE0EEEvPKT_PKbPfiPiS9_iiiiii
		.amdhsa_group_segment_fixed_size 0
		.amdhsa_private_segment_fixed_size 0
		.amdhsa_kernarg_size 72
		.amdhsa_user_sgpr_count 15
		.amdhsa_user_sgpr_dispatch_ptr 0
		.amdhsa_user_sgpr_queue_ptr 0
		.amdhsa_user_sgpr_kernarg_segment_ptr 1
		.amdhsa_user_sgpr_dispatch_id 0
		.amdhsa_user_sgpr_private_segment_size 0
		.amdhsa_wavefront_size32 1
		.amdhsa_uses_dynamic_stack 0
		.amdhsa_enable_private_segment 0
		.amdhsa_system_sgpr_workgroup_id_x 1
		.amdhsa_system_sgpr_workgroup_id_y 0
		.amdhsa_system_sgpr_workgroup_id_z 0
		.amdhsa_system_sgpr_workgroup_info 0
		.amdhsa_system_vgpr_workitem_id 1
		.amdhsa_next_free_vgpr 25
		.amdhsa_next_free_sgpr 19
		.amdhsa_reserve_vcc 1
		.amdhsa_float_round_mode_32 0
		.amdhsa_float_round_mode_16_64 0
		.amdhsa_float_denorm_mode_32 3
		.amdhsa_float_denorm_mode_16_64 3
		.amdhsa_dx10_clamp 1
		.amdhsa_ieee_mode 1
		.amdhsa_fp16_overflow 0
		.amdhsa_workgroup_processor_mode 1
		.amdhsa_memory_ordered 1
		.amdhsa_forward_progress 0
		.amdhsa_shared_vgpr_count 0
		.amdhsa_exception_fp_ieee_invalid_op 0
		.amdhsa_exception_fp_denorm_src 0
		.amdhsa_exception_fp_ieee_div_zero 0
		.amdhsa_exception_fp_ieee_overflow 0
		.amdhsa_exception_fp_ieee_underflow 0
		.amdhsa_exception_fp_ieee_inexact 0
		.amdhsa_exception_int_div_zero 0
	.end_amdhsa_kernel
	.section	.text._ZN4vllm3moe17topkGatingSoftmaxItLi8ELi8ELi8ELi16ELb0ELi0ELNS0_23SharedExpertScoringFuncE0EEEvPKT_PKbPfiPiS9_iiiiii,"axG",@progbits,_ZN4vllm3moe17topkGatingSoftmaxItLi8ELi8ELi8ELi16ELb0ELi0ELNS0_23SharedExpertScoringFuncE0EEEvPKT_PKbPfiPiS9_iiiiii,comdat
.Lfunc_end239:
	.size	_ZN4vllm3moe17topkGatingSoftmaxItLi8ELi8ELi8ELi16ELb0ELi0ELNS0_23SharedExpertScoringFuncE0EEEvPKT_PKbPfiPiS9_iiiiii, .Lfunc_end239-_ZN4vllm3moe17topkGatingSoftmaxItLi8ELi8ELi8ELi16ELb0ELi0ELNS0_23SharedExpertScoringFuncE0EEEvPKT_PKbPfiPiS9_iiiiii
                                        ; -- End function
	.section	.AMDGPU.csdata,"",@progbits
; Kernel info:
; codeLenInByte = 2612
; NumSgprs: 21
; NumVgprs: 25
; ScratchSize: 0
; MemoryBound: 0
; FloatMode: 240
; IeeeMode: 1
; LDSByteSize: 0 bytes/workgroup (compile time only)
; SGPRBlocks: 2
; VGPRBlocks: 3
; NumSGPRsForWavesPerEU: 21
; NumVGPRsForWavesPerEU: 25
; Occupancy: 16
; WaveLimiterHint : 0
; COMPUTE_PGM_RSRC2:SCRATCH_EN: 0
; COMPUTE_PGM_RSRC2:USER_SGPR: 15
; COMPUTE_PGM_RSRC2:TRAP_HANDLER: 0
; COMPUTE_PGM_RSRC2:TGID_X_EN: 1
; COMPUTE_PGM_RSRC2:TGID_Y_EN: 0
; COMPUTE_PGM_RSRC2:TGID_Z_EN: 0
; COMPUTE_PGM_RSRC2:TIDIG_COMP_CNT: 1
	.section	.text._ZN4vllm3moe17topkGatingSoftmaxItLi8ELi8ELi8ELi16ELb1ELi1ELNS0_23SharedExpertScoringFuncE1EEEvPKT_PKbPfiPiS9_iiiiii,"axG",@progbits,_ZN4vllm3moe17topkGatingSoftmaxItLi8ELi8ELi8ELi16ELb1ELi1ELNS0_23SharedExpertScoringFuncE1EEEvPKT_PKbPfiPiS9_iiiiii,comdat
	.protected	_ZN4vllm3moe17topkGatingSoftmaxItLi8ELi8ELi8ELi16ELb1ELi1ELNS0_23SharedExpertScoringFuncE1EEEvPKT_PKbPfiPiS9_iiiiii ; -- Begin function _ZN4vllm3moe17topkGatingSoftmaxItLi8ELi8ELi8ELi16ELb1ELi1ELNS0_23SharedExpertScoringFuncE1EEEvPKT_PKbPfiPiS9_iiiiii
	.globl	_ZN4vllm3moe17topkGatingSoftmaxItLi8ELi8ELi8ELi16ELb1ELi1ELNS0_23SharedExpertScoringFuncE1EEEvPKT_PKbPfiPiS9_iiiiii
	.p2align	8
	.type	_ZN4vllm3moe17topkGatingSoftmaxItLi8ELi8ELi8ELi16ELb1ELi1ELNS0_23SharedExpertScoringFuncE1EEEvPKT_PKbPfiPiS9_iiiiii,@function
_ZN4vllm3moe17topkGatingSoftmaxItLi8ELi8ELi8ELi16ELb1ELi1ELNS0_23SharedExpertScoringFuncE1EEEvPKT_PKbPfiPiS9_iiiiii: ; @_ZN4vllm3moe17topkGatingSoftmaxItLi8ELi8ELi8ELi16ELb1ELi1ELNS0_23SharedExpertScoringFuncE1EEEvPKT_PKbPfiPiS9_iiiiii
; %bb.0:
	s_load_b32 s12, s[0:1], 0x18
	v_bfe_u32 v1, v0, 10, 10
	v_and_b32_e32 v9, 0x3ff, v0
	s_lshl_b32 s14, s15, 8
	s_mov_b32 s2, exec_lo
	s_delay_alu instid0(VALU_DEP_2) | instskip(NEXT) | instid1(VALU_DEP_1)
	v_lshlrev_b32_e32 v8, 5, v1
	v_add3_u32 v11, v8, v9, s14
	s_waitcnt lgkmcnt(0)
	s_delay_alu instid0(VALU_DEP_1)
	v_cmpx_gt_i32_e64 s12, v11
	s_cbranch_execz .LBB240_12
; %bb.1:
	s_clause 0x1
	s_load_b128 s[4:7], s[0:1], 0x0
	s_load_b64 s[2:3], s[0:1], 0x10
	s_waitcnt lgkmcnt(0)
	s_cmp_eq_u64 s[6:7], 0
	s_cbranch_scc1 .LBB240_3
; %bb.2:
	v_ashrrev_i32_e32 v1, 31, v11
	v_add_co_u32 v0, vcc_lo, s6, v11
	s_delay_alu instid0(VALU_DEP_2) | instskip(SKIP_3) | instid1(VALU_DEP_1)
	v_add_co_ci_u32_e32 v1, vcc_lo, s7, v1, vcc_lo
	global_load_u8 v0, v[0:1], off
	s_waitcnt vmcnt(0)
	v_and_b32_e32 v0, 1, v0
	v_cmp_eq_u32_e32 vcc_lo, 1, v0
	s_xor_b32 s6, vcc_lo, -1
	s_delay_alu instid0(SALU_CYCLE_1)
	s_or_not1_b32 s13, s6, exec_lo
	s_branch .LBB240_4
.LBB240_3:
	s_mov_b32 s13, -1
.LBB240_4:
	s_load_b64 s[8:9], s[0:1], 0x40
	s_waitcnt lgkmcnt(0)
	v_mul_lo_u32 v0, v11, s9
	s_delay_alu instid0(VALU_DEP_1) | instskip(NEXT) | instid1(VALU_DEP_1)
	v_ashrrev_i32_e32 v1, 31, v0
	v_lshlrev_b64 v[0:1], 1, v[0:1]
	s_delay_alu instid0(VALU_DEP_1) | instskip(NEXT) | instid1(VALU_DEP_2)
	v_add_co_u32 v0, vcc_lo, s4, v0
	v_add_co_ci_u32_e32 v1, vcc_lo, s5, v1, vcc_lo
	s_load_b128 s[4:7], s[0:1], 0x30
	s_clause 0x1
	global_load_u16 v4, v[0:1], off offset:16
	global_load_b128 v[0:3], v[0:1], off
	s_waitcnt lgkmcnt(0)
	s_cmp_gt_i32 s4, 0
	s_waitcnt vmcnt(1)
	v_cvt_f32_u32_e32 v4, v4
	s_delay_alu instid0(VALU_DEP_1) | instskip(SKIP_1) | instid1(VALU_DEP_2)
	v_mul_f32_e32 v5, 0xbfb8aa3b, v4
	v_cmp_nlt_f32_e32 vcc_lo, 0x42ce8ed0, v4
	v_fma_f32 v6, 0xbfb8aa3b, v4, -v5
	v_rndne_f32_e32 v7, v5
	s_delay_alu instid0(VALU_DEP_1) | instskip(NEXT) | instid1(VALU_DEP_1)
	v_dual_fmamk_f32 v6, v4, 0xb2a5705f, v6 :: v_dual_sub_f32 v5, v5, v7
	v_add_f32_e32 v5, v5, v6
	v_cvt_i32_f32_e32 v6, v7
	s_delay_alu instid0(VALU_DEP_2) | instskip(SKIP_2) | instid1(VALU_DEP_1)
	v_exp_f32_e32 v5, v5
	s_waitcnt_depctr 0xfff
	v_ldexp_f32 v5, v5, v6
	v_cndmask_b32_e32 v5, 0, v5, vcc_lo
	v_cmp_ngt_f32_e32 vcc_lo, 0xc2b17218, v4
	s_delay_alu instid0(VALU_DEP_2) | instskip(NEXT) | instid1(VALU_DEP_1)
	v_cndmask_b32_e32 v4, 0x7f800000, v5, vcc_lo
	v_add_f32_e32 v7, 1.0, v4
	s_delay_alu instid0(VALU_DEP_1) | instskip(SKIP_1) | instid1(VALU_DEP_2)
	v_div_scale_f32 v10, null, v7, v7, 1.0
	v_div_scale_f32 v13, vcc_lo, 1.0, v7, 1.0
	v_rcp_f32_e32 v12, v10
	s_waitcnt_depctr 0xfff
	v_fma_f32 v4, -v10, v12, 1.0
	s_delay_alu instid0(VALU_DEP_1) | instskip(SKIP_3) | instid1(VALU_DEP_2)
	v_fmac_f32_e32 v12, v4, v12
	v_mul_lo_u32 v4, v11, s7
	s_cselect_b32 s7, -1, 0
	s_cmp_lt_i32 s4, 1
	v_mul_f32_e32 v14, v13, v12
	s_delay_alu instid0(VALU_DEP_2) | instskip(NEXT) | instid1(VALU_DEP_2)
	v_add_nc_u32_e32 v5, s4, v4
	v_fma_f32 v6, -v10, v14, v13
	s_delay_alu instid0(VALU_DEP_1) | instskip(NEXT) | instid1(VALU_DEP_3)
	v_fmac_f32_e32 v14, v6, v12
	v_ashrrev_i32_e32 v6, 31, v5
	s_delay_alu instid0(VALU_DEP_2) | instskip(NEXT) | instid1(VALU_DEP_2)
	v_fma_f32 v10, -v10, v14, v13
	v_lshlrev_b64 v[5:6], 2, v[5:6]
	s_delay_alu instid0(VALU_DEP_2) | instskip(NEXT) | instid1(VALU_DEP_2)
	v_div_fmas_f32 v10, v10, v12, v14
	v_add_co_u32 v5, vcc_lo, s2, v5
	s_delay_alu instid0(VALU_DEP_3) | instskip(NEXT) | instid1(VALU_DEP_3)
	v_add_co_ci_u32_e32 v6, vcc_lo, s3, v6, vcc_lo
	v_div_fixup_f32 v7, v10, v7, 1.0
	v_mov_b32_e32 v10, 0
	global_store_b32 v[5:6], v7, off
	s_cbranch_scc1 .LBB240_8
; %bb.5:
	s_waitcnt vmcnt(0)
	v_lshrrev_b32_e32 v5, 16, v0
	s_delay_alu instid0(VALU_DEP_1) | instskip(SKIP_1) | instid1(VALU_DEP_1)
	v_cvt_f32_u32_e32 v17, v5
	v_and_b32_e32 v0, 0xffff, v0
	v_cvt_f32_u32_e32 v18, v0
	s_delay_alu instid0(VALU_DEP_1) | instskip(SKIP_3) | instid1(VALU_DEP_2)
	v_cmp_lt_f32_e32 vcc_lo, v18, v17
	v_cndmask_b32_e32 v5, v18, v17, vcc_lo
	v_and_b32_e32 v0, 0xffff, v1
	v_lshrrev_b32_e32 v1, 16, v1
	v_cvt_f32_u32_e32 v16, v0
	v_cndmask_b32_e64 v0, 0, 1, vcc_lo
	s_delay_alu instid0(VALU_DEP_3) | instskip(NEXT) | instid1(VALU_DEP_3)
	v_cvt_f32_u32_e32 v15, v1
	v_cmp_lt_f32_e32 vcc_lo, v5, v16
	v_cndmask_b32_e32 v1, v5, v16, vcc_lo
	s_delay_alu instid0(VALU_DEP_4) | instskip(SKIP_2) | instid1(VALU_DEP_4)
	v_cndmask_b32_e64 v0, v0, 2, vcc_lo
	v_and_b32_e32 v5, 0xffff, v2
	v_lshrrev_b32_e32 v2, 16, v2
	v_cmp_lt_f32_e32 vcc_lo, v1, v15
	s_delay_alu instid0(VALU_DEP_3) | instskip(NEXT) | instid1(VALU_DEP_3)
	v_cvt_f32_u32_e32 v14, v5
	v_cvt_f32_u32_e32 v13, v2
	v_ashrrev_i32_e32 v5, 31, v4
	v_cndmask_b32_e32 v1, v1, v15, vcc_lo
	v_cndmask_b32_e64 v0, v0, 3, vcc_lo
	v_and_b32_e32 v2, 0xffff, v3
	s_delay_alu instid0(VALU_DEP_4) | instskip(NEXT) | instid1(VALU_DEP_4)
	v_lshlrev_b64 v[5:6], 2, v[4:5]
	v_cmp_lt_f32_e32 vcc_lo, v1, v14
	s_delay_alu instid0(VALU_DEP_3) | instskip(SKIP_3) | instid1(VALU_DEP_3)
	v_cvt_f32_u32_e32 v12, v2
	v_lshrrev_b32_e32 v2, 16, v3
	v_cndmask_b32_e32 v1, v1, v14, vcc_lo
	v_cndmask_b32_e64 v0, v0, 4, vcc_lo
	v_cvt_f32_u32_e32 v20, v2
	v_mul_lo_u32 v2, v11, s4
	s_delay_alu instid0(VALU_DEP_4) | instskip(SKIP_2) | instid1(VALU_DEP_2)
	v_cmp_lt_f32_e32 vcc_lo, v1, v13
	v_cndmask_b32_e32 v1, v1, v13, vcc_lo
	v_cndmask_b32_e64 v0, v0, 5, vcc_lo
	v_cmp_lt_f32_e32 vcc_lo, v1, v12
	v_cndmask_b32_e32 v1, v1, v12, vcc_lo
	s_delay_alu instid0(VALU_DEP_3) | instskip(NEXT) | instid1(VALU_DEP_2)
	v_cndmask_b32_e64 v0, v0, 6, vcc_lo
	v_cmp_lt_f32_e32 vcc_lo, v1, v20
	v_cndmask_b32_e32 v7, v1, v20, vcc_lo
	s_delay_alu instid0(VALU_DEP_3) | instskip(SKIP_2) | instid1(VALU_DEP_4)
	v_cndmask_b32_e64 v19, v0, 7, vcc_lo
	v_add_co_u32 v5, vcc_lo, s2, v5
	v_add_co_ci_u32_e32 v6, vcc_lo, s3, v6, vcc_lo
	v_sub_f32_e32 v10, v7, v7
	s_delay_alu instid0(VALU_DEP_4) | instskip(SKIP_1) | instid1(VALU_DEP_3)
	v_cmp_le_i32_e32 vcc_lo, s5, v19
	v_subrev_nc_u32_e32 v23, s5, v19
	v_mul_f32_e32 v0, 0x3fb8aa3b, v10
	s_delay_alu instid0(VALU_DEP_1) | instskip(SKIP_1) | instid1(VALU_DEP_2)
	v_fma_f32 v1, 0x3fb8aa3b, v10, -v0
	v_rndne_f32_e32 v21, v0
	v_fmac_f32_e32 v1, 0x32a5705f, v10
	s_delay_alu instid0(VALU_DEP_2)
	v_sub_f32_e32 v3, v0, v21
	v_mul_lo_u32 v0, v11, s8
	s_load_b128 s[8:11], s[0:1], 0x20
	v_cvt_i32_f32_e32 v21, v21
	v_cmp_gt_i32_e64 s0, s6, v19
	v_add_f32_e32 v3, v3, v1
	s_delay_alu instid0(VALU_DEP_4) | instskip(NEXT) | instid1(VALU_DEP_2)
	v_ashrrev_i32_e32 v1, 31, v0
	v_exp_f32_e32 v22, v3
	s_delay_alu instid0(VALU_DEP_3) | instskip(SKIP_3) | instid1(VALU_DEP_2)
	s_and_b32 s0, vcc_lo, s0
	v_cmp_ngt_f32_e32 vcc_lo, 0xc2ce8ed0, v10
	v_ashrrev_i32_e32 v3, 31, v2
	v_lshlrev_b64 v[0:1], 2, v[0:1]
	v_lshlrev_b64 v[2:3], 2, v[2:3]
	s_waitcnt_depctr 0xfff
	v_ldexp_f32 v21, v22, v21
	s_delay_alu instid0(VALU_DEP_1)
	v_cndmask_b32_e32 v24, 0, v21, vcc_lo
	s_waitcnt lgkmcnt(0)
	v_add_co_u32 v21, vcc_lo, s8, v0
	v_add_co_ci_u32_e32 v22, vcc_lo, s9, v1, vcc_lo
	s_and_b32 vcc_lo, s13, s0
	s_cmp_eq_u32 s4, 1
	v_cndmask_b32_e32 v25, 8, v23, vcc_lo
	v_cmp_nlt_f32_e32 vcc_lo, 0x42b17218, v10
	v_cndmask_b32_e32 v10, 0x7f800000, v24, vcc_lo
	v_add_co_u32 v23, vcc_lo, s10, v2
	v_add_co_ci_u32_e32 v24, vcc_lo, s11, v3, vcc_lo
	global_store_b32 v[21:22], v25, off
	global_store_b32 v[5:6], v10, off
	;; [unrolled: 1-line block ×3, first 2 shown]
	s_cbranch_scc1 .LBB240_8
; %bb.6:
	v_cmp_ne_u32_e32 vcc_lo, 7, v19
	s_add_i32 s14, s14, s12
	s_delay_alu instid0(SALU_CYCLE_1)
	v_add3_u32 v8, s14, v9, v8
	v_cndmask_b32_e32 v11, 0xff800000, v20, vcc_lo
	v_cmp_ne_u32_e32 vcc_lo, 6, v19
	v_cndmask_b32_e32 v12, 0xff800000, v12, vcc_lo
	v_cmp_ne_u32_e32 vcc_lo, 5, v19
	v_cndmask_b32_e32 v13, 0xff800000, v13, vcc_lo
	v_cmp_ne_u32_e32 vcc_lo, 4, v19
	v_cndmask_b32_e32 v14, 0xff800000, v14, vcc_lo
	v_cmp_ne_u32_e32 vcc_lo, 3, v19
	v_cndmask_b32_e32 v15, 0xff800000, v15, vcc_lo
	v_cmp_ne_u32_e32 vcc_lo, 2, v19
	v_cndmask_b32_e32 v16, 0xff800000, v16, vcc_lo
	v_cmp_ne_u32_e32 vcc_lo, 1, v19
	v_cndmask_b32_e32 v17, 0xff800000, v17, vcc_lo
	v_cmp_ne_u32_e32 vcc_lo, 0, v19
	v_cndmask_b32_e32 v18, 0xff800000, v18, vcc_lo
	v_add_co_u32 v2, vcc_lo, v2, s10
	v_add_co_ci_u32_e32 v3, vcc_lo, s11, v3, vcc_lo
	v_add_co_u32 v19, vcc_lo, v0, s8
	v_add_co_ci_u32_e32 v20, vcc_lo, s9, v1, vcc_lo
	s_delay_alu instid0(VALU_DEP_4) | instskip(NEXT) | instid1(VALU_DEP_4)
	v_add_co_u32 v0, vcc_lo, v2, 4
	v_add_co_ci_u32_e32 v1, vcc_lo, 0, v3, vcc_lo
	s_delay_alu instid0(VALU_DEP_4) | instskip(NEXT) | instid1(VALU_DEP_4)
	v_add_co_u32 v2, vcc_lo, v19, 4
	v_add_co_ci_u32_e32 v3, vcc_lo, 0, v20, vcc_lo
	v_add_co_u32 v5, vcc_lo, v5, 4
	v_add_co_ci_u32_e32 v6, vcc_lo, 0, v6, vcc_lo
	s_add_i32 s8, s4, -1
.LBB240_7:                              ; =>This Inner Loop Header: Depth=1
	v_cmp_gt_f32_e32 vcc_lo, v17, v18
	s_add_i32 s8, s8, -1
	v_cndmask_b32_e32 v9, v18, v17, vcc_lo
	v_cndmask_b32_e64 v19, 0, 1, vcc_lo
	s_delay_alu instid0(VALU_DEP_2) | instskip(SKIP_1) | instid1(VALU_DEP_3)
	v_cmp_gt_f32_e32 vcc_lo, v16, v9
	v_cndmask_b32_e32 v9, v9, v16, vcc_lo
	v_cndmask_b32_e64 v19, v19, 2, vcc_lo
	s_delay_alu instid0(VALU_DEP_2) | instskip(SKIP_1) | instid1(VALU_DEP_3)
	v_cmp_gt_f32_e32 vcc_lo, v15, v9
	;; [unrolled: 4-line block ×5, first 2 shown]
	v_cndmask_b32_e32 v9, v9, v12, vcc_lo
	v_cndmask_b32_e64 v19, v19, 6, vcc_lo
	s_delay_alu instid0(VALU_DEP_2) | instskip(NEXT) | instid1(VALU_DEP_2)
	v_cmp_gt_f32_e32 vcc_lo, v11, v9
	v_cndmask_b32_e64 v19, v19, 7, vcc_lo
	v_cndmask_b32_e32 v9, v9, v11, vcc_lo
	s_delay_alu instid0(VALU_DEP_2)
	v_cmp_ne_u32_e64 s1, 7, v19
	v_cmp_le_i32_e32 vcc_lo, s5, v19
	v_cmp_gt_i32_e64 s0, s6, v19
	v_subrev_nc_u32_e32 v21, s5, v19
	v_sub_f32_e32 v9, v9, v7
	v_cndmask_b32_e64 v11, 0xff800000, v11, s1
	v_cmp_ne_u32_e64 s1, 6, v19
	s_and_b32 s0, vcc_lo, s0
	s_delay_alu instid0(SALU_CYCLE_1) | instskip(SKIP_1) | instid1(VALU_DEP_1)
	s_and_b32 vcc_lo, s13, s0
	s_cmp_eq_u32 s8, 0
	v_cndmask_b32_e64 v12, 0xff800000, v12, s1
	v_cmp_ne_u32_e64 s1, 5, v19
	v_cndmask_b32_e32 v21, 8, v21, vcc_lo
	global_store_b32 v[2:3], v21, off
	global_store_b32 v[0:1], v8, off
	v_add_nc_u32_e32 v8, s12, v8
	v_cndmask_b32_e64 v13, 0xff800000, v13, s1
	v_cmp_ne_u32_e64 s1, 4, v19
	v_add_co_u32 v0, vcc_lo, v0, 4
	v_add_co_ci_u32_e32 v1, vcc_lo, 0, v1, vcc_lo
	s_delay_alu instid0(VALU_DEP_3) | instskip(SKIP_3) | instid1(VALU_DEP_3)
	v_cndmask_b32_e64 v14, 0xff800000, v14, s1
	v_cmp_ne_u32_e64 s1, 3, v19
	v_add_co_u32 v2, vcc_lo, v2, 4
	v_add_co_ci_u32_e32 v3, vcc_lo, 0, v3, vcc_lo
	v_cndmask_b32_e64 v15, 0xff800000, v15, s1
	v_cmp_ne_u32_e64 s1, 2, v19
	v_cmp_ngt_f32_e32 vcc_lo, 0xc2ce8ed0, v9
	v_mul_f32_e32 v20, 0x3fb8aa3b, v9
	s_delay_alu instid0(VALU_DEP_3) | instskip(SKIP_1) | instid1(VALU_DEP_3)
	v_cndmask_b32_e64 v16, 0xff800000, v16, s1
	v_cmp_ne_u32_e64 s1, 1, v19
	v_rndne_f32_e32 v22, v20
	s_delay_alu instid0(VALU_DEP_2) | instskip(SKIP_2) | instid1(VALU_DEP_4)
	v_cndmask_b32_e64 v17, 0xff800000, v17, s1
	v_cmp_ne_u32_e64 s1, 0, v19
	v_fma_f32 v19, 0x3fb8aa3b, v9, -v20
	v_sub_f32_e32 v20, v20, v22
	v_cvt_i32_f32_e32 v22, v22
	s_delay_alu instid0(VALU_DEP_4) | instskip(NEXT) | instid1(VALU_DEP_4)
	v_cndmask_b32_e64 v18, 0xff800000, v18, s1
	v_fmac_f32_e32 v19, 0x32a5705f, v9
	s_delay_alu instid0(VALU_DEP_1) | instskip(NEXT) | instid1(VALU_DEP_1)
	v_add_f32_e32 v19, v20, v19
	v_exp_f32_e32 v19, v19
	s_waitcnt_depctr 0xfff
	v_ldexp_f32 v19, v19, v22
	s_delay_alu instid0(VALU_DEP_1) | instskip(SKIP_1) | instid1(VALU_DEP_2)
	v_cndmask_b32_e32 v19, 0, v19, vcc_lo
	v_cmp_nlt_f32_e32 vcc_lo, 0x42b17218, v9
	v_cndmask_b32_e32 v9, 0x7f800000, v19, vcc_lo
	s_delay_alu instid0(VALU_DEP_1)
	v_add_f32_e32 v10, v10, v9
	global_store_b32 v[5:6], v9, off
	v_add_co_u32 v5, vcc_lo, v5, 4
	v_add_co_ci_u32_e32 v6, vcc_lo, 0, v6, vcc_lo
	s_cbranch_scc0 .LBB240_7
.LBB240_8:
	v_cmp_neq_f32_e32 vcc_lo, 0, v10
	s_and_b32 exec_lo, exec_lo, vcc_lo
	s_cbranch_execz .LBB240_12
; %bb.9:
	s_and_not1_b32 vcc_lo, exec_lo, s7
	s_cbranch_vccnz .LBB240_12
; %bb.10:
	s_waitcnt vmcnt(0)
	v_div_scale_f32 v0, null, v10, v10, 1.0
	v_div_scale_f32 v3, vcc_lo, 1.0, v10, 1.0
	s_delay_alu instid0(VALU_DEP_2) | instskip(SKIP_2) | instid1(VALU_DEP_1)
	v_rcp_f32_e32 v1, v0
	s_waitcnt_depctr 0xfff
	v_fma_f32 v2, -v0, v1, 1.0
	v_fmac_f32_e32 v1, v2, v1
	s_delay_alu instid0(VALU_DEP_1) | instskip(NEXT) | instid1(VALU_DEP_1)
	v_mul_f32_e32 v2, v3, v1
	v_fma_f32 v5, -v0, v2, v3
	s_delay_alu instid0(VALU_DEP_1) | instskip(SKIP_1) | instid1(VALU_DEP_2)
	v_fmac_f32_e32 v2, v5, v1
	v_ashrrev_i32_e32 v5, 31, v4
	v_fma_f32 v0, -v0, v2, v3
	s_delay_alu instid0(VALU_DEP_1) | instskip(NEXT) | instid1(VALU_DEP_3)
	v_div_fmas_f32 v2, v0, v1, v2
	v_lshlrev_b64 v[0:1], 2, v[4:5]
	s_delay_alu instid0(VALU_DEP_2) | instskip(NEXT) | instid1(VALU_DEP_2)
	v_div_fixup_f32 v2, v2, v10, 1.0
	v_add_co_u32 v0, vcc_lo, s2, v0
	s_delay_alu instid0(VALU_DEP_3)
	v_add_co_ci_u32_e32 v1, vcc_lo, s3, v1, vcc_lo
.LBB240_11:                             ; =>This Inner Loop Header: Depth=1
	global_load_b32 v3, v[0:1], off
	s_add_i32 s4, s4, -1
	s_delay_alu instid0(SALU_CYCLE_1)
	s_cmp_lg_u32 s4, 0
	s_waitcnt vmcnt(0)
	v_mul_f32_e32 v3, v2, v3
	global_store_b32 v[0:1], v3, off
	v_add_co_u32 v0, vcc_lo, v0, 4
	v_add_co_ci_u32_e32 v1, vcc_lo, 0, v1, vcc_lo
	s_cbranch_scc1 .LBB240_11
.LBB240_12:
	s_nop 0
	s_sendmsg sendmsg(MSG_DEALLOC_VGPRS)
	s_endpgm
	.section	.rodata,"a",@progbits
	.p2align	6, 0x0
	.amdhsa_kernel _ZN4vllm3moe17topkGatingSoftmaxItLi8ELi8ELi8ELi16ELb1ELi1ELNS0_23SharedExpertScoringFuncE1EEEvPKT_PKbPfiPiS9_iiiiii
		.amdhsa_group_segment_fixed_size 0
		.amdhsa_private_segment_fixed_size 0
		.amdhsa_kernarg_size 72
		.amdhsa_user_sgpr_count 15
		.amdhsa_user_sgpr_dispatch_ptr 0
		.amdhsa_user_sgpr_queue_ptr 0
		.amdhsa_user_sgpr_kernarg_segment_ptr 1
		.amdhsa_user_sgpr_dispatch_id 0
		.amdhsa_user_sgpr_private_segment_size 0
		.amdhsa_wavefront_size32 1
		.amdhsa_uses_dynamic_stack 0
		.amdhsa_enable_private_segment 0
		.amdhsa_system_sgpr_workgroup_id_x 1
		.amdhsa_system_sgpr_workgroup_id_y 0
		.amdhsa_system_sgpr_workgroup_id_z 0
		.amdhsa_system_sgpr_workgroup_info 0
		.amdhsa_system_vgpr_workitem_id 1
		.amdhsa_next_free_vgpr 26
		.amdhsa_next_free_sgpr 16
		.amdhsa_reserve_vcc 1
		.amdhsa_float_round_mode_32 0
		.amdhsa_float_round_mode_16_64 0
		.amdhsa_float_denorm_mode_32 3
		.amdhsa_float_denorm_mode_16_64 3
		.amdhsa_dx10_clamp 1
		.amdhsa_ieee_mode 1
		.amdhsa_fp16_overflow 0
		.amdhsa_workgroup_processor_mode 1
		.amdhsa_memory_ordered 1
		.amdhsa_forward_progress 0
		.amdhsa_shared_vgpr_count 0
		.amdhsa_exception_fp_ieee_invalid_op 0
		.amdhsa_exception_fp_denorm_src 0
		.amdhsa_exception_fp_ieee_div_zero 0
		.amdhsa_exception_fp_ieee_overflow 0
		.amdhsa_exception_fp_ieee_underflow 0
		.amdhsa_exception_fp_ieee_inexact 0
		.amdhsa_exception_int_div_zero 0
	.end_amdhsa_kernel
	.section	.text._ZN4vllm3moe17topkGatingSoftmaxItLi8ELi8ELi8ELi16ELb1ELi1ELNS0_23SharedExpertScoringFuncE1EEEvPKT_PKbPfiPiS9_iiiiii,"axG",@progbits,_ZN4vllm3moe17topkGatingSoftmaxItLi8ELi8ELi8ELi16ELb1ELi1ELNS0_23SharedExpertScoringFuncE1EEEvPKT_PKbPfiPiS9_iiiiii,comdat
.Lfunc_end240:
	.size	_ZN4vllm3moe17topkGatingSoftmaxItLi8ELi8ELi8ELi16ELb1ELi1ELNS0_23SharedExpertScoringFuncE1EEEvPKT_PKbPfiPiS9_iiiiii, .Lfunc_end240-_ZN4vllm3moe17topkGatingSoftmaxItLi8ELi8ELi8ELi16ELb1ELi1ELNS0_23SharedExpertScoringFuncE1EEEvPKT_PKbPfiPiS9_iiiiii
                                        ; -- End function
	.section	.AMDGPU.csdata,"",@progbits
; Kernel info:
; codeLenInByte = 1968
; NumSgprs: 18
; NumVgprs: 26
; ScratchSize: 0
; MemoryBound: 0
; FloatMode: 240
; IeeeMode: 1
; LDSByteSize: 0 bytes/workgroup (compile time only)
; SGPRBlocks: 2
; VGPRBlocks: 3
; NumSGPRsForWavesPerEU: 18
; NumVGPRsForWavesPerEU: 26
; Occupancy: 16
; WaveLimiterHint : 0
; COMPUTE_PGM_RSRC2:SCRATCH_EN: 0
; COMPUTE_PGM_RSRC2:USER_SGPR: 15
; COMPUTE_PGM_RSRC2:TRAP_HANDLER: 0
; COMPUTE_PGM_RSRC2:TGID_X_EN: 1
; COMPUTE_PGM_RSRC2:TGID_Y_EN: 0
; COMPUTE_PGM_RSRC2:TGID_Z_EN: 0
; COMPUTE_PGM_RSRC2:TIDIG_COMP_CNT: 1
	.section	.text._ZN4vllm3moe17topkGatingSoftmaxItLi8ELi8ELi8ELi16ELb0ELi1ELNS0_23SharedExpertScoringFuncE1EEEvPKT_PKbPfiPiS9_iiiiii,"axG",@progbits,_ZN4vllm3moe17topkGatingSoftmaxItLi8ELi8ELi8ELi16ELb0ELi1ELNS0_23SharedExpertScoringFuncE1EEEvPKT_PKbPfiPiS9_iiiiii,comdat
	.protected	_ZN4vllm3moe17topkGatingSoftmaxItLi8ELi8ELi8ELi16ELb0ELi1ELNS0_23SharedExpertScoringFuncE1EEEvPKT_PKbPfiPiS9_iiiiii ; -- Begin function _ZN4vllm3moe17topkGatingSoftmaxItLi8ELi8ELi8ELi16ELb0ELi1ELNS0_23SharedExpertScoringFuncE1EEEvPKT_PKbPfiPiS9_iiiiii
	.globl	_ZN4vllm3moe17topkGatingSoftmaxItLi8ELi8ELi8ELi16ELb0ELi1ELNS0_23SharedExpertScoringFuncE1EEEvPKT_PKbPfiPiS9_iiiiii
	.p2align	8
	.type	_ZN4vllm3moe17topkGatingSoftmaxItLi8ELi8ELi8ELi16ELb0ELi1ELNS0_23SharedExpertScoringFuncE1EEEvPKT_PKbPfiPiS9_iiiiii,@function
_ZN4vllm3moe17topkGatingSoftmaxItLi8ELi8ELi8ELi16ELb0ELi1ELNS0_23SharedExpertScoringFuncE1EEEvPKT_PKbPfiPiS9_iiiiii: ; @_ZN4vllm3moe17topkGatingSoftmaxItLi8ELi8ELi8ELi16ELb0ELi1ELNS0_23SharedExpertScoringFuncE1EEEvPKT_PKbPfiPiS9_iiiiii
; %bb.0:
	s_load_b32 s16, s[0:1], 0x18
	v_bfe_u32 v1, v0, 10, 10
	v_and_b32_e32 v18, 0x3ff, v0
	s_lshl_b32 s18, s15, 8
	s_mov_b32 s2, exec_lo
	s_delay_alu instid0(VALU_DEP_2) | instskip(NEXT) | instid1(VALU_DEP_1)
	v_lshlrev_b32_e32 v17, 5, v1
	v_add3_u32 v19, v17, v18, s18
	s_waitcnt lgkmcnt(0)
	s_delay_alu instid0(VALU_DEP_1)
	v_cmpx_gt_i32_e64 s16, v19
	s_cbranch_execz .LBB241_12
; %bb.1:
	s_clause 0x1
	s_load_b128 s[4:7], s[0:1], 0x0
	s_load_b64 s[12:13], s[0:1], 0x10
	s_waitcnt lgkmcnt(0)
	s_cmp_eq_u64 s[6:7], 0
	s_cbranch_scc1 .LBB241_3
; %bb.2:
	v_ashrrev_i32_e32 v1, 31, v19
	v_add_co_u32 v0, vcc_lo, s6, v19
	s_delay_alu instid0(VALU_DEP_2) | instskip(SKIP_3) | instid1(VALU_DEP_1)
	v_add_co_ci_u32_e32 v1, vcc_lo, s7, v1, vcc_lo
	global_load_u8 v0, v[0:1], off
	s_waitcnt vmcnt(0)
	v_and_b32_e32 v0, 1, v0
	v_cmp_eq_u32_e32 vcc_lo, 1, v0
	s_xor_b32 s2, vcc_lo, -1
	s_delay_alu instid0(SALU_CYCLE_1)
	s_or_not1_b32 s17, s2, exec_lo
	s_branch .LBB241_4
.LBB241_3:
	s_mov_b32 s17, -1
.LBB241_4:
	s_clause 0x1
	s_load_b64 s[14:15], s[0:1], 0x40
	s_load_b128 s[8:11], s[0:1], 0x30
	s_waitcnt lgkmcnt(0)
	v_mul_lo_u32 v0, v19, s15
	s_cmp_gt_i32 s8, 0
	s_delay_alu instid0(VALU_DEP_1) | instskip(NEXT) | instid1(VALU_DEP_1)
	v_ashrrev_i32_e32 v1, 31, v0
	v_lshlrev_b64 v[0:1], 1, v[0:1]
	s_delay_alu instid0(VALU_DEP_1) | instskip(NEXT) | instid1(VALU_DEP_2)
	v_add_co_u32 v0, vcc_lo, s4, v0
	v_add_co_ci_u32_e32 v1, vcc_lo, s5, v1, vcc_lo
	s_clause 0x1
	global_load_u16 v4, v[0:1], off offset:16
	global_load_b128 v[0:3], v[0:1], off
	s_waitcnt vmcnt(1)
	v_cvt_f32_u32_e32 v4, v4
	s_delay_alu instid0(VALU_DEP_1) | instskip(SKIP_1) | instid1(VALU_DEP_2)
	v_mul_f32_e32 v5, 0xbfb8aa3b, v4
	v_cmp_nlt_f32_e32 vcc_lo, 0x42ce8ed0, v4
	v_fma_f32 v6, 0xbfb8aa3b, v4, -v5
	v_rndne_f32_e32 v7, v5
	s_delay_alu instid0(VALU_DEP_1) | instskip(NEXT) | instid1(VALU_DEP_1)
	v_dual_fmamk_f32 v6, v4, 0xb2a5705f, v6 :: v_dual_sub_f32 v5, v5, v7
	v_add_f32_e32 v5, v5, v6
	v_cvt_i32_f32_e32 v6, v7
	s_waitcnt vmcnt(0)
	v_and_b32_e32 v7, 0xffff, v0
	s_delay_alu instid0(VALU_DEP_3) | instskip(NEXT) | instid1(VALU_DEP_1)
	v_exp_f32_e32 v5, v5
	v_cvt_f32_u32_e32 v16, v7
	s_waitcnt_depctr 0xfff
	v_ldexp_f32 v5, v5, v6
	v_lshrrev_b32_e32 v6, 16, v0
	v_mul_lo_u32 v0, v19, s11
	s_cselect_b32 s11, -1, 0
	s_cmp_lt_i32 s8, 1
	v_cndmask_b32_e32 v5, 0, v5, vcc_lo
	v_cmp_ngt_f32_e32 vcc_lo, 0xc2b17218, v4
	v_cvt_f32_u32_e32 v15, v6
	v_and_b32_e32 v6, 0xffff, v2
	v_lshrrev_b32_e32 v2, 16, v2
	v_cndmask_b32_e32 v4, 0x7f800000, v5, vcc_lo
	s_delay_alu instid0(VALU_DEP_4) | instskip(NEXT) | instid1(VALU_DEP_4)
	v_cmp_lt_f32_e64 s7, v16, v15
	v_cvt_f32_u32_e32 v11, v6
	s_delay_alu instid0(VALU_DEP_4) | instskip(NEXT) | instid1(VALU_DEP_4)
	v_cvt_f32_u32_e32 v10, v2
	v_add_f32_e32 v4, 1.0, v4
	s_delay_alu instid0(VALU_DEP_1) | instskip(SKIP_1) | instid1(VALU_DEP_2)
	v_div_scale_f32 v5, null, v4, v4, 1.0
	v_div_scale_f32 v12, vcc_lo, 1.0, v4, 1.0
	v_rcp_f32_e32 v8, v5
	s_waitcnt_depctr 0xfff
	v_fma_f32 v7, -v5, v8, 1.0
	v_and_b32_e32 v9, 0xffff, v1
	v_lshrrev_b32_e32 v1, 16, v1
	s_delay_alu instid0(VALU_DEP_3) | instskip(NEXT) | instid1(VALU_DEP_3)
	v_fmac_f32_e32 v8, v7, v8
	v_cvt_f32_u32_e32 v14, v9
	v_cndmask_b32_e64 v9, v16, v15, s7
	s_delay_alu instid0(VALU_DEP_4) | instskip(NEXT) | instid1(VALU_DEP_4)
	v_cvt_f32_u32_e32 v13, v1
	v_mul_f32_e32 v6, v12, v8
	s_delay_alu instid0(VALU_DEP_3) | instskip(NEXT) | instid1(VALU_DEP_1)
	v_cmp_lt_f32_e64 s4, v9, v14
	v_cndmask_b32_e64 v1, v9, v14, s4
	v_and_b32_e32 v9, 0xffff, v3
	s_delay_alu instid0(VALU_DEP_4) | instskip(SKIP_1) | instid1(VALU_DEP_4)
	v_fma_f32 v20, -v5, v6, v12
	v_lshrrev_b32_e32 v3, 16, v3
	v_cmp_lt_f32_e64 s5, v1, v13
	s_delay_alu instid0(VALU_DEP_4) | instskip(NEXT) | instid1(VALU_DEP_4)
	v_cvt_f32_u32_e32 v9, v9
	v_fmac_f32_e32 v6, v20, v8
	s_delay_alu instid0(VALU_DEP_3) | instskip(NEXT) | instid1(VALU_DEP_1)
	v_cndmask_b32_e64 v7, v1, v13, s5
	v_cmp_lt_f32_e64 s6, v7, v11
	s_delay_alu instid0(VALU_DEP_1) | instskip(NEXT) | instid1(VALU_DEP_1)
	v_cndmask_b32_e64 v7, v7, v11, s6
	v_cmp_lt_f32_e64 s3, v7, v10
	s_delay_alu instid0(VALU_DEP_1) | instskip(SKIP_3) | instid1(VALU_DEP_4)
	v_cndmask_b32_e64 v20, v7, v10, s3
	v_cvt_f32_u32_e32 v7, v3
	v_fma_f32 v3, -v5, v6, v12
	v_mov_b32_e32 v12, 0
	v_cmp_lt_f32_e64 s2, v20, v9
	s_delay_alu instid0(VALU_DEP_3) | instskip(NEXT) | instid1(VALU_DEP_2)
	v_div_fmas_f32 v3, v3, v8, v6
	v_cndmask_b32_e64 v5, v20, v9, s2
	v_add_nc_u32_e32 v1, s8, v0
	s_delay_alu instid0(VALU_DEP_3) | instskip(NEXT) | instid1(VALU_DEP_2)
	v_div_fixup_f32 v3, v3, v4, 1.0
	v_ashrrev_i32_e32 v2, 31, v1
	s_delay_alu instid0(VALU_DEP_1) | instskip(NEXT) | instid1(VALU_DEP_1)
	v_lshlrev_b64 v[1:2], 2, v[1:2]
	v_add_co_u32 v1, vcc_lo, s12, v1
	s_delay_alu instid0(VALU_DEP_2)
	v_add_co_ci_u32_e32 v2, vcc_lo, s13, v2, vcc_lo
	v_cmp_lt_f32_e32 vcc_lo, v5, v7
	global_store_b32 v[1:2], v3, off
	v_cndmask_b32_e32 v8, v5, v7, vcc_lo
	s_cbranch_scc1 .LBB241_8
; %bb.5:
	v_cndmask_b32_e64 v1, 0, 1, s7
	s_delay_alu instid0(VALU_DEP_2) | instskip(SKIP_2) | instid1(VALU_DEP_4)
	v_sub_f32_e32 v12, v8, v8
	v_mul_lo_u32 v2, v19, s14
	v_mul_lo_u32 v20, v19, s8
	v_cndmask_b32_e64 v1, v1, 2, s4
	s_delay_alu instid0(VALU_DEP_4) | instskip(NEXT) | instid1(VALU_DEP_2)
	v_mul_f32_e32 v3, 0x3fb8aa3b, v12
	v_cndmask_b32_e64 v1, v1, 3, s5
	s_delay_alu instid0(VALU_DEP_2) | instskip(SKIP_1) | instid1(VALU_DEP_3)
	v_rndne_f32_e32 v4, v3
	v_fma_f32 v5, 0x3fb8aa3b, v12, -v3
	v_cndmask_b32_e64 v6, v1, 4, s6
	s_delay_alu instid0(VALU_DEP_3) | instskip(NEXT) | instid1(VALU_DEP_3)
	v_sub_f32_e32 v3, v3, v4
	v_fmac_f32_e32 v5, 0x32a5705f, v12
	v_ashrrev_i32_e32 v1, 31, v0
	s_load_b128 s[4:7], s[0:1], 0x20
	v_cndmask_b32_e64 v21, v6, 5, s3
	v_cvt_i32_f32_e32 v4, v4
	v_add_f32_e32 v22, v3, v5
	v_lshlrev_b64 v[5:6], 2, v[0:1]
	v_ashrrev_i32_e32 v3, 31, v2
	v_cndmask_b32_e64 v1, v21, 6, s2
	v_ashrrev_i32_e32 v21, 31, v20
	v_exp_f32_e32 v22, v22
	s_delay_alu instid0(VALU_DEP_2) | instskip(SKIP_2) | instid1(VALU_DEP_3)
	v_cndmask_b32_e64 v24, v1, 7, vcc_lo
	v_add_co_u32 v5, vcc_lo, s12, v5
	v_add_co_ci_u32_e32 v6, vcc_lo, s13, v6, vcc_lo
	v_cmp_le_i32_e32 vcc_lo, s9, v24
	v_cmp_gt_i32_e64 s0, s10, v24
	v_lshlrev_b64 v[1:2], 2, v[2:3]
	s_delay_alu instid0(TRANS32_DEP_1)
	v_ldexp_f32 v22, v22, v4
	v_lshlrev_b64 v[3:4], 2, v[20:21]
	v_subrev_nc_u32_e32 v23, s9, v24
	s_and_b32 s0, vcc_lo, s0
	v_cmp_ngt_f32_e32 vcc_lo, 0xc2ce8ed0, v12
	v_cndmask_b32_e32 v22, 0, v22, vcc_lo
	s_waitcnt lgkmcnt(0)
	v_add_co_u32 v20, vcc_lo, s4, v1
	v_add_co_ci_u32_e32 v21, vcc_lo, s5, v2, vcc_lo
	s_and_b32 vcc_lo, s17, s0
	s_cmp_eq_u32 s8, 1
	v_cndmask_b32_e32 v25, 8, v23, vcc_lo
	v_cmp_nlt_f32_e32 vcc_lo, 0x42b17218, v12
	v_cndmask_b32_e32 v12, 0x7f800000, v22, vcc_lo
	v_add_co_u32 v22, vcc_lo, s6, v3
	v_add_co_ci_u32_e32 v23, vcc_lo, s7, v4, vcc_lo
	v_cmp_ne_u32_e32 vcc_lo, 7, v24
	global_store_b32 v[5:6], v12, off
	global_store_b32 v[20:21], v25, off
	;; [unrolled: 1-line block ×3, first 2 shown]
	v_cndmask_b32_e32 v7, 0xff800000, v7, vcc_lo
	v_cmp_ne_u32_e32 vcc_lo, 6, v24
	v_cndmask_b32_e32 v9, 0xff800000, v9, vcc_lo
	v_cmp_ne_u32_e32 vcc_lo, 5, v24
	;; [unrolled: 2-line block ×7, first 2 shown]
	v_cndmask_b32_e32 v16, 0xff800000, v16, vcc_lo
	s_cbranch_scc1 .LBB241_8
; %bb.6:
	v_add_co_u32 v3, vcc_lo, v3, s6
	v_add_co_ci_u32_e32 v4, vcc_lo, s7, v4, vcc_lo
	v_add_co_u32 v19, vcc_lo, v1, s4
	v_add_co_ci_u32_e32 v20, vcc_lo, s5, v2, vcc_lo
	s_delay_alu instid0(VALU_DEP_4) | instskip(NEXT) | instid1(VALU_DEP_4)
	v_add_co_u32 v1, vcc_lo, v3, 4
	v_add_co_ci_u32_e32 v2, vcc_lo, 0, v4, vcc_lo
	s_delay_alu instid0(VALU_DEP_4) | instskip(NEXT) | instid1(VALU_DEP_4)
	v_add_co_u32 v3, vcc_lo, v19, 4
	v_add_co_ci_u32_e32 v4, vcc_lo, 0, v20, vcc_lo
	s_add_i32 s18, s18, s16
	v_add_co_u32 v5, vcc_lo, v5, 4
	v_add_co_ci_u32_e32 v6, vcc_lo, 0, v6, vcc_lo
	v_add3_u32 v17, s18, v18, v17
	s_add_i32 s2, s8, -1
.LBB241_7:                              ; =>This Inner Loop Header: Depth=1
	v_cmp_gt_f32_e32 vcc_lo, v15, v16
	s_add_i32 s2, s2, -1
	v_cndmask_b32_e32 v18, v16, v15, vcc_lo
	v_cndmask_b32_e64 v19, 0, 1, vcc_lo
	s_delay_alu instid0(VALU_DEP_2) | instskip(SKIP_1) | instid1(VALU_DEP_3)
	v_cmp_gt_f32_e32 vcc_lo, v14, v18
	v_cndmask_b32_e32 v18, v18, v14, vcc_lo
	v_cndmask_b32_e64 v19, v19, 2, vcc_lo
	s_delay_alu instid0(VALU_DEP_2) | instskip(SKIP_1) | instid1(VALU_DEP_3)
	v_cmp_gt_f32_e32 vcc_lo, v13, v18
	v_cndmask_b32_e32 v18, v18, v13, vcc_lo
	v_cndmask_b32_e64 v19, v19, 3, vcc_lo
	s_delay_alu instid0(VALU_DEP_2) | instskip(SKIP_1) | instid1(VALU_DEP_3)
	v_cmp_gt_f32_e32 vcc_lo, v11, v18
	v_cndmask_b32_e32 v18, v18, v11, vcc_lo
	v_cndmask_b32_e64 v19, v19, 4, vcc_lo
	s_delay_alu instid0(VALU_DEP_2) | instskip(SKIP_1) | instid1(VALU_DEP_3)
	v_cmp_gt_f32_e32 vcc_lo, v10, v18
	v_cndmask_b32_e32 v18, v18, v10, vcc_lo
	v_cndmask_b32_e64 v19, v19, 5, vcc_lo
	s_delay_alu instid0(VALU_DEP_2) | instskip(SKIP_1) | instid1(VALU_DEP_3)
	v_cmp_gt_f32_e32 vcc_lo, v9, v18
	v_cndmask_b32_e32 v18, v18, v9, vcc_lo
	v_cndmask_b32_e64 v19, v19, 6, vcc_lo
	s_delay_alu instid0(VALU_DEP_2) | instskip(NEXT) | instid1(VALU_DEP_2)
	v_cmp_gt_f32_e32 vcc_lo, v7, v18
	v_cndmask_b32_e64 v19, v19, 7, vcc_lo
	v_cndmask_b32_e32 v18, v18, v7, vcc_lo
	s_delay_alu instid0(VALU_DEP_2) | instskip(NEXT) | instid1(VALU_DEP_2)
	v_cmp_ne_u32_e64 s1, 7, v19
	v_sub_f32_e32 v18, v18, v8
	v_cmp_le_i32_e32 vcc_lo, s9, v19
	v_cmp_gt_i32_e64 s0, s10, v19
	v_subrev_nc_u32_e32 v21, s9, v19
	v_cndmask_b32_e64 v7, 0xff800000, v7, s1
	v_cmp_ne_u32_e64 s1, 6, v19
	v_mul_f32_e32 v20, 0x3fb8aa3b, v18
	s_and_b32 s0, vcc_lo, s0
	s_delay_alu instid0(SALU_CYCLE_1) | instskip(NEXT) | instid1(VALU_DEP_2)
	s_and_b32 vcc_lo, s17, s0
	v_cndmask_b32_e64 v9, 0xff800000, v9, s1
	v_cmp_ne_u32_e64 s1, 5, v19
	v_rndne_f32_e32 v22, v20
	v_cndmask_b32_e32 v21, 8, v21, vcc_lo
	global_store_b32 v[3:4], v21, off
	global_store_b32 v[1:2], v17, off
	v_add_nc_u32_e32 v17, s16, v17
	v_cndmask_b32_e64 v10, 0xff800000, v10, s1
	v_cmp_ne_u32_e64 s1, 4, v19
	v_add_co_u32 v1, vcc_lo, v1, 4
	v_add_co_ci_u32_e32 v2, vcc_lo, 0, v2, vcc_lo
	s_delay_alu instid0(VALU_DEP_3) | instskip(SKIP_3) | instid1(VALU_DEP_3)
	v_cndmask_b32_e64 v11, 0xff800000, v11, s1
	v_cmp_ne_u32_e64 s1, 3, v19
	v_add_co_u32 v3, vcc_lo, v3, 4
	v_add_co_ci_u32_e32 v4, vcc_lo, 0, v4, vcc_lo
	v_cndmask_b32_e64 v13, 0xff800000, v13, s1
	v_cmp_ne_u32_e64 s1, 2, v19
	v_cmp_ngt_f32_e32 vcc_lo, 0xc2ce8ed0, v18
	s_cmp_eq_u32 s2, 0
	s_delay_alu instid0(VALU_DEP_2) | instskip(SKIP_1) | instid1(VALU_DEP_1)
	v_cndmask_b32_e64 v14, 0xff800000, v14, s1
	v_cmp_ne_u32_e64 s1, 1, v19
	v_cndmask_b32_e64 v15, 0xff800000, v15, s1
	v_cmp_ne_u32_e64 s1, 0, v19
	v_fma_f32 v19, 0x3fb8aa3b, v18, -v20
	v_sub_f32_e32 v20, v20, v22
	v_cvt_i32_f32_e32 v22, v22
	s_delay_alu instid0(VALU_DEP_4) | instskip(NEXT) | instid1(VALU_DEP_4)
	v_cndmask_b32_e64 v16, 0xff800000, v16, s1
	v_fmac_f32_e32 v19, 0x32a5705f, v18
	s_delay_alu instid0(VALU_DEP_1) | instskip(NEXT) | instid1(VALU_DEP_1)
	v_add_f32_e32 v19, v20, v19
	v_exp_f32_e32 v19, v19
	s_waitcnt_depctr 0xfff
	v_ldexp_f32 v19, v19, v22
	s_delay_alu instid0(VALU_DEP_1) | instskip(SKIP_1) | instid1(VALU_DEP_2)
	v_cndmask_b32_e32 v19, 0, v19, vcc_lo
	v_cmp_nlt_f32_e32 vcc_lo, 0x42b17218, v18
	v_cndmask_b32_e32 v18, 0x7f800000, v19, vcc_lo
	global_store_b32 v[5:6], v18, off
	v_add_co_u32 v5, vcc_lo, v5, 4
	v_add_f32_e32 v12, v12, v18
	v_add_co_ci_u32_e32 v6, vcc_lo, 0, v6, vcc_lo
	s_cbranch_scc0 .LBB241_7
.LBB241_8:
	s_delay_alu instid0(VALU_DEP_1) | instskip(NEXT) | instid1(VALU_DEP_2)
	v_sub_f32_e32 v2, v15, v8
	v_sub_f32_e32 v1, v16, v8
	;; [unrolled: 1-line block ×5, first 2 shown]
	s_delay_alu instid0(VALU_DEP_4) | instskip(SKIP_1) | instid1(VALU_DEP_2)
	v_dual_mul_f32 v6, 0x3fb8aa3b, v2 :: v_dual_mul_f32 v5, 0x3fb8aa3b, v1
	v_cmp_ngt_f32_e32 vcc_lo, 0xc2ce8ed0, v1
	v_fma_f32 v17, 0x3fb8aa3b, v2, -v6
	s_delay_alu instid0(VALU_DEP_3) | instskip(SKIP_2) | instid1(VALU_DEP_4)
	v_fma_f32 v15, 0x3fb8aa3b, v1, -v5
	v_rndne_f32_e32 v16, v5
	v_rndne_f32_e32 v18, v6
	v_fmac_f32_e32 v17, 0x32a5705f, v2
	s_delay_alu instid0(VALU_DEP_2) | instskip(NEXT) | instid1(VALU_DEP_1)
	v_dual_fmac_f32 v15, 0x32a5705f, v1 :: v_dual_sub_f32 v6, v6, v18
	v_dual_sub_f32 v5, v5, v16 :: v_dual_add_f32 v6, v6, v17
	s_delay_alu instid0(VALU_DEP_1) | instskip(SKIP_2) | instid1(VALU_DEP_4)
	v_add_f32_e32 v5, v5, v15
	v_cvt_i32_f32_e32 v15, v16
	v_cvt_i32_f32_e32 v16, v18
	v_exp_f32_e32 v6, v6
	s_delay_alu instid0(VALU_DEP_3) | instskip(SKIP_3) | instid1(VALU_DEP_1)
	v_exp_f32_e32 v5, v5
	s_waitcnt_depctr 0xfff
	v_ldexp_f32 v6, v6, v16
	v_ldexp_f32 v5, v5, v15
	v_cndmask_b32_e32 v5, 0, v5, vcc_lo
	v_cmp_ngt_f32_e32 vcc_lo, 0xc2ce8ed0, v2
	s_delay_alu instid0(VALU_DEP_4) | instskip(NEXT) | instid1(VALU_DEP_1)
	v_dual_sub_f32 v3, v14, v8 :: v_dual_cndmask_b32 v6, 0, v6
	v_dual_sub_f32 v4, v13, v8 :: v_dual_mul_f32 v13, 0x3fb8aa3b, v3
	v_cmp_nlt_f32_e32 vcc_lo, 0x42b17218, v1
	s_delay_alu instid0(VALU_DEP_2) | instskip(SKIP_3) | instid1(VALU_DEP_4)
	v_fma_f32 v19, 0x3fb8aa3b, v3, -v13
	v_rndne_f32_e32 v20, v13
	v_cndmask_b32_e32 v1, 0x7f800000, v5, vcc_lo
	v_cmp_nlt_f32_e32 vcc_lo, 0x42b17218, v2
	v_fmac_f32_e32 v19, 0x32a5705f, v3
	s_delay_alu instid0(VALU_DEP_4) | instskip(SKIP_3) | instid1(VALU_DEP_4)
	v_sub_f32_e32 v13, v13, v20
	v_cvt_i32_f32_e32 v15, v20
	v_cndmask_b32_e32 v2, 0x7f800000, v6, vcc_lo
	v_sub_f32_e32 v6, v11, v8
	v_dual_mul_f32 v14, 0x3fb8aa3b, v4 :: v_dual_add_f32 v13, v13, v19
	v_cmp_ngt_f32_e32 vcc_lo, 0xc2ce8ed0, v3
	s_delay_alu instid0(VALU_DEP_2) | instskip(NEXT) | instid1(VALU_DEP_3)
	v_fma_f32 v21, 0x3fb8aa3b, v4, -v14
	v_exp_f32_e32 v13, v13
	v_rndne_f32_e32 v22, v14
	s_delay_alu instid0(VALU_DEP_1) | instskip(SKIP_4) | instid1(VALU_DEP_1)
	v_sub_f32_e32 v14, v14, v22
	v_cvt_i32_f32_e32 v11, v22
	s_waitcnt_depctr 0xfff
	v_ldexp_f32 v13, v13, v15
	v_mul_f32_e32 v15, 0x3fb8aa3b, v7
	v_rndne_f32_e32 v16, v15
	s_delay_alu instid0(VALU_DEP_3)
	v_cndmask_b32_e32 v5, 0, v13, vcc_lo
	v_cmp_nlt_f32_e32 vcc_lo, 0x42b17218, v3
	v_add_f32_e32 v1, v1, v2
	v_mul_f32_e32 v3, 0x3fb8aa3b, v6
	v_mul_f32_e32 v13, 0x3fb8aa3b, v9
	v_cndmask_b32_e32 v2, 0x7f800000, v5, vcc_lo
	v_cmp_ngt_f32_e32 vcc_lo, 0xc2ce8ed0, v4
	s_delay_alu instid0(VALU_DEP_3) | instskip(NEXT) | instid1(VALU_DEP_3)
	v_fma_f32 v8, 0x3fb8aa3b, v9, -v13
	v_add_f32_e32 v1, v1, v2
	v_fma_f32 v2, 0x3fb8aa3b, v6, -v3
	s_delay_alu instid0(VALU_DEP_3) | instskip(NEXT) | instid1(VALU_DEP_2)
	v_dual_fmac_f32 v21, 0x32a5705f, v4 :: v_dual_fmac_f32 v8, 0x32a5705f, v9
	v_fmac_f32_e32 v2, 0x32a5705f, v6
	s_delay_alu instid0(VALU_DEP_2) | instskip(NEXT) | instid1(VALU_DEP_1)
	v_add_f32_e32 v14, v14, v21
	v_exp_f32_e32 v14, v14
	s_waitcnt_depctr 0xfff
	v_ldexp_f32 v5, v14, v11
	v_rndne_f32_e32 v11, v3
	v_rndne_f32_e32 v14, v13
	s_delay_alu instid0(VALU_DEP_2) | instskip(SKIP_1) | instid1(VALU_DEP_2)
	v_sub_f32_e32 v3, v3, v11
	v_cvt_i32_f32_e32 v11, v11
	v_add_f32_e32 v2, v3, v2
	s_delay_alu instid0(VALU_DEP_1) | instskip(SKIP_4) | instid1(VALU_DEP_2)
	v_exp_f32_e32 v2, v2
	s_waitcnt_depctr 0xfff
	v_ldexp_f32 v2, v2, v11
	v_cndmask_b32_e32 v5, 0, v5, vcc_lo
	v_cmp_nlt_f32_e32 vcc_lo, 0x42b17218, v4
	v_cndmask_b32_e32 v4, 0x7f800000, v5, vcc_lo
	v_mul_f32_e32 v5, 0x3fb8aa3b, v10
	v_cmp_ngt_f32_e32 vcc_lo, 0xc2ce8ed0, v6
	s_delay_alu instid0(VALU_DEP_3) | instskip(NEXT) | instid1(VALU_DEP_3)
	v_add_f32_e32 v1, v1, v4
	v_fma_f32 v3, 0x3fb8aa3b, v10, -v5
	v_rndne_f32_e32 v4, v5
	v_cndmask_b32_e32 v2, 0, v2, vcc_lo
	v_cmp_nlt_f32_e32 vcc_lo, 0x42b17218, v6
	s_delay_alu instid0(VALU_DEP_4) | instskip(NEXT) | instid1(VALU_DEP_4)
	v_fmac_f32_e32 v3, 0x32a5705f, v10
	v_sub_f32_e32 v5, v5, v4
	v_cvt_i32_f32_e32 v4, v4
	v_cndmask_b32_e32 v2, 0x7f800000, v2, vcc_lo
	v_cmp_ngt_f32_e32 vcc_lo, 0xc2ce8ed0, v10
	s_delay_alu instid0(VALU_DEP_4) | instskip(SKIP_1) | instid1(VALU_DEP_4)
	v_add_f32_e32 v3, v5, v3
	v_sub_f32_e32 v5, v13, v14
	v_add_f32_e32 v1, v1, v2
	s_delay_alu instid0(VALU_DEP_3) | instskip(NEXT) | instid1(VALU_DEP_2)
	v_exp_f32_e32 v3, v3
	v_add_f32_e32 v5, v5, v8
	v_sub_f32_e32 v8, v15, v16
	s_delay_alu instid0(VALU_DEP_2) | instskip(SKIP_3) | instid1(VALU_DEP_2)
	v_exp_f32_e32 v5, v5
	s_waitcnt_depctr 0xfff
	v_ldexp_f32 v3, v3, v4
	v_cvt_i32_f32_e32 v4, v14
	v_cndmask_b32_e32 v3, 0, v3, vcc_lo
	v_cmp_nlt_f32_e32 vcc_lo, 0x42b17218, v10
	s_delay_alu instid0(VALU_DEP_3) | instskip(SKIP_1) | instid1(VALU_DEP_4)
	v_ldexp_f32 v2, v5, v4
	v_cvt_i32_f32_e32 v4, v16
	v_cndmask_b32_e32 v3, 0x7f800000, v3, vcc_lo
	v_cmp_ngt_f32_e32 vcc_lo, 0xc2ce8ed0, v9
	s_delay_alu instid0(VALU_DEP_2) | instskip(SKIP_1) | instid1(VALU_DEP_2)
	v_dual_add_f32 v1, v1, v3 :: v_dual_cndmask_b32 v2, 0, v2
	v_cmp_nlt_f32_e32 vcc_lo, 0x42b17218, v9
	v_cndmask_b32_e32 v2, 0x7f800000, v2, vcc_lo
	v_fma_f32 v13, 0x3fb8aa3b, v7, -v15
	v_cmp_ngt_f32_e32 vcc_lo, 0xc2ce8ed0, v7
	s_delay_alu instid0(VALU_DEP_3) | instskip(NEXT) | instid1(VALU_DEP_3)
	v_add_f32_e32 v1, v1, v2
	v_fmac_f32_e32 v13, 0x32a5705f, v7
	s_delay_alu instid0(VALU_DEP_1) | instskip(NEXT) | instid1(VALU_DEP_1)
	v_add_f32_e32 v8, v8, v13
	v_exp_f32_e32 v6, v8
	s_waitcnt_depctr 0xfff
	v_ldexp_f32 v4, v6, v4
	s_delay_alu instid0(VALU_DEP_1) | instskip(SKIP_1) | instid1(VALU_DEP_2)
	v_cndmask_b32_e32 v3, 0, v4, vcc_lo
	v_cmp_nlt_f32_e32 vcc_lo, 0x42b17218, v7
	v_cndmask_b32_e32 v2, 0x7f800000, v3, vcc_lo
	s_delay_alu instid0(VALU_DEP_1) | instskip(NEXT) | instid1(VALU_DEP_1)
	v_add_f32_e32 v1, v1, v2
	v_add_f32_e32 v2, v12, v1
	s_delay_alu instid0(VALU_DEP_1)
	v_cmp_neq_f32_e32 vcc_lo, 0, v2
	s_and_b32 exec_lo, exec_lo, vcc_lo
	s_cbranch_execz .LBB241_12
; %bb.9:
	s_and_not1_b32 vcc_lo, exec_lo, s11
	s_cbranch_vccnz .LBB241_12
; %bb.10:
	v_div_scale_f32 v1, null, v2, v2, 1.0
	v_div_scale_f32 v5, vcc_lo, 1.0, v2, 1.0
	s_delay_alu instid0(VALU_DEP_2) | instskip(SKIP_2) | instid1(VALU_DEP_1)
	v_rcp_f32_e32 v3, v1
	s_waitcnt_depctr 0xfff
	v_fma_f32 v4, -v1, v3, 1.0
	v_fmac_f32_e32 v3, v4, v3
	s_delay_alu instid0(VALU_DEP_1) | instskip(NEXT) | instid1(VALU_DEP_1)
	v_mul_f32_e32 v4, v5, v3
	v_fma_f32 v6, -v1, v4, v5
	s_delay_alu instid0(VALU_DEP_1) | instskip(NEXT) | instid1(VALU_DEP_1)
	v_fmac_f32_e32 v4, v6, v3
	v_fma_f32 v5, -v1, v4, v5
	v_ashrrev_i32_e32 v1, 31, v0
	s_delay_alu instid0(VALU_DEP_2) | instskip(NEXT) | instid1(VALU_DEP_2)
	v_div_fmas_f32 v3, v5, v3, v4
	v_lshlrev_b64 v[0:1], 2, v[0:1]
	s_delay_alu instid0(VALU_DEP_2) | instskip(NEXT) | instid1(VALU_DEP_2)
	v_div_fixup_f32 v2, v3, v2, 1.0
	v_add_co_u32 v0, vcc_lo, s12, v0
	s_delay_alu instid0(VALU_DEP_3)
	v_add_co_ci_u32_e32 v1, vcc_lo, s13, v1, vcc_lo
.LBB241_11:                             ; =>This Inner Loop Header: Depth=1
	global_load_b32 v3, v[0:1], off
	s_add_i32 s8, s8, -1
	s_delay_alu instid0(SALU_CYCLE_1)
	s_cmp_lg_u32 s8, 0
	s_waitcnt vmcnt(0)
	v_mul_f32_e32 v3, v2, v3
	global_store_b32 v[0:1], v3, off
	v_add_co_u32 v0, vcc_lo, v0, 4
	v_add_co_ci_u32_e32 v1, vcc_lo, 0, v1, vcc_lo
	s_cbranch_scc1 .LBB241_11
.LBB241_12:
	s_nop 0
	s_sendmsg sendmsg(MSG_DEALLOC_VGPRS)
	s_endpgm
	.section	.rodata,"a",@progbits
	.p2align	6, 0x0
	.amdhsa_kernel _ZN4vllm3moe17topkGatingSoftmaxItLi8ELi8ELi8ELi16ELb0ELi1ELNS0_23SharedExpertScoringFuncE1EEEvPKT_PKbPfiPiS9_iiiiii
		.amdhsa_group_segment_fixed_size 0
		.amdhsa_private_segment_fixed_size 0
		.amdhsa_kernarg_size 72
		.amdhsa_user_sgpr_count 15
		.amdhsa_user_sgpr_dispatch_ptr 0
		.amdhsa_user_sgpr_queue_ptr 0
		.amdhsa_user_sgpr_kernarg_segment_ptr 1
		.amdhsa_user_sgpr_dispatch_id 0
		.amdhsa_user_sgpr_private_segment_size 0
		.amdhsa_wavefront_size32 1
		.amdhsa_uses_dynamic_stack 0
		.amdhsa_enable_private_segment 0
		.amdhsa_system_sgpr_workgroup_id_x 1
		.amdhsa_system_sgpr_workgroup_id_y 0
		.amdhsa_system_sgpr_workgroup_id_z 0
		.amdhsa_system_sgpr_workgroup_info 0
		.amdhsa_system_vgpr_workitem_id 1
		.amdhsa_next_free_vgpr 26
		.amdhsa_next_free_sgpr 19
		.amdhsa_reserve_vcc 1
		.amdhsa_float_round_mode_32 0
		.amdhsa_float_round_mode_16_64 0
		.amdhsa_float_denorm_mode_32 3
		.amdhsa_float_denorm_mode_16_64 3
		.amdhsa_dx10_clamp 1
		.amdhsa_ieee_mode 1
		.amdhsa_fp16_overflow 0
		.amdhsa_workgroup_processor_mode 1
		.amdhsa_memory_ordered 1
		.amdhsa_forward_progress 0
		.amdhsa_shared_vgpr_count 0
		.amdhsa_exception_fp_ieee_invalid_op 0
		.amdhsa_exception_fp_denorm_src 0
		.amdhsa_exception_fp_ieee_div_zero 0
		.amdhsa_exception_fp_ieee_overflow 0
		.amdhsa_exception_fp_ieee_underflow 0
		.amdhsa_exception_fp_ieee_inexact 0
		.amdhsa_exception_int_div_zero 0
	.end_amdhsa_kernel
	.section	.text._ZN4vllm3moe17topkGatingSoftmaxItLi8ELi8ELi8ELi16ELb0ELi1ELNS0_23SharedExpertScoringFuncE1EEEvPKT_PKbPfiPiS9_iiiiii,"axG",@progbits,_ZN4vllm3moe17topkGatingSoftmaxItLi8ELi8ELi8ELi16ELb0ELi1ELNS0_23SharedExpertScoringFuncE1EEEvPKT_PKbPfiPiS9_iiiiii,comdat
.Lfunc_end241:
	.size	_ZN4vllm3moe17topkGatingSoftmaxItLi8ELi8ELi8ELi16ELb0ELi1ELNS0_23SharedExpertScoringFuncE1EEEvPKT_PKbPfiPiS9_iiiiii, .Lfunc_end241-_ZN4vllm3moe17topkGatingSoftmaxItLi8ELi8ELi8ELi16ELb0ELi1ELNS0_23SharedExpertScoringFuncE1EEEvPKT_PKbPfiPiS9_iiiiii
                                        ; -- End function
	.section	.AMDGPU.csdata,"",@progbits
; Kernel info:
; codeLenInByte = 2852
; NumSgprs: 21
; NumVgprs: 26
; ScratchSize: 0
; MemoryBound: 0
; FloatMode: 240
; IeeeMode: 1
; LDSByteSize: 0 bytes/workgroup (compile time only)
; SGPRBlocks: 2
; VGPRBlocks: 3
; NumSGPRsForWavesPerEU: 21
; NumVGPRsForWavesPerEU: 26
; Occupancy: 16
; WaveLimiterHint : 0
; COMPUTE_PGM_RSRC2:SCRATCH_EN: 0
; COMPUTE_PGM_RSRC2:USER_SGPR: 15
; COMPUTE_PGM_RSRC2:TRAP_HANDLER: 0
; COMPUTE_PGM_RSRC2:TGID_X_EN: 1
; COMPUTE_PGM_RSRC2:TGID_Y_EN: 0
; COMPUTE_PGM_RSRC2:TGID_Z_EN: 0
; COMPUTE_PGM_RSRC2:TIDIG_COMP_CNT: 1
	.section	.text._ZN4vllm3moe17topkGatingSoftmaxItLi8ELi8ELi8ELi16ELb1ELi2ELNS0_23SharedExpertScoringFuncE1EEEvPKT_PKbPfiPiS9_iiiiii,"axG",@progbits,_ZN4vllm3moe17topkGatingSoftmaxItLi8ELi8ELi8ELi16ELb1ELi2ELNS0_23SharedExpertScoringFuncE1EEEvPKT_PKbPfiPiS9_iiiiii,comdat
	.protected	_ZN4vllm3moe17topkGatingSoftmaxItLi8ELi8ELi8ELi16ELb1ELi2ELNS0_23SharedExpertScoringFuncE1EEEvPKT_PKbPfiPiS9_iiiiii ; -- Begin function _ZN4vllm3moe17topkGatingSoftmaxItLi8ELi8ELi8ELi16ELb1ELi2ELNS0_23SharedExpertScoringFuncE1EEEvPKT_PKbPfiPiS9_iiiiii
	.globl	_ZN4vllm3moe17topkGatingSoftmaxItLi8ELi8ELi8ELi16ELb1ELi2ELNS0_23SharedExpertScoringFuncE1EEEvPKT_PKbPfiPiS9_iiiiii
	.p2align	8
	.type	_ZN4vllm3moe17topkGatingSoftmaxItLi8ELi8ELi8ELi16ELb1ELi2ELNS0_23SharedExpertScoringFuncE1EEEvPKT_PKbPfiPiS9_iiiiii,@function
_ZN4vllm3moe17topkGatingSoftmaxItLi8ELi8ELi8ELi16ELb1ELi2ELNS0_23SharedExpertScoringFuncE1EEEvPKT_PKbPfiPiS9_iiiiii: ; @_ZN4vllm3moe17topkGatingSoftmaxItLi8ELi8ELi8ELi16ELb1ELi2ELNS0_23SharedExpertScoringFuncE1EEEvPKT_PKbPfiPiS9_iiiiii
; %bb.0:
	s_load_b32 s3, s[0:1], 0x18
	v_bfe_u32 v1, v0, 10, 10
	v_and_b32_e32 v8, 0x3ff, v0
	s_lshl_b32 s15, s15, 8
	s_mov_b32 s2, exec_lo
	s_delay_alu instid0(VALU_DEP_2) | instskip(NEXT) | instid1(VALU_DEP_1)
	v_lshlrev_b32_e32 v7, 5, v1
	v_add3_u32 v10, v7, v8, s15
	s_waitcnt lgkmcnt(0)
	s_delay_alu instid0(VALU_DEP_1)
	v_cmpx_gt_i32_e64 s3, v10
	s_cbranch_execz .LBB242_12
; %bb.1:
	s_clause 0x1
	s_load_b128 s[4:7], s[0:1], 0x0
	s_load_b64 s[12:13], s[0:1], 0x10
	s_waitcnt lgkmcnt(0)
	s_cmp_eq_u64 s[6:7], 0
	s_cbranch_scc1 .LBB242_3
; %bb.2:
	v_ashrrev_i32_e32 v1, 31, v10
	v_add_co_u32 v0, vcc_lo, s6, v10
	s_delay_alu instid0(VALU_DEP_2) | instskip(SKIP_3) | instid1(VALU_DEP_1)
	v_add_co_ci_u32_e32 v1, vcc_lo, s7, v1, vcc_lo
	global_load_u8 v0, v[0:1], off
	s_waitcnt vmcnt(0)
	v_and_b32_e32 v0, 1, v0
	v_cmp_eq_u32_e32 vcc_lo, 1, v0
	s_xor_b32 s2, vcc_lo, -1
	s_delay_alu instid0(SALU_CYCLE_1)
	s_or_not1_b32 s14, s2, exec_lo
	s_branch .LBB242_4
.LBB242_3:
	s_mov_b32 s14, -1
.LBB242_4:
	s_load_b64 s[8:9], s[0:1], 0x40
	s_waitcnt lgkmcnt(0)
	v_mul_lo_u32 v0, v10, s9
	s_delay_alu instid0(VALU_DEP_1) | instskip(NEXT) | instid1(VALU_DEP_1)
	v_ashrrev_i32_e32 v1, 31, v0
	v_lshlrev_b64 v[0:1], 1, v[0:1]
	s_delay_alu instid0(VALU_DEP_1) | instskip(NEXT) | instid1(VALU_DEP_2)
	v_add_co_u32 v0, vcc_lo, s4, v0
	v_add_co_ci_u32_e32 v1, vcc_lo, s5, v1, vcc_lo
	s_load_b128 s[4:7], s[0:1], 0x30
	s_clause 0x1
	global_load_b32 v4, v[0:1], off offset:16
	global_load_b128 v[0:3], v[0:1], off
	s_waitcnt lgkmcnt(0)
	s_cmp_gt_i32 s4, 0
	s_waitcnt vmcnt(1)
	v_and_b32_e32 v5, 0xffff, v4
	v_lshrrev_b32_e32 v4, 16, v4
	s_delay_alu instid0(VALU_DEP_2) | instskip(NEXT) | instid1(VALU_DEP_2)
	v_cvt_f32_u32_e32 v5, v5
	v_cvt_f32_u32_e32 v4, v4
	s_delay_alu instid0(VALU_DEP_1) | instskip(SKIP_1) | instid1(VALU_DEP_2)
	v_dual_mul_f32 v6, 0xbfb8aa3b, v5 :: v_dual_mul_f32 v9, 0xbfb8aa3b, v4
	v_cmp_nlt_f32_e32 vcc_lo, 0x42ce8ed0, v5
	v_fma_f32 v11, 0xbfb8aa3b, v5, -v6
	v_rndne_f32_e32 v12, v6
	s_delay_alu instid0(VALU_DEP_4) | instskip(SKIP_1) | instid1(VALU_DEP_3)
	v_fma_f32 v13, 0xbfb8aa3b, v4, -v9
	v_rndne_f32_e32 v14, v9
	v_dual_fmac_f32 v11, 0xb2a5705f, v5 :: v_dual_sub_f32 v6, v6, v12
	s_delay_alu instid0(VALU_DEP_1) | instskip(SKIP_2) | instid1(VALU_DEP_3)
	v_dual_sub_f32 v9, v9, v14 :: v_dual_add_f32 v6, v6, v11
	v_cvt_i32_f32_e32 v11, v12
	v_cvt_i32_f32_e32 v12, v14
	v_exp_f32_e32 v6, v6
	s_waitcnt_depctr 0xfff
	v_ldexp_f32 v6, v6, v11
	s_delay_alu instid0(VALU_DEP_1) | instskip(NEXT) | instid1(VALU_DEP_1)
	v_dual_fmac_f32 v13, 0xb2a5705f, v4 :: v_dual_cndmask_b32 v6, 0, v6
	v_add_f32_e32 v9, v9, v13
	v_cmp_nlt_f32_e32 vcc_lo, 0x42ce8ed0, v4
	s_delay_alu instid0(VALU_DEP_2) | instskip(SKIP_2) | instid1(VALU_DEP_1)
	v_exp_f32_e32 v9, v9
	s_waitcnt_depctr 0xfff
	v_ldexp_f32 v9, v9, v12
	v_cndmask_b32_e32 v9, 0, v9, vcc_lo
	v_cmp_ngt_f32_e32 vcc_lo, 0xc2b17218, v5
	v_cndmask_b32_e32 v5, 0x7f800000, v6, vcc_lo
	v_cmp_ngt_f32_e32 vcc_lo, 0xc2b17218, v4
	s_delay_alu instid0(VALU_DEP_4) | instskip(NEXT) | instid1(VALU_DEP_3)
	v_cndmask_b32_e32 v4, 0x7f800000, v9, vcc_lo
	v_add_f32_e32 v9, 1.0, v5
	s_delay_alu instid0(VALU_DEP_2) | instskip(NEXT) | instid1(VALU_DEP_2)
	v_add_f32_e32 v11, 1.0, v4
	v_div_scale_f32 v12, null, v9, v9, 1.0
	v_div_scale_f32 v16, vcc_lo, 1.0, v9, 1.0
	s_delay_alu instid0(VALU_DEP_3) | instskip(NEXT) | instid1(VALU_DEP_3)
	v_div_scale_f32 v13, null, v11, v11, 1.0
	v_rcp_f32_e32 v14, v12
	v_div_scale_f32 v17, s2, 1.0, v11, 1.0
	s_delay_alu instid0(VALU_DEP_2) | instskip(SKIP_3) | instid1(VALU_DEP_2)
	v_rcp_f32_e32 v15, v13
	s_waitcnt_depctr 0xfff
	v_fma_f32 v4, -v12, v14, 1.0
	v_fma_f32 v5, -v13, v15, 1.0
	v_fmac_f32_e32 v14, v4, v14
	v_mul_lo_u32 v4, v10, s7
	s_delay_alu instid0(VALU_DEP_2) | instskip(NEXT) | instid1(VALU_DEP_1)
	v_dual_fmac_f32 v15, v5, v15 :: v_dual_mul_f32 v18, v16, v14
	v_mul_f32_e32 v19, v17, v15
	s_delay_alu instid0(VALU_DEP_3) | instskip(NEXT) | instid1(VALU_DEP_3)
	v_add_nc_u32_e32 v5, s4, v4
	v_fma_f32 v6, -v12, v18, v16
	s_delay_alu instid0(VALU_DEP_3) | instskip(NEXT) | instid1(VALU_DEP_2)
	v_fma_f32 v20, -v13, v19, v17
	v_fmac_f32_e32 v18, v6, v14
	s_delay_alu instid0(VALU_DEP_4) | instskip(NEXT) | instid1(VALU_DEP_3)
	v_ashrrev_i32_e32 v6, 31, v5
	v_fmac_f32_e32 v19, v20, v15
	s_delay_alu instid0(VALU_DEP_3) | instskip(NEXT) | instid1(VALU_DEP_3)
	v_fma_f32 v12, -v12, v18, v16
	v_lshlrev_b64 v[5:6], 2, v[5:6]
	s_delay_alu instid0(VALU_DEP_3) | instskip(NEXT) | instid1(VALU_DEP_3)
	v_fma_f32 v13, -v13, v19, v17
	v_div_fmas_f32 v12, v12, v14, v18
	s_mov_b32 vcc_lo, s2
	s_cselect_b32 s2, -1, 0
	s_delay_alu instid0(VALU_DEP_2) | instskip(SKIP_3) | instid1(VALU_DEP_4)
	v_div_fmas_f32 v13, v13, v15, v19
	v_add_co_u32 v5, vcc_lo, s12, v5
	v_add_co_ci_u32_e32 v6, vcc_lo, s13, v6, vcc_lo
	v_div_fixup_f32 v12, v12, v9, 1.0
	v_div_fixup_f32 v13, v13, v11, 1.0
	v_mov_b32_e32 v11, 0
	s_cmp_lt_i32 s4, 1
	global_store_b64 v[5:6], v[12:13], off
	s_cbranch_scc1 .LBB242_8
; %bb.5:
	s_waitcnt vmcnt(0)
	v_lshrrev_b32_e32 v5, 16, v0
	s_delay_alu instid0(VALU_DEP_1) | instskip(SKIP_1) | instid1(VALU_DEP_1)
	v_cvt_f32_u32_e32 v17, v5
	v_and_b32_e32 v0, 0xffff, v0
	v_cvt_f32_u32_e32 v18, v0
	s_delay_alu instid0(VALU_DEP_1) | instskip(SKIP_3) | instid1(VALU_DEP_2)
	v_cmp_lt_f32_e32 vcc_lo, v18, v17
	v_cndmask_b32_e32 v5, v18, v17, vcc_lo
	v_and_b32_e32 v0, 0xffff, v1
	v_lshrrev_b32_e32 v1, 16, v1
	v_cvt_f32_u32_e32 v16, v0
	v_cndmask_b32_e64 v0, 0, 1, vcc_lo
	s_delay_alu instid0(VALU_DEP_3) | instskip(NEXT) | instid1(VALU_DEP_3)
	v_cvt_f32_u32_e32 v15, v1
	v_cmp_lt_f32_e32 vcc_lo, v5, v16
	v_cndmask_b32_e32 v1, v5, v16, vcc_lo
	s_delay_alu instid0(VALU_DEP_4) | instskip(SKIP_2) | instid1(VALU_DEP_4)
	v_cndmask_b32_e64 v0, v0, 2, vcc_lo
	v_and_b32_e32 v5, 0xffff, v2
	v_lshrrev_b32_e32 v2, 16, v2
	v_cmp_lt_f32_e32 vcc_lo, v1, v15
	s_delay_alu instid0(VALU_DEP_3) | instskip(NEXT) | instid1(VALU_DEP_3)
	v_cvt_f32_u32_e32 v14, v5
	v_cvt_f32_u32_e32 v13, v2
	v_ashrrev_i32_e32 v5, 31, v4
	v_cndmask_b32_e32 v1, v1, v15, vcc_lo
	v_cndmask_b32_e64 v0, v0, 3, vcc_lo
	v_and_b32_e32 v2, 0xffff, v3
	s_delay_alu instid0(VALU_DEP_4) | instskip(NEXT) | instid1(VALU_DEP_4)
	v_lshlrev_b64 v[5:6], 2, v[4:5]
	v_cmp_lt_f32_e32 vcc_lo, v1, v14
	s_delay_alu instid0(VALU_DEP_3) | instskip(SKIP_3) | instid1(VALU_DEP_3)
	v_cvt_f32_u32_e32 v12, v2
	v_lshrrev_b32_e32 v2, 16, v3
	v_cndmask_b32_e32 v1, v1, v14, vcc_lo
	v_cndmask_b32_e64 v0, v0, 4, vcc_lo
	v_cvt_f32_u32_e32 v20, v2
	v_mul_lo_u32 v2, v10, s4
	s_delay_alu instid0(VALU_DEP_4) | instskip(SKIP_2) | instid1(VALU_DEP_2)
	v_cmp_lt_f32_e32 vcc_lo, v1, v13
	v_cndmask_b32_e32 v1, v1, v13, vcc_lo
	v_cndmask_b32_e64 v0, v0, 5, vcc_lo
	v_cmp_lt_f32_e32 vcc_lo, v1, v12
	v_cndmask_b32_e32 v1, v1, v12, vcc_lo
	s_delay_alu instid0(VALU_DEP_3) | instskip(NEXT) | instid1(VALU_DEP_2)
	v_cndmask_b32_e64 v0, v0, 6, vcc_lo
	v_cmp_lt_f32_e32 vcc_lo, v1, v20
	v_cndmask_b32_e32 v9, v1, v20, vcc_lo
	s_delay_alu instid0(VALU_DEP_3) | instskip(SKIP_2) | instid1(VALU_DEP_4)
	v_cndmask_b32_e64 v19, v0, 7, vcc_lo
	v_add_co_u32 v5, vcc_lo, s12, v5
	v_add_co_ci_u32_e32 v6, vcc_lo, s13, v6, vcc_lo
	v_sub_f32_e32 v11, v9, v9
	s_delay_alu instid0(VALU_DEP_4) | instskip(SKIP_1) | instid1(VALU_DEP_3)
	v_cmp_le_i32_e32 vcc_lo, s5, v19
	v_subrev_nc_u32_e32 v23, s5, v19
	v_mul_f32_e32 v0, 0x3fb8aa3b, v11
	s_delay_alu instid0(VALU_DEP_1) | instskip(SKIP_1) | instid1(VALU_DEP_2)
	v_fma_f32 v1, 0x3fb8aa3b, v11, -v0
	v_rndne_f32_e32 v21, v0
	v_fmac_f32_e32 v1, 0x32a5705f, v11
	s_delay_alu instid0(VALU_DEP_2)
	v_sub_f32_e32 v3, v0, v21
	v_mul_lo_u32 v0, v10, s8
	s_load_b128 s[8:11], s[0:1], 0x20
	v_cvt_i32_f32_e32 v21, v21
	v_cmp_gt_i32_e64 s0, s6, v19
	v_add_f32_e32 v3, v3, v1
	s_delay_alu instid0(VALU_DEP_4) | instskip(NEXT) | instid1(VALU_DEP_2)
	v_ashrrev_i32_e32 v1, 31, v0
	v_exp_f32_e32 v22, v3
	s_delay_alu instid0(VALU_DEP_3) | instskip(SKIP_3) | instid1(VALU_DEP_2)
	s_and_b32 s0, vcc_lo, s0
	v_cmp_ngt_f32_e32 vcc_lo, 0xc2ce8ed0, v11
	v_ashrrev_i32_e32 v3, 31, v2
	v_lshlrev_b64 v[0:1], 2, v[0:1]
	v_lshlrev_b64 v[2:3], 2, v[2:3]
	s_waitcnt_depctr 0xfff
	v_ldexp_f32 v21, v22, v21
	s_delay_alu instid0(VALU_DEP_1)
	v_cndmask_b32_e32 v24, 0, v21, vcc_lo
	s_waitcnt lgkmcnt(0)
	v_add_co_u32 v21, vcc_lo, s8, v0
	v_add_co_ci_u32_e32 v22, vcc_lo, s9, v1, vcc_lo
	s_and_b32 vcc_lo, s14, s0
	s_cmp_eq_u32 s4, 1
	v_cndmask_b32_e32 v25, 8, v23, vcc_lo
	v_cmp_nlt_f32_e32 vcc_lo, 0x42b17218, v11
	v_cndmask_b32_e32 v11, 0x7f800000, v24, vcc_lo
	v_add_co_u32 v23, vcc_lo, s10, v2
	v_add_co_ci_u32_e32 v24, vcc_lo, s11, v3, vcc_lo
	global_store_b32 v[21:22], v25, off
	global_store_b32 v[5:6], v11, off
	global_store_b32 v[23:24], v10, off
	s_cbranch_scc1 .LBB242_8
; %bb.6:
	v_cmp_ne_u32_e32 vcc_lo, 7, v19
	s_add_i32 s15, s15, s3
	s_add_i32 s7, s4, -1
	v_add3_u32 v7, s15, v8, v7
	v_cndmask_b32_e32 v10, 0xff800000, v20, vcc_lo
	v_cmp_ne_u32_e32 vcc_lo, 6, v19
	v_cndmask_b32_e32 v12, 0xff800000, v12, vcc_lo
	v_cmp_ne_u32_e32 vcc_lo, 5, v19
	;; [unrolled: 2-line block ×7, first 2 shown]
	v_cndmask_b32_e32 v18, 0xff800000, v18, vcc_lo
	v_add_co_u32 v2, vcc_lo, v2, s10
	v_add_co_ci_u32_e32 v3, vcc_lo, s11, v3, vcc_lo
	v_add_co_u32 v19, vcc_lo, v0, s8
	v_add_co_ci_u32_e32 v20, vcc_lo, s9, v1, vcc_lo
	s_delay_alu instid0(VALU_DEP_4) | instskip(NEXT) | instid1(VALU_DEP_4)
	v_add_co_u32 v0, vcc_lo, v2, 4
	v_add_co_ci_u32_e32 v1, vcc_lo, 0, v3, vcc_lo
	s_delay_alu instid0(VALU_DEP_4) | instskip(NEXT) | instid1(VALU_DEP_4)
	v_add_co_u32 v2, vcc_lo, v19, 4
	v_add_co_ci_u32_e32 v3, vcc_lo, 0, v20, vcc_lo
	v_add_co_u32 v5, vcc_lo, v5, 4
	v_add_co_ci_u32_e32 v6, vcc_lo, 0, v6, vcc_lo
.LBB242_7:                              ; =>This Inner Loop Header: Depth=1
	v_cmp_gt_f32_e32 vcc_lo, v17, v18
	s_add_i32 s7, s7, -1
	v_cndmask_b32_e32 v8, v18, v17, vcc_lo
	v_cndmask_b32_e64 v19, 0, 1, vcc_lo
	s_delay_alu instid0(VALU_DEP_2) | instskip(SKIP_1) | instid1(VALU_DEP_3)
	v_cmp_gt_f32_e32 vcc_lo, v16, v8
	v_cndmask_b32_e32 v8, v8, v16, vcc_lo
	v_cndmask_b32_e64 v19, v19, 2, vcc_lo
	s_delay_alu instid0(VALU_DEP_2) | instskip(SKIP_1) | instid1(VALU_DEP_3)
	v_cmp_gt_f32_e32 vcc_lo, v15, v8
	;; [unrolled: 4-line block ×5, first 2 shown]
	v_cndmask_b32_e32 v8, v8, v12, vcc_lo
	v_cndmask_b32_e64 v19, v19, 6, vcc_lo
	s_delay_alu instid0(VALU_DEP_2) | instskip(NEXT) | instid1(VALU_DEP_2)
	v_cmp_gt_f32_e32 vcc_lo, v10, v8
	v_cndmask_b32_e64 v19, v19, 7, vcc_lo
	v_cndmask_b32_e32 v8, v8, v10, vcc_lo
	s_delay_alu instid0(VALU_DEP_2) | instskip(NEXT) | instid1(VALU_DEP_2)
	v_cmp_ne_u32_e64 s1, 7, v19
	v_sub_f32_e32 v8, v8, v9
	v_cmp_le_i32_e32 vcc_lo, s5, v19
	v_cmp_gt_i32_e64 s0, s6, v19
	v_subrev_nc_u32_e32 v21, s5, v19
	v_cndmask_b32_e64 v10, 0xff800000, v10, s1
	v_cmp_ne_u32_e64 s1, 6, v19
	v_mul_f32_e32 v20, 0x3fb8aa3b, v8
	s_and_b32 s0, vcc_lo, s0
	s_delay_alu instid0(SALU_CYCLE_1) | instskip(NEXT) | instid1(VALU_DEP_2)
	s_and_b32 vcc_lo, s14, s0
	v_cndmask_b32_e64 v12, 0xff800000, v12, s1
	v_cmp_ne_u32_e64 s1, 5, v19
	v_rndne_f32_e32 v22, v20
	v_cndmask_b32_e32 v21, 8, v21, vcc_lo
	global_store_b32 v[2:3], v21, off
	global_store_b32 v[0:1], v7, off
	v_cndmask_b32_e64 v13, 0xff800000, v13, s1
	v_cmp_ne_u32_e64 s1, 4, v19
	v_add_co_u32 v0, vcc_lo, v0, 4
	v_add_co_ci_u32_e32 v1, vcc_lo, 0, v1, vcc_lo
	s_delay_alu instid0(VALU_DEP_3) | instskip(SKIP_3) | instid1(VALU_DEP_3)
	v_cndmask_b32_e64 v14, 0xff800000, v14, s1
	v_cmp_ne_u32_e64 s1, 3, v19
	v_add_co_u32 v2, vcc_lo, v2, 4
	v_add_co_ci_u32_e32 v3, vcc_lo, 0, v3, vcc_lo
	v_cndmask_b32_e64 v15, 0xff800000, v15, s1
	v_cmp_ne_u32_e64 s1, 2, v19
	v_cmp_ngt_f32_e32 vcc_lo, 0xc2ce8ed0, v8
	v_add_nc_u32_e32 v7, s3, v7
	s_cmp_eq_u32 s7, 0
	s_delay_alu instid0(VALU_DEP_3) | instskip(SKIP_1) | instid1(VALU_DEP_1)
	v_cndmask_b32_e64 v16, 0xff800000, v16, s1
	v_cmp_ne_u32_e64 s1, 1, v19
	v_cndmask_b32_e64 v17, 0xff800000, v17, s1
	v_cmp_ne_u32_e64 s1, 0, v19
	v_fma_f32 v19, 0x3fb8aa3b, v8, -v20
	v_sub_f32_e32 v20, v20, v22
	v_cvt_i32_f32_e32 v22, v22
	s_delay_alu instid0(VALU_DEP_4) | instskip(NEXT) | instid1(VALU_DEP_4)
	v_cndmask_b32_e64 v18, 0xff800000, v18, s1
	v_fmac_f32_e32 v19, 0x32a5705f, v8
	s_delay_alu instid0(VALU_DEP_1) | instskip(NEXT) | instid1(VALU_DEP_1)
	v_add_f32_e32 v19, v20, v19
	v_exp_f32_e32 v19, v19
	s_waitcnt_depctr 0xfff
	v_ldexp_f32 v19, v19, v22
	s_delay_alu instid0(VALU_DEP_1) | instskip(SKIP_1) | instid1(VALU_DEP_2)
	v_cndmask_b32_e32 v19, 0, v19, vcc_lo
	v_cmp_nlt_f32_e32 vcc_lo, 0x42b17218, v8
	v_cndmask_b32_e32 v8, 0x7f800000, v19, vcc_lo
	global_store_b32 v[5:6], v8, off
	v_add_co_u32 v5, vcc_lo, v5, 4
	v_add_f32_e32 v11, v11, v8
	v_add_co_ci_u32_e32 v6, vcc_lo, 0, v6, vcc_lo
	s_cbranch_scc0 .LBB242_7
.LBB242_8:
	s_delay_alu instid0(VALU_DEP_2)
	v_cmp_neq_f32_e32 vcc_lo, 0, v11
	s_and_b32 exec_lo, exec_lo, vcc_lo
	s_cbranch_execz .LBB242_12
; %bb.9:
	s_and_not1_b32 vcc_lo, exec_lo, s2
	s_cbranch_vccnz .LBB242_12
; %bb.10:
	s_waitcnt vmcnt(0)
	v_div_scale_f32 v0, null, v11, v11, 1.0
	v_div_scale_f32 v3, vcc_lo, 1.0, v11, 1.0
	s_delay_alu instid0(VALU_DEP_2) | instskip(SKIP_2) | instid1(VALU_DEP_1)
	v_rcp_f32_e32 v1, v0
	s_waitcnt_depctr 0xfff
	v_fma_f32 v2, -v0, v1, 1.0
	v_fmac_f32_e32 v1, v2, v1
	s_delay_alu instid0(VALU_DEP_1) | instskip(NEXT) | instid1(VALU_DEP_1)
	v_mul_f32_e32 v2, v3, v1
	v_fma_f32 v5, -v0, v2, v3
	s_delay_alu instid0(VALU_DEP_1) | instskip(SKIP_1) | instid1(VALU_DEP_2)
	v_fmac_f32_e32 v2, v5, v1
	v_ashrrev_i32_e32 v5, 31, v4
	v_fma_f32 v0, -v0, v2, v3
	s_delay_alu instid0(VALU_DEP_1) | instskip(NEXT) | instid1(VALU_DEP_3)
	v_div_fmas_f32 v2, v0, v1, v2
	v_lshlrev_b64 v[0:1], 2, v[4:5]
	s_delay_alu instid0(VALU_DEP_2) | instskip(NEXT) | instid1(VALU_DEP_2)
	v_div_fixup_f32 v2, v2, v11, 1.0
	v_add_co_u32 v0, vcc_lo, s12, v0
	s_delay_alu instid0(VALU_DEP_3)
	v_add_co_ci_u32_e32 v1, vcc_lo, s13, v1, vcc_lo
.LBB242_11:                             ; =>This Inner Loop Header: Depth=1
	global_load_b32 v3, v[0:1], off
	s_add_i32 s4, s4, -1
	s_delay_alu instid0(SALU_CYCLE_1)
	s_cmp_lg_u32 s4, 0
	s_waitcnt vmcnt(0)
	v_mul_f32_e32 v3, v2, v3
	global_store_b32 v[0:1], v3, off
	v_add_co_u32 v0, vcc_lo, v0, 4
	v_add_co_ci_u32_e32 v1, vcc_lo, 0, v1, vcc_lo
	s_cbranch_scc1 .LBB242_11
.LBB242_12:
	s_nop 0
	s_sendmsg sendmsg(MSG_DEALLOC_VGPRS)
	s_endpgm
	.section	.rodata,"a",@progbits
	.p2align	6, 0x0
	.amdhsa_kernel _ZN4vllm3moe17topkGatingSoftmaxItLi8ELi8ELi8ELi16ELb1ELi2ELNS0_23SharedExpertScoringFuncE1EEEvPKT_PKbPfiPiS9_iiiiii
		.amdhsa_group_segment_fixed_size 0
		.amdhsa_private_segment_fixed_size 0
		.amdhsa_kernarg_size 72
		.amdhsa_user_sgpr_count 15
		.amdhsa_user_sgpr_dispatch_ptr 0
		.amdhsa_user_sgpr_queue_ptr 0
		.amdhsa_user_sgpr_kernarg_segment_ptr 1
		.amdhsa_user_sgpr_dispatch_id 0
		.amdhsa_user_sgpr_private_segment_size 0
		.amdhsa_wavefront_size32 1
		.amdhsa_uses_dynamic_stack 0
		.amdhsa_enable_private_segment 0
		.amdhsa_system_sgpr_workgroup_id_x 1
		.amdhsa_system_sgpr_workgroup_id_y 0
		.amdhsa_system_sgpr_workgroup_id_z 0
		.amdhsa_system_sgpr_workgroup_info 0
		.amdhsa_system_vgpr_workitem_id 1
		.amdhsa_next_free_vgpr 26
		.amdhsa_next_free_sgpr 16
		.amdhsa_reserve_vcc 1
		.amdhsa_float_round_mode_32 0
		.amdhsa_float_round_mode_16_64 0
		.amdhsa_float_denorm_mode_32 3
		.amdhsa_float_denorm_mode_16_64 3
		.amdhsa_dx10_clamp 1
		.amdhsa_ieee_mode 1
		.amdhsa_fp16_overflow 0
		.amdhsa_workgroup_processor_mode 1
		.amdhsa_memory_ordered 1
		.amdhsa_forward_progress 0
		.amdhsa_shared_vgpr_count 0
		.amdhsa_exception_fp_ieee_invalid_op 0
		.amdhsa_exception_fp_denorm_src 0
		.amdhsa_exception_fp_ieee_div_zero 0
		.amdhsa_exception_fp_ieee_overflow 0
		.amdhsa_exception_fp_ieee_underflow 0
		.amdhsa_exception_fp_ieee_inexact 0
		.amdhsa_exception_int_div_zero 0
	.end_amdhsa_kernel
	.section	.text._ZN4vllm3moe17topkGatingSoftmaxItLi8ELi8ELi8ELi16ELb1ELi2ELNS0_23SharedExpertScoringFuncE1EEEvPKT_PKbPfiPiS9_iiiiii,"axG",@progbits,_ZN4vllm3moe17topkGatingSoftmaxItLi8ELi8ELi8ELi16ELb1ELi2ELNS0_23SharedExpertScoringFuncE1EEEvPKT_PKbPfiPiS9_iiiiii,comdat
.Lfunc_end242:
	.size	_ZN4vllm3moe17topkGatingSoftmaxItLi8ELi8ELi8ELi16ELb1ELi2ELNS0_23SharedExpertScoringFuncE1EEEvPKT_PKbPfiPiS9_iiiiii, .Lfunc_end242-_ZN4vllm3moe17topkGatingSoftmaxItLi8ELi8ELi8ELi16ELb1ELi2ELNS0_23SharedExpertScoringFuncE1EEEvPKT_PKbPfiPiS9_iiiiii
                                        ; -- End function
	.section	.AMDGPU.csdata,"",@progbits
; Kernel info:
; codeLenInByte = 2164
; NumSgprs: 18
; NumVgprs: 26
; ScratchSize: 0
; MemoryBound: 0
; FloatMode: 240
; IeeeMode: 1
; LDSByteSize: 0 bytes/workgroup (compile time only)
; SGPRBlocks: 2
; VGPRBlocks: 3
; NumSGPRsForWavesPerEU: 18
; NumVGPRsForWavesPerEU: 26
; Occupancy: 16
; WaveLimiterHint : 0
; COMPUTE_PGM_RSRC2:SCRATCH_EN: 0
; COMPUTE_PGM_RSRC2:USER_SGPR: 15
; COMPUTE_PGM_RSRC2:TRAP_HANDLER: 0
; COMPUTE_PGM_RSRC2:TGID_X_EN: 1
; COMPUTE_PGM_RSRC2:TGID_Y_EN: 0
; COMPUTE_PGM_RSRC2:TGID_Z_EN: 0
; COMPUTE_PGM_RSRC2:TIDIG_COMP_CNT: 1
	.section	.text._ZN4vllm3moe17topkGatingSoftmaxItLi8ELi8ELi8ELi16ELb0ELi2ELNS0_23SharedExpertScoringFuncE1EEEvPKT_PKbPfiPiS9_iiiiii,"axG",@progbits,_ZN4vllm3moe17topkGatingSoftmaxItLi8ELi8ELi8ELi16ELb0ELi2ELNS0_23SharedExpertScoringFuncE1EEEvPKT_PKbPfiPiS9_iiiiii,comdat
	.protected	_ZN4vllm3moe17topkGatingSoftmaxItLi8ELi8ELi8ELi16ELb0ELi2ELNS0_23SharedExpertScoringFuncE1EEEvPKT_PKbPfiPiS9_iiiiii ; -- Begin function _ZN4vllm3moe17topkGatingSoftmaxItLi8ELi8ELi8ELi16ELb0ELi2ELNS0_23SharedExpertScoringFuncE1EEEvPKT_PKbPfiPiS9_iiiiii
	.globl	_ZN4vllm3moe17topkGatingSoftmaxItLi8ELi8ELi8ELi16ELb0ELi2ELNS0_23SharedExpertScoringFuncE1EEEvPKT_PKbPfiPiS9_iiiiii
	.p2align	8
	.type	_ZN4vllm3moe17topkGatingSoftmaxItLi8ELi8ELi8ELi16ELb0ELi2ELNS0_23SharedExpertScoringFuncE1EEEvPKT_PKbPfiPiS9_iiiiii,@function
_ZN4vllm3moe17topkGatingSoftmaxItLi8ELi8ELi8ELi16ELb0ELi2ELNS0_23SharedExpertScoringFuncE1EEEvPKT_PKbPfiPiS9_iiiiii: ; @_ZN4vllm3moe17topkGatingSoftmaxItLi8ELi8ELi8ELi16ELb0ELi2ELNS0_23SharedExpertScoringFuncE1EEEvPKT_PKbPfiPiS9_iiiiii
; %bb.0:
	s_load_b32 s9, s[0:1], 0x18
	v_bfe_u32 v1, v0, 10, 10
	v_and_b32_e32 v18, 0x3ff, v0
	s_lshl_b32 s19, s15, 8
	s_mov_b32 s2, exec_lo
	s_delay_alu instid0(VALU_DEP_2) | instskip(NEXT) | instid1(VALU_DEP_1)
	v_lshlrev_b32_e32 v17, 5, v1
	v_add3_u32 v19, v17, v18, s19
	s_waitcnt lgkmcnt(0)
	s_delay_alu instid0(VALU_DEP_1)
	v_cmpx_gt_i32_e64 s9, v19
	s_cbranch_execz .LBB243_12
; %bb.1:
	s_clause 0x1
	s_load_b128 s[4:7], s[0:1], 0x0
	s_load_b64 s[10:11], s[0:1], 0x10
	s_waitcnt lgkmcnt(0)
	s_cmp_eq_u64 s[6:7], 0
	s_cbranch_scc1 .LBB243_3
; %bb.2:
	v_ashrrev_i32_e32 v1, 31, v19
	v_add_co_u32 v0, vcc_lo, s6, v19
	s_delay_alu instid0(VALU_DEP_2) | instskip(SKIP_3) | instid1(VALU_DEP_1)
	v_add_co_ci_u32_e32 v1, vcc_lo, s7, v1, vcc_lo
	global_load_u8 v0, v[0:1], off
	s_waitcnt vmcnt(0)
	v_and_b32_e32 v0, 1, v0
	v_cmp_eq_u32_e32 vcc_lo, 1, v0
	s_xor_b32 s2, vcc_lo, -1
	s_delay_alu instid0(SALU_CYCLE_1)
	s_or_not1_b32 s18, s2, exec_lo
	s_branch .LBB243_4
.LBB243_3:
	s_mov_b32 s18, -1
.LBB243_4:
	s_clause 0x1
	s_load_b64 s[16:17], s[0:1], 0x40
	s_load_b128 s[12:15], s[0:1], 0x30
	s_waitcnt lgkmcnt(0)
	v_mul_lo_u32 v0, v19, s17
	s_cmp_gt_i32 s12, 0
	s_delay_alu instid0(VALU_DEP_1) | instskip(NEXT) | instid1(VALU_DEP_1)
	v_ashrrev_i32_e32 v1, 31, v0
	v_lshlrev_b64 v[0:1], 1, v[0:1]
	s_delay_alu instid0(VALU_DEP_1) | instskip(NEXT) | instid1(VALU_DEP_2)
	v_add_co_u32 v0, vcc_lo, s4, v0
	v_add_co_ci_u32_e32 v1, vcc_lo, s5, v1, vcc_lo
	s_clause 0x1
	global_load_b32 v5, v[0:1], off offset:16
	global_load_b128 v[1:4], v[0:1], off
	s_waitcnt vmcnt(1)
	v_and_b32_e32 v0, 0xffff, v5
	v_lshrrev_b32_e32 v5, 16, v5
	s_delay_alu instid0(VALU_DEP_1) | instskip(NEXT) | instid1(VALU_DEP_1)
	v_cvt_f32_u32_e32 v7, v5
	v_mul_f32_e32 v5, 0xbfb8aa3b, v7
	s_delay_alu instid0(VALU_DEP_1) | instskip(SKIP_1) | instid1(VALU_DEP_2)
	v_rndne_f32_e32 v11, v5
	v_fma_f32 v10, 0xbfb8aa3b, v7, -v5
	v_sub_f32_e32 v5, v5, v11
	v_cvt_f32_u32_e32 v6, v0
	s_delay_alu instid0(VALU_DEP_3) | instskip(NEXT) | instid1(VALU_DEP_2)
	v_fmac_f32_e32 v10, 0xb2a5705f, v7
	v_mul_f32_e32 v0, 0xbfb8aa3b, v6
	v_cmp_nlt_f32_e32 vcc_lo, 0x42ce8ed0, v6
	s_delay_alu instid0(VALU_DEP_3) | instskip(NEXT) | instid1(VALU_DEP_3)
	v_add_f32_e32 v5, v5, v10
	v_fma_f32 v8, 0xbfb8aa3b, v6, -v0
	v_rndne_f32_e32 v9, v0
	s_delay_alu instid0(VALU_DEP_3) | instskip(NEXT) | instid1(VALU_DEP_2)
	v_exp_f32_e32 v5, v5
	v_fmac_f32_e32 v8, 0xb2a5705f, v6
	s_delay_alu instid0(VALU_DEP_2) | instskip(NEXT) | instid1(VALU_DEP_1)
	v_sub_f32_e32 v0, v0, v9
	v_add_f32_e32 v0, v0, v8
	v_cvt_i32_f32_e32 v8, v9
	v_cvt_i32_f32_e32 v9, v11
	s_delay_alu instid0(VALU_DEP_3)
	v_exp_f32_e32 v0, v0
	s_delay_alu instid0(TRANS32_DEP_2) | instid1(VALU_DEP_1)
	v_ldexp_f32 v5, v5, v9
	s_waitcnt_depctr 0xfff
	v_ldexp_f32 v8, v0, v8
	v_mul_lo_u32 v0, v19, s15
	s_delay_alu instid0(VALU_DEP_2)
	v_cndmask_b32_e32 v8, 0, v8, vcc_lo
	v_cmp_nlt_f32_e32 vcc_lo, 0x42ce8ed0, v7
	v_cndmask_b32_e32 v9, 0, v5, vcc_lo
	v_cmp_ngt_f32_e32 vcc_lo, 0xc2b17218, v6
	v_add_nc_u32_e32 v5, s12, v0
	v_cndmask_b32_e32 v6, 0x7f800000, v8, vcc_lo
	v_cmp_ngt_f32_e32 vcc_lo, 0xc2b17218, v7
	s_waitcnt vmcnt(0)
	v_lshrrev_b32_e32 v8, 16, v1
	s_delay_alu instid0(VALU_DEP_3) | instskip(SKIP_1) | instid1(VALU_DEP_3)
	v_dual_add_f32 v12, 1.0, v6 :: v_dual_and_b32 v1, 0xffff, v1
	v_cndmask_b32_e32 v7, 0x7f800000, v9, vcc_lo
	v_cvt_f32_u32_e32 v15, v8
	v_lshrrev_b32_e32 v9, 16, v3
	s_delay_alu instid0(VALU_DEP_4) | instskip(SKIP_3) | instid1(VALU_DEP_4)
	v_cvt_f32_u32_e32 v16, v1
	v_div_scale_f32 v21, null, v12, v12, 1.0
	v_add_f32_e32 v20, 1.0, v7
	v_lshrrev_b32_e32 v7, 16, v2
	v_cmp_lt_f32_e64 s7, v16, v15
	s_delay_alu instid0(VALU_DEP_4) | instskip(SKIP_4) | instid1(VALU_DEP_3)
	v_rcp_f32_e32 v23, v21
	v_cvt_f32_u32_e32 v11, v9
	v_div_scale_f32 v22, null, v20, v20, 1.0
	v_cvt_f32_u32_e32 v13, v7
	v_div_scale_f32 v24, s8, 1.0, v20, 1.0
	v_rcp_f32_e32 v8, v22
	v_ashrrev_i32_e32 v6, 31, v5
	s_delay_alu instid0(TRANS32_DEP_2) | instskip(NEXT) | instid1(VALU_DEP_1)
	v_fma_f32 v1, -v21, v23, 1.0
	v_fmac_f32_e32 v23, v1, v23
	s_waitcnt_depctr 0xfff
	v_fma_f32 v7, -v22, v8, 1.0
	s_delay_alu instid0(VALU_DEP_1) | instskip(NEXT) | instid1(VALU_DEP_1)
	v_dual_fmac_f32 v8, v7, v8 :: v_dual_and_b32 v3, 0xffff, v3
	v_cvt_f32_u32_e32 v10, v3
	v_div_scale_f32 v3, vcc_lo, 1.0, v12, 1.0
	v_and_b32_e32 v2, 0xffff, v2
	s_delay_alu instid0(VALU_DEP_2) | instskip(NEXT) | instid1(VALU_DEP_2)
	v_dual_mul_f32 v26, v24, v8 :: v_dual_mul_f32 v25, v3, v23
	v_cvt_f32_u32_e32 v14, v2
	v_cndmask_b32_e64 v2, v16, v15, s7
	s_delay_alu instid0(VALU_DEP_3) | instskip(NEXT) | instid1(VALU_DEP_4)
	v_fma_f32 v27, -v22, v26, v24
	v_fma_f32 v7, -v21, v25, v3
	s_delay_alu instid0(VALU_DEP_3) | instskip(NEXT) | instid1(VALU_DEP_3)
	v_cmp_lt_f32_e64 s4, v2, v14
	v_fmac_f32_e32 v26, v27, v8
	s_delay_alu instid0(VALU_DEP_3) | instskip(NEXT) | instid1(VALU_DEP_3)
	v_fmac_f32_e32 v25, v7, v23
	v_cndmask_b32_e64 v1, v2, v14, s4
	v_and_b32_e32 v2, 0xffff, v4
	v_lshrrev_b32_e32 v4, 16, v4
	s_delay_alu instid0(VALU_DEP_4) | instskip(NEXT) | instid1(VALU_DEP_4)
	v_fma_f32 v3, -v21, v25, v3
	v_cmp_lt_f32_e64 s5, v1, v13
	s_delay_alu instid0(VALU_DEP_4) | instskip(NEXT) | instid1(VALU_DEP_4)
	v_cvt_f32_u32_e32 v9, v2
	v_cvt_f32_u32_e32 v7, v4
	s_delay_alu instid0(VALU_DEP_4)
	v_div_fmas_f32 v3, v3, v23, v25
	s_mov_b32 vcc_lo, s8
	v_cndmask_b32_e64 v1, v1, v13, s5
	s_cselect_b32 s8, -1, 0
	s_cmp_lt_i32 s12, 1
	v_div_fixup_f32 v3, v3, v12, 1.0
	v_mov_b32_e32 v12, 0
	v_cmp_lt_f32_e64 s6, v1, v10
	s_delay_alu instid0(VALU_DEP_1) | instskip(NEXT) | instid1(VALU_DEP_1)
	v_cndmask_b32_e64 v1, v1, v10, s6
	v_cmp_lt_f32_e64 s2, v1, v11
	s_delay_alu instid0(VALU_DEP_1) | instskip(SKIP_2) | instid1(VALU_DEP_3)
	v_cndmask_b32_e64 v28, v1, v11, s2
	v_lshlrev_b64 v[1:2], 2, v[5:6]
	v_fma_f32 v5, -v22, v26, v24
	v_cmp_lt_f32_e64 s3, v28, v9
	s_delay_alu instid0(VALU_DEP_2) | instskip(NEXT) | instid1(VALU_DEP_4)
	v_div_fmas_f32 v5, v5, v8, v26
	v_add_co_u32 v1, vcc_lo, s10, v1
	s_delay_alu instid0(VALU_DEP_3) | instskip(SKIP_1) | instid1(VALU_DEP_2)
	v_cndmask_b32_e64 v4, v28, v9, s3
	v_add_co_ci_u32_e32 v2, vcc_lo, s11, v2, vcc_lo
	v_cmp_lt_f32_e32 vcc_lo, v4, v7
	v_cndmask_b32_e32 v8, v4, v7, vcc_lo
	v_div_fixup_f32 v4, v5, v20, 1.0
	global_store_b64 v[1:2], v[3:4], off
	s_cbranch_scc1 .LBB243_8
; %bb.5:
	v_cndmask_b32_e64 v1, 0, 1, s7
	v_sub_f32_e32 v12, v8, v8
	v_mul_lo_u32 v2, v19, s16
	v_mul_lo_u32 v20, v19, s12
	s_delay_alu instid0(VALU_DEP_4) | instskip(NEXT) | instid1(VALU_DEP_4)
	v_cndmask_b32_e64 v1, v1, 2, s4
	v_mul_f32_e32 v3, 0x3fb8aa3b, v12
	s_delay_alu instid0(VALU_DEP_2) | instskip(NEXT) | instid1(VALU_DEP_2)
	v_cndmask_b32_e64 v1, v1, 3, s5
	v_rndne_f32_e32 v4, v3
	v_fma_f32 v5, 0x3fb8aa3b, v12, -v3
	s_delay_alu instid0(VALU_DEP_3) | instskip(NEXT) | instid1(VALU_DEP_3)
	v_cndmask_b32_e64 v6, v1, 4, s6
	v_sub_f32_e32 v3, v3, v4
	s_delay_alu instid0(VALU_DEP_3)
	v_fmac_f32_e32 v5, 0x32a5705f, v12
	v_ashrrev_i32_e32 v1, 31, v0
	s_load_b128 s[4:7], s[0:1], 0x20
	v_cndmask_b32_e64 v21, v6, 5, s2
	v_cvt_i32_f32_e32 v4, v4
	v_add_f32_e32 v22, v3, v5
	v_lshlrev_b64 v[5:6], 2, v[0:1]
	v_ashrrev_i32_e32 v3, 31, v2
	v_cndmask_b32_e64 v1, v21, 6, s3
	v_ashrrev_i32_e32 v21, 31, v20
	v_exp_f32_e32 v22, v22
	s_delay_alu instid0(VALU_DEP_2) | instskip(SKIP_2) | instid1(VALU_DEP_3)
	v_cndmask_b32_e64 v24, v1, 7, vcc_lo
	v_add_co_u32 v5, vcc_lo, s10, v5
	v_add_co_ci_u32_e32 v6, vcc_lo, s11, v6, vcc_lo
	v_cmp_le_i32_e32 vcc_lo, s13, v24
	v_cmp_gt_i32_e64 s0, s14, v24
	v_lshlrev_b64 v[1:2], 2, v[2:3]
	s_delay_alu instid0(TRANS32_DEP_1)
	v_ldexp_f32 v22, v22, v4
	v_lshlrev_b64 v[3:4], 2, v[20:21]
	v_subrev_nc_u32_e32 v23, s13, v24
	s_and_b32 s0, vcc_lo, s0
	v_cmp_ngt_f32_e32 vcc_lo, 0xc2ce8ed0, v12
	v_cndmask_b32_e32 v22, 0, v22, vcc_lo
	s_waitcnt lgkmcnt(0)
	v_add_co_u32 v20, vcc_lo, s4, v1
	v_add_co_ci_u32_e32 v21, vcc_lo, s5, v2, vcc_lo
	s_and_b32 vcc_lo, s18, s0
	s_cmp_eq_u32 s12, 1
	v_cndmask_b32_e32 v25, 8, v23, vcc_lo
	v_cmp_nlt_f32_e32 vcc_lo, 0x42b17218, v12
	v_cndmask_b32_e32 v12, 0x7f800000, v22, vcc_lo
	v_add_co_u32 v22, vcc_lo, s6, v3
	v_add_co_ci_u32_e32 v23, vcc_lo, s7, v4, vcc_lo
	v_cmp_ne_u32_e32 vcc_lo, 7, v24
	global_store_b32 v[5:6], v12, off
	global_store_b32 v[20:21], v25, off
	;; [unrolled: 1-line block ×3, first 2 shown]
	v_cndmask_b32_e32 v7, 0xff800000, v7, vcc_lo
	v_cmp_ne_u32_e32 vcc_lo, 6, v24
	v_cndmask_b32_e32 v9, 0xff800000, v9, vcc_lo
	v_cmp_ne_u32_e32 vcc_lo, 5, v24
	;; [unrolled: 2-line block ×7, first 2 shown]
	v_cndmask_b32_e32 v16, 0xff800000, v16, vcc_lo
	s_cbranch_scc1 .LBB243_8
; %bb.6:
	v_add_co_u32 v3, vcc_lo, v3, s6
	v_add_co_ci_u32_e32 v4, vcc_lo, s7, v4, vcc_lo
	v_add_co_u32 v19, vcc_lo, v1, s4
	v_add_co_ci_u32_e32 v20, vcc_lo, s5, v2, vcc_lo
	s_delay_alu instid0(VALU_DEP_4) | instskip(NEXT) | instid1(VALU_DEP_4)
	v_add_co_u32 v1, vcc_lo, v3, 4
	v_add_co_ci_u32_e32 v2, vcc_lo, 0, v4, vcc_lo
	s_delay_alu instid0(VALU_DEP_4) | instskip(NEXT) | instid1(VALU_DEP_4)
	v_add_co_u32 v3, vcc_lo, v19, 4
	v_add_co_ci_u32_e32 v4, vcc_lo, 0, v20, vcc_lo
	s_add_i32 s19, s19, s9
	v_add_co_u32 v5, vcc_lo, v5, 4
	v_add_co_ci_u32_e32 v6, vcc_lo, 0, v6, vcc_lo
	v_add3_u32 v17, s19, v18, v17
	s_add_i32 s2, s12, -1
.LBB243_7:                              ; =>This Inner Loop Header: Depth=1
	v_cmp_gt_f32_e32 vcc_lo, v15, v16
	s_add_i32 s2, s2, -1
	v_cndmask_b32_e32 v18, v16, v15, vcc_lo
	v_cndmask_b32_e64 v19, 0, 1, vcc_lo
	s_delay_alu instid0(VALU_DEP_2) | instskip(SKIP_1) | instid1(VALU_DEP_3)
	v_cmp_gt_f32_e32 vcc_lo, v14, v18
	v_cndmask_b32_e32 v18, v18, v14, vcc_lo
	v_cndmask_b32_e64 v19, v19, 2, vcc_lo
	s_delay_alu instid0(VALU_DEP_2) | instskip(SKIP_1) | instid1(VALU_DEP_3)
	v_cmp_gt_f32_e32 vcc_lo, v13, v18
	v_cndmask_b32_e32 v18, v18, v13, vcc_lo
	v_cndmask_b32_e64 v19, v19, 3, vcc_lo
	s_delay_alu instid0(VALU_DEP_2) | instskip(SKIP_1) | instid1(VALU_DEP_3)
	v_cmp_gt_f32_e32 vcc_lo, v10, v18
	v_cndmask_b32_e32 v18, v18, v10, vcc_lo
	v_cndmask_b32_e64 v19, v19, 4, vcc_lo
	s_delay_alu instid0(VALU_DEP_2) | instskip(SKIP_1) | instid1(VALU_DEP_3)
	v_cmp_gt_f32_e32 vcc_lo, v11, v18
	v_cndmask_b32_e32 v18, v18, v11, vcc_lo
	v_cndmask_b32_e64 v19, v19, 5, vcc_lo
	s_delay_alu instid0(VALU_DEP_2) | instskip(SKIP_1) | instid1(VALU_DEP_3)
	v_cmp_gt_f32_e32 vcc_lo, v9, v18
	v_cndmask_b32_e32 v18, v18, v9, vcc_lo
	v_cndmask_b32_e64 v19, v19, 6, vcc_lo
	s_delay_alu instid0(VALU_DEP_2) | instskip(NEXT) | instid1(VALU_DEP_2)
	v_cmp_gt_f32_e32 vcc_lo, v7, v18
	v_cndmask_b32_e64 v19, v19, 7, vcc_lo
	v_cndmask_b32_e32 v18, v18, v7, vcc_lo
	s_delay_alu instid0(VALU_DEP_2) | instskip(NEXT) | instid1(VALU_DEP_2)
	v_cmp_ne_u32_e64 s1, 7, v19
	v_sub_f32_e32 v18, v18, v8
	v_cmp_le_i32_e32 vcc_lo, s13, v19
	v_cmp_gt_i32_e64 s0, s14, v19
	v_subrev_nc_u32_e32 v21, s13, v19
	v_cndmask_b32_e64 v7, 0xff800000, v7, s1
	v_cmp_ne_u32_e64 s1, 6, v19
	v_mul_f32_e32 v20, 0x3fb8aa3b, v18
	s_and_b32 s0, vcc_lo, s0
	s_delay_alu instid0(SALU_CYCLE_1) | instskip(NEXT) | instid1(VALU_DEP_2)
	s_and_b32 vcc_lo, s18, s0
	v_cndmask_b32_e64 v9, 0xff800000, v9, s1
	v_cmp_ne_u32_e64 s1, 5, v19
	v_rndne_f32_e32 v22, v20
	v_cndmask_b32_e32 v21, 8, v21, vcc_lo
	global_store_b32 v[3:4], v21, off
	global_store_b32 v[1:2], v17, off
	v_add_nc_u32_e32 v17, s9, v17
	v_cndmask_b32_e64 v11, 0xff800000, v11, s1
	v_cmp_ne_u32_e64 s1, 4, v19
	v_add_co_u32 v1, vcc_lo, v1, 4
	v_add_co_ci_u32_e32 v2, vcc_lo, 0, v2, vcc_lo
	s_delay_alu instid0(VALU_DEP_3) | instskip(SKIP_3) | instid1(VALU_DEP_3)
	v_cndmask_b32_e64 v10, 0xff800000, v10, s1
	v_cmp_ne_u32_e64 s1, 3, v19
	v_add_co_u32 v3, vcc_lo, v3, 4
	v_add_co_ci_u32_e32 v4, vcc_lo, 0, v4, vcc_lo
	v_cndmask_b32_e64 v13, 0xff800000, v13, s1
	v_cmp_ne_u32_e64 s1, 2, v19
	v_cmp_ngt_f32_e32 vcc_lo, 0xc2ce8ed0, v18
	s_cmp_eq_u32 s2, 0
	s_delay_alu instid0(VALU_DEP_2) | instskip(SKIP_1) | instid1(VALU_DEP_1)
	v_cndmask_b32_e64 v14, 0xff800000, v14, s1
	v_cmp_ne_u32_e64 s1, 1, v19
	v_cndmask_b32_e64 v15, 0xff800000, v15, s1
	v_cmp_ne_u32_e64 s1, 0, v19
	v_fma_f32 v19, 0x3fb8aa3b, v18, -v20
	v_sub_f32_e32 v20, v20, v22
	v_cvt_i32_f32_e32 v22, v22
	s_delay_alu instid0(VALU_DEP_4) | instskip(NEXT) | instid1(VALU_DEP_4)
	v_cndmask_b32_e64 v16, 0xff800000, v16, s1
	v_fmac_f32_e32 v19, 0x32a5705f, v18
	s_delay_alu instid0(VALU_DEP_1) | instskip(NEXT) | instid1(VALU_DEP_1)
	v_add_f32_e32 v19, v20, v19
	v_exp_f32_e32 v19, v19
	s_waitcnt_depctr 0xfff
	v_ldexp_f32 v19, v19, v22
	s_delay_alu instid0(VALU_DEP_1) | instskip(SKIP_1) | instid1(VALU_DEP_2)
	v_cndmask_b32_e32 v19, 0, v19, vcc_lo
	v_cmp_nlt_f32_e32 vcc_lo, 0x42b17218, v18
	v_cndmask_b32_e32 v18, 0x7f800000, v19, vcc_lo
	global_store_b32 v[5:6], v18, off
	v_add_co_u32 v5, vcc_lo, v5, 4
	v_add_f32_e32 v12, v12, v18
	v_add_co_ci_u32_e32 v6, vcc_lo, 0, v6, vcc_lo
	s_cbranch_scc0 .LBB243_7
.LBB243_8:
	s_delay_alu instid0(VALU_DEP_3) | instskip(NEXT) | instid1(VALU_DEP_2)
	v_sub_f32_e32 v2, v15, v8
	v_sub_f32_e32 v1, v16, v8
	s_delay_alu instid0(VALU_DEP_2) | instskip(NEXT) | instid1(VALU_DEP_2)
	v_dual_sub_f32 v7, v7, v8 :: v_dual_mul_f32 v6, 0x3fb8aa3b, v2
	v_mul_f32_e32 v5, 0x3fb8aa3b, v1
	v_cmp_ngt_f32_e32 vcc_lo, 0xc2ce8ed0, v1
	s_delay_alu instid0(VALU_DEP_3) | instskip(NEXT) | instid1(VALU_DEP_3)
	v_fma_f32 v17, 0x3fb8aa3b, v2, -v6
	v_fma_f32 v15, 0x3fb8aa3b, v1, -v5
	v_rndne_f32_e32 v16, v5
	v_rndne_f32_e32 v18, v6
	s_delay_alu instid0(VALU_DEP_4) | instskip(NEXT) | instid1(VALU_DEP_2)
	v_fmac_f32_e32 v17, 0x32a5705f, v2
	v_dual_fmac_f32 v15, 0x32a5705f, v1 :: v_dual_sub_f32 v6, v6, v18
	s_delay_alu instid0(VALU_DEP_1) | instskip(NEXT) | instid1(VALU_DEP_1)
	v_dual_sub_f32 v5, v5, v16 :: v_dual_add_f32 v6, v6, v17
	v_add_f32_e32 v5, v5, v15
	v_cvt_i32_f32_e32 v15, v16
	v_cvt_i32_f32_e32 v16, v18
	s_delay_alu instid0(VALU_DEP_4) | instskip(NEXT) | instid1(VALU_DEP_3)
	v_exp_f32_e32 v6, v6
	v_exp_f32_e32 v5, v5
	s_waitcnt_depctr 0xfff
	v_ldexp_f32 v6, v6, v16
	v_ldexp_f32 v5, v5, v15
	s_delay_alu instid0(VALU_DEP_1) | instskip(SKIP_1) | instid1(VALU_DEP_4)
	v_cndmask_b32_e32 v5, 0, v5, vcc_lo
	v_cmp_ngt_f32_e32 vcc_lo, 0xc2ce8ed0, v2
	v_dual_sub_f32 v3, v14, v8 :: v_dual_cndmask_b32 v6, 0, v6
	s_delay_alu instid0(VALU_DEP_1) | instskip(SKIP_1) | instid1(VALU_DEP_2)
	v_dual_sub_f32 v4, v13, v8 :: v_dual_mul_f32 v13, 0x3fb8aa3b, v3
	v_cmp_nlt_f32_e32 vcc_lo, 0x42b17218, v1
	v_fma_f32 v19, 0x3fb8aa3b, v3, -v13
	v_rndne_f32_e32 v20, v13
	v_cndmask_b32_e32 v1, 0x7f800000, v5, vcc_lo
	v_cmp_nlt_f32_e32 vcc_lo, 0x42b17218, v2
	s_delay_alu instid0(VALU_DEP_4) | instskip(NEXT) | instid1(VALU_DEP_4)
	v_fmac_f32_e32 v19, 0x32a5705f, v3
	v_sub_f32_e32 v13, v13, v20
	v_cvt_i32_f32_e32 v15, v20
	v_cndmask_b32_e32 v2, 0x7f800000, v6, vcc_lo
	v_sub_f32_e32 v6, v10, v8
	s_delay_alu instid0(VALU_DEP_4) | instskip(SKIP_1) | instid1(VALU_DEP_2)
	v_dual_mul_f32 v14, 0x3fb8aa3b, v4 :: v_dual_add_f32 v13, v13, v19
	v_cmp_ngt_f32_e32 vcc_lo, 0xc2ce8ed0, v3
	v_fma_f32 v21, 0x3fb8aa3b, v4, -v14
	s_delay_alu instid0(VALU_DEP_3) | instskip(SKIP_1) | instid1(VALU_DEP_1)
	v_exp_f32_e32 v13, v13
	v_rndne_f32_e32 v22, v14
	v_sub_f32_e32 v14, v14, v22
	v_cvt_i32_f32_e32 v10, v22
	s_waitcnt_depctr 0xfff
	v_ldexp_f32 v13, v13, v15
	v_mul_f32_e32 v15, 0x3fb8aa3b, v7
	s_delay_alu instid0(VALU_DEP_2)
	v_cndmask_b32_e32 v5, 0, v13, vcc_lo
	v_cmp_nlt_f32_e32 vcc_lo, 0x42b17218, v3
	v_add_f32_e32 v1, v1, v2
	v_mul_f32_e32 v3, 0x3fb8aa3b, v6
	v_rndne_f32_e32 v16, v15
	v_cndmask_b32_e32 v2, 0x7f800000, v5, vcc_lo
	v_cmp_ngt_f32_e32 vcc_lo, 0xc2ce8ed0, v4
	s_delay_alu instid0(VALU_DEP_2) | instskip(SKIP_1) | instid1(VALU_DEP_1)
	v_add_f32_e32 v1, v1, v2
	v_fma_f32 v2, 0x3fb8aa3b, v6, -v3
	v_dual_fmac_f32 v21, 0x32a5705f, v4 :: v_dual_fmac_f32 v2, 0x32a5705f, v6
	s_delay_alu instid0(VALU_DEP_1) | instskip(NEXT) | instid1(VALU_DEP_1)
	v_add_f32_e32 v14, v14, v21
	v_exp_f32_e32 v14, v14
	s_waitcnt_depctr 0xfff
	v_ldexp_f32 v5, v14, v10
	v_rndne_f32_e32 v10, v3
	s_delay_alu instid0(VALU_DEP_2) | instskip(NEXT) | instid1(VALU_DEP_2)
	v_cndmask_b32_e32 v5, 0, v5, vcc_lo
	v_sub_f32_e32 v3, v3, v10
	v_cmp_nlt_f32_e32 vcc_lo, 0x42b17218, v4
	v_cvt_i32_f32_e32 v10, v10
	s_delay_alu instid0(VALU_DEP_3) | instskip(SKIP_2) | instid1(VALU_DEP_3)
	v_add_f32_e32 v2, v3, v2
	v_cndmask_b32_e32 v4, 0x7f800000, v5, vcc_lo
	v_cmp_ngt_f32_e32 vcc_lo, 0xc2ce8ed0, v6
	v_exp_f32_e32 v2, v2
	s_delay_alu instid0(VALU_DEP_2) | instskip(SKIP_2) | instid1(VALU_DEP_1)
	v_add_f32_e32 v1, v1, v4
	s_waitcnt_depctr 0xfff
	v_ldexp_f32 v2, v2, v10
	v_cndmask_b32_e32 v2, 0, v2, vcc_lo
	v_cmp_nlt_f32_e32 vcc_lo, 0x42b17218, v6
	s_delay_alu instid0(VALU_DEP_2) | instskip(NEXT) | instid1(VALU_DEP_1)
	v_dual_sub_f32 v9, v9, v8 :: v_dual_cndmask_b32 v2, 0x7f800000, v2
	v_mul_f32_e32 v13, 0x3fb8aa3b, v9
	v_sub_f32_e32 v11, v11, v8
	s_delay_alu instid0(VALU_DEP_3) | instskip(NEXT) | instid1(VALU_DEP_3)
	v_add_f32_e32 v1, v1, v2
	v_fma_f32 v8, 0x3fb8aa3b, v9, -v13
	v_rndne_f32_e32 v14, v13
	s_delay_alu instid0(VALU_DEP_2) | instskip(SKIP_2) | instid1(VALU_DEP_2)
	v_fmac_f32_e32 v8, 0x32a5705f, v9
	v_mul_f32_e32 v5, 0x3fb8aa3b, v11
	v_cmp_ngt_f32_e32 vcc_lo, 0xc2ce8ed0, v11
	v_fma_f32 v3, 0x3fb8aa3b, v11, -v5
	v_rndne_f32_e32 v4, v5
	s_delay_alu instid0(VALU_DEP_2) | instskip(NEXT) | instid1(VALU_DEP_2)
	v_fmac_f32_e32 v3, 0x32a5705f, v11
	v_sub_f32_e32 v5, v5, v4
	v_cvt_i32_f32_e32 v4, v4
	s_delay_alu instid0(VALU_DEP_2) | instskip(SKIP_2) | instid1(VALU_DEP_3)
	v_add_f32_e32 v3, v5, v3
	v_sub_f32_e32 v5, v13, v14
	v_fma_f32 v13, 0x3fb8aa3b, v7, -v15
	v_exp_f32_e32 v3, v3
	s_delay_alu instid0(VALU_DEP_2) | instskip(NEXT) | instid1(VALU_DEP_2)
	v_add_f32_e32 v5, v5, v8
	v_dual_fmac_f32 v13, 0x32a5705f, v7 :: v_dual_sub_f32 v8, v15, v16
	s_delay_alu instid0(VALU_DEP_2) | instskip(NEXT) | instid1(VALU_DEP_1)
	v_exp_f32_e32 v5, v5
	v_add_f32_e32 v8, v8, v13
	s_waitcnt_depctr 0xfff
	v_ldexp_f32 v3, v3, v4
	v_cvt_i32_f32_e32 v4, v14
	v_exp_f32_e32 v6, v8
	s_delay_alu instid0(VALU_DEP_2) | instskip(SKIP_1) | instid1(VALU_DEP_3)
	v_cndmask_b32_e32 v3, 0, v3, vcc_lo
	v_cmp_nlt_f32_e32 vcc_lo, 0x42b17218, v11
	v_ldexp_f32 v2, v5, v4
	v_cvt_i32_f32_e32 v4, v16
	s_delay_alu instid0(VALU_DEP_4)
	v_cndmask_b32_e32 v3, 0x7f800000, v3, vcc_lo
	v_cmp_ngt_f32_e32 vcc_lo, 0xc2ce8ed0, v9
	s_delay_alu instid0(TRANS32_DEP_1) | instid1(VALU_DEP_3)
	v_ldexp_f32 v4, v6, v4
	s_delay_alu instid0(VALU_DEP_3) | instskip(SKIP_1) | instid1(VALU_DEP_2)
	v_dual_add_f32 v1, v1, v3 :: v_dual_cndmask_b32 v2, 0, v2
	v_cmp_nlt_f32_e32 vcc_lo, 0x42b17218, v9
	v_cndmask_b32_e32 v2, 0x7f800000, v2, vcc_lo
	v_cmp_ngt_f32_e32 vcc_lo, 0xc2ce8ed0, v7
	s_delay_alu instid0(VALU_DEP_2) | instskip(SKIP_2) | instid1(VALU_DEP_2)
	v_add_f32_e32 v1, v1, v2
	v_cndmask_b32_e32 v3, 0, v4, vcc_lo
	v_cmp_nlt_f32_e32 vcc_lo, 0x42b17218, v7
	v_cndmask_b32_e32 v2, 0x7f800000, v3, vcc_lo
	s_delay_alu instid0(VALU_DEP_1) | instskip(NEXT) | instid1(VALU_DEP_1)
	v_add_f32_e32 v1, v1, v2
	v_add_f32_e32 v2, v12, v1
	s_delay_alu instid0(VALU_DEP_1)
	v_cmp_neq_f32_e32 vcc_lo, 0, v2
	s_and_b32 exec_lo, exec_lo, vcc_lo
	s_cbranch_execz .LBB243_12
; %bb.9:
	s_and_not1_b32 vcc_lo, exec_lo, s8
	s_cbranch_vccnz .LBB243_12
; %bb.10:
	v_div_scale_f32 v1, null, v2, v2, 1.0
	v_div_scale_f32 v5, vcc_lo, 1.0, v2, 1.0
	s_delay_alu instid0(VALU_DEP_2) | instskip(SKIP_2) | instid1(VALU_DEP_1)
	v_rcp_f32_e32 v3, v1
	s_waitcnt_depctr 0xfff
	v_fma_f32 v4, -v1, v3, 1.0
	v_fmac_f32_e32 v3, v4, v3
	s_delay_alu instid0(VALU_DEP_1) | instskip(NEXT) | instid1(VALU_DEP_1)
	v_mul_f32_e32 v4, v5, v3
	v_fma_f32 v6, -v1, v4, v5
	s_delay_alu instid0(VALU_DEP_1) | instskip(NEXT) | instid1(VALU_DEP_1)
	v_fmac_f32_e32 v4, v6, v3
	v_fma_f32 v5, -v1, v4, v5
	v_ashrrev_i32_e32 v1, 31, v0
	s_delay_alu instid0(VALU_DEP_2) | instskip(NEXT) | instid1(VALU_DEP_2)
	v_div_fmas_f32 v3, v5, v3, v4
	v_lshlrev_b64 v[0:1], 2, v[0:1]
	s_delay_alu instid0(VALU_DEP_2) | instskip(NEXT) | instid1(VALU_DEP_2)
	v_div_fixup_f32 v2, v3, v2, 1.0
	v_add_co_u32 v0, vcc_lo, s10, v0
	s_delay_alu instid0(VALU_DEP_3)
	v_add_co_ci_u32_e32 v1, vcc_lo, s11, v1, vcc_lo
.LBB243_11:                             ; =>This Inner Loop Header: Depth=1
	global_load_b32 v3, v[0:1], off
	s_add_i32 s12, s12, -1
	s_delay_alu instid0(SALU_CYCLE_1)
	s_cmp_lg_u32 s12, 0
	s_waitcnt vmcnt(0)
	v_mul_f32_e32 v3, v2, v3
	global_store_b32 v[0:1], v3, off
	v_add_co_u32 v0, vcc_lo, v0, 4
	v_add_co_ci_u32_e32 v1, vcc_lo, 0, v1, vcc_lo
	s_cbranch_scc1 .LBB243_11
.LBB243_12:
	s_nop 0
	s_sendmsg sendmsg(MSG_DEALLOC_VGPRS)
	s_endpgm
	.section	.rodata,"a",@progbits
	.p2align	6, 0x0
	.amdhsa_kernel _ZN4vllm3moe17topkGatingSoftmaxItLi8ELi8ELi8ELi16ELb0ELi2ELNS0_23SharedExpertScoringFuncE1EEEvPKT_PKbPfiPiS9_iiiiii
		.amdhsa_group_segment_fixed_size 0
		.amdhsa_private_segment_fixed_size 0
		.amdhsa_kernarg_size 72
		.amdhsa_user_sgpr_count 15
		.amdhsa_user_sgpr_dispatch_ptr 0
		.amdhsa_user_sgpr_queue_ptr 0
		.amdhsa_user_sgpr_kernarg_segment_ptr 1
		.amdhsa_user_sgpr_dispatch_id 0
		.amdhsa_user_sgpr_private_segment_size 0
		.amdhsa_wavefront_size32 1
		.amdhsa_uses_dynamic_stack 0
		.amdhsa_enable_private_segment 0
		.amdhsa_system_sgpr_workgroup_id_x 1
		.amdhsa_system_sgpr_workgroup_id_y 0
		.amdhsa_system_sgpr_workgroup_id_z 0
		.amdhsa_system_sgpr_workgroup_info 0
		.amdhsa_system_vgpr_workitem_id 1
		.amdhsa_next_free_vgpr 29
		.amdhsa_next_free_sgpr 20
		.amdhsa_reserve_vcc 1
		.amdhsa_float_round_mode_32 0
		.amdhsa_float_round_mode_16_64 0
		.amdhsa_float_denorm_mode_32 3
		.amdhsa_float_denorm_mode_16_64 3
		.amdhsa_dx10_clamp 1
		.amdhsa_ieee_mode 1
		.amdhsa_fp16_overflow 0
		.amdhsa_workgroup_processor_mode 1
		.amdhsa_memory_ordered 1
		.amdhsa_forward_progress 0
		.amdhsa_shared_vgpr_count 0
		.amdhsa_exception_fp_ieee_invalid_op 0
		.amdhsa_exception_fp_denorm_src 0
		.amdhsa_exception_fp_ieee_div_zero 0
		.amdhsa_exception_fp_ieee_overflow 0
		.amdhsa_exception_fp_ieee_underflow 0
		.amdhsa_exception_fp_ieee_inexact 0
		.amdhsa_exception_int_div_zero 0
	.end_amdhsa_kernel
	.section	.text._ZN4vllm3moe17topkGatingSoftmaxItLi8ELi8ELi8ELi16ELb0ELi2ELNS0_23SharedExpertScoringFuncE1EEEvPKT_PKbPfiPiS9_iiiiii,"axG",@progbits,_ZN4vllm3moe17topkGatingSoftmaxItLi8ELi8ELi8ELi16ELb0ELi2ELNS0_23SharedExpertScoringFuncE1EEEvPKT_PKbPfiPiS9_iiiiii,comdat
.Lfunc_end243:
	.size	_ZN4vllm3moe17topkGatingSoftmaxItLi8ELi8ELi8ELi16ELb0ELi2ELNS0_23SharedExpertScoringFuncE1EEEvPKT_PKbPfiPiS9_iiiiii, .Lfunc_end243-_ZN4vllm3moe17topkGatingSoftmaxItLi8ELi8ELi8ELi16ELb0ELi2ELNS0_23SharedExpertScoringFuncE1EEEvPKT_PKbPfiPiS9_iiiiii
                                        ; -- End function
	.section	.AMDGPU.csdata,"",@progbits
; Kernel info:
; codeLenInByte = 3068
; NumSgprs: 22
; NumVgprs: 29
; ScratchSize: 0
; MemoryBound: 0
; FloatMode: 240
; IeeeMode: 1
; LDSByteSize: 0 bytes/workgroup (compile time only)
; SGPRBlocks: 2
; VGPRBlocks: 3
; NumSGPRsForWavesPerEU: 22
; NumVGPRsForWavesPerEU: 29
; Occupancy: 16
; WaveLimiterHint : 0
; COMPUTE_PGM_RSRC2:SCRATCH_EN: 0
; COMPUTE_PGM_RSRC2:USER_SGPR: 15
; COMPUTE_PGM_RSRC2:TRAP_HANDLER: 0
; COMPUTE_PGM_RSRC2:TGID_X_EN: 1
; COMPUTE_PGM_RSRC2:TGID_Y_EN: 0
; COMPUTE_PGM_RSRC2:TGID_Z_EN: 0
; COMPUTE_PGM_RSRC2:TIDIG_COMP_CNT: 1
	.section	.text._ZN4vllm3moe17topkGatingSoftmaxItLi8ELi8ELi8ELi16ELb1ELi4ELNS0_23SharedExpertScoringFuncE1EEEvPKT_PKbPfiPiS9_iiiiii,"axG",@progbits,_ZN4vllm3moe17topkGatingSoftmaxItLi8ELi8ELi8ELi16ELb1ELi4ELNS0_23SharedExpertScoringFuncE1EEEvPKT_PKbPfiPiS9_iiiiii,comdat
	.protected	_ZN4vllm3moe17topkGatingSoftmaxItLi8ELi8ELi8ELi16ELb1ELi4ELNS0_23SharedExpertScoringFuncE1EEEvPKT_PKbPfiPiS9_iiiiii ; -- Begin function _ZN4vllm3moe17topkGatingSoftmaxItLi8ELi8ELi8ELi16ELb1ELi4ELNS0_23SharedExpertScoringFuncE1EEEvPKT_PKbPfiPiS9_iiiiii
	.globl	_ZN4vllm3moe17topkGatingSoftmaxItLi8ELi8ELi8ELi16ELb1ELi4ELNS0_23SharedExpertScoringFuncE1EEEvPKT_PKbPfiPiS9_iiiiii
	.p2align	8
	.type	_ZN4vllm3moe17topkGatingSoftmaxItLi8ELi8ELi8ELi16ELb1ELi4ELNS0_23SharedExpertScoringFuncE1EEEvPKT_PKbPfiPiS9_iiiiii,@function
_ZN4vllm3moe17topkGatingSoftmaxItLi8ELi8ELi8ELi16ELb1ELi4ELNS0_23SharedExpertScoringFuncE1EEEvPKT_PKbPfiPiS9_iiiiii: ; @_ZN4vllm3moe17topkGatingSoftmaxItLi8ELi8ELi8ELi16ELb1ELi4ELNS0_23SharedExpertScoringFuncE1EEEvPKT_PKbPfiPiS9_iiiiii
; %bb.0:
	s_load_b32 s14, s[0:1], 0x18
	v_bfe_u32 v1, v0, 10, 10
	v_and_b32_e32 v8, 0x3ff, v0
	s_lshl_b32 s16, s15, 8
	s_mov_b32 s2, exec_lo
	s_delay_alu instid0(VALU_DEP_2) | instskip(NEXT) | instid1(VALU_DEP_1)
	v_lshlrev_b32_e32 v7, 5, v1
	v_add3_u32 v9, v7, v8, s16
	s_waitcnt lgkmcnt(0)
	s_delay_alu instid0(VALU_DEP_1)
	v_cmpx_gt_i32_e64 s14, v9
	s_cbranch_execz .LBB244_12
; %bb.1:
	s_clause 0x1
	s_load_b128 s[4:7], s[0:1], 0x0
	s_load_b64 s[12:13], s[0:1], 0x10
	s_waitcnt lgkmcnt(0)
	s_cmp_eq_u64 s[6:7], 0
	s_cbranch_scc1 .LBB244_3
; %bb.2:
	v_ashrrev_i32_e32 v1, 31, v9
	v_add_co_u32 v0, vcc_lo, s6, v9
	s_delay_alu instid0(VALU_DEP_2) | instskip(SKIP_3) | instid1(VALU_DEP_1)
	v_add_co_ci_u32_e32 v1, vcc_lo, s7, v1, vcc_lo
	global_load_u8 v0, v[0:1], off
	s_waitcnt vmcnt(0)
	v_and_b32_e32 v0, 1, v0
	v_cmp_eq_u32_e32 vcc_lo, 1, v0
	s_xor_b32 s2, vcc_lo, -1
	s_delay_alu instid0(SALU_CYCLE_1)
	s_or_not1_b32 s15, s2, exec_lo
	s_branch .LBB244_4
.LBB244_3:
	s_mov_b32 s15, -1
.LBB244_4:
	s_clause 0x1
	s_load_b64 s[6:7], s[0:1], 0x40
	s_load_b128 s[8:11], s[0:1], 0x30
	s_waitcnt lgkmcnt(0)
	v_mul_lo_u32 v0, v9, s7
	s_cmp_gt_i32 s8, 0
	s_delay_alu instid0(VALU_DEP_1) | instskip(NEXT) | instid1(VALU_DEP_1)
	v_ashrrev_i32_e32 v1, 31, v0
	v_lshlrev_b64 v[0:1], 1, v[0:1]
	s_delay_alu instid0(VALU_DEP_1) | instskip(NEXT) | instid1(VALU_DEP_2)
	v_add_co_u32 v0, vcc_lo, s4, v0
	v_add_co_ci_u32_e32 v1, vcc_lo, s5, v1, vcc_lo
	s_clause 0x1
	global_load_b64 v[4:5], v[0:1], off offset:16
	global_load_b128 v[0:3], v[0:1], off
	s_waitcnt vmcnt(1)
	v_and_b32_e32 v6, 0xffff, v4
	v_lshrrev_b32_e32 v4, 16, v4
	s_delay_alu instid0(VALU_DEP_2) | instskip(NEXT) | instid1(VALU_DEP_2)
	v_cvt_f32_u32_e32 v6, v6
	v_cvt_f32_u32_e32 v4, v4
	s_delay_alu instid0(VALU_DEP_1) | instskip(SKIP_1) | instid1(VALU_DEP_2)
	v_dual_mul_f32 v11, 0xbfb8aa3b, v6 :: v_dual_mul_f32 v12, 0xbfb8aa3b, v4
	v_cmp_nlt_f32_e32 vcc_lo, 0x42ce8ed0, v6
	v_fma_f32 v15, 0xbfb8aa3b, v6, -v11
	v_rndne_f32_e32 v16, v11
	s_delay_alu instid0(VALU_DEP_4) | instskip(SKIP_4) | instid1(VALU_DEP_4)
	v_fma_f32 v17, 0xbfb8aa3b, v4, -v12
	v_rndne_f32_e32 v18, v12
	v_and_b32_e32 v10, 0xffff, v5
	v_lshrrev_b32_e32 v5, 16, v5
	v_sub_f32_e32 v11, v11, v16
	v_dual_fmac_f32 v17, 0xb2a5705f, v4 :: v_dual_sub_f32 v12, v12, v18
	v_fmac_f32_e32 v15, 0xb2a5705f, v6
	v_cvt_f32_u32_e32 v10, v10
	v_cvt_f32_u32_e32 v5, v5
	s_delay_alu instid0(VALU_DEP_3) | instskip(NEXT) | instid1(VALU_DEP_2)
	v_dual_add_f32 v12, v12, v17 :: v_dual_add_f32 v11, v11, v15
	v_dual_mul_f32 v13, 0xbfb8aa3b, v10 :: v_dual_mul_f32 v14, 0xbfb8aa3b, v5
	v_cvt_i32_f32_e32 v15, v16
	s_delay_alu instid0(VALU_DEP_3) | instskip(NEXT) | instid1(VALU_DEP_3)
	v_exp_f32_e32 v12, v12
	v_exp_f32_e32 v11, v11
	s_delay_alu instid0(VALU_DEP_2)
	v_rndne_f32_e32 v20, v13
	v_fma_f32 v21, 0xbfb8aa3b, v5, -v14
	v_rndne_f32_e32 v22, v14
	v_cvt_i32_f32_e32 v16, v18
	v_fma_f32 v19, 0xbfb8aa3b, v10, -v13
	v_sub_f32_e32 v13, v13, v20
	v_cvt_i32_f32_e32 v17, v20
	v_sub_f32_e32 v14, v14, v22
	v_ldexp_f32 v12, v12, v16
	v_ldexp_f32 v11, v11, v15
	v_cvt_i32_f32_e32 v18, v22
	s_delay_alu instid0(VALU_DEP_2) | instskip(SKIP_2) | instid1(VALU_DEP_1)
	v_cndmask_b32_e32 v11, 0, v11, vcc_lo
	v_cmp_nlt_f32_e32 vcc_lo, 0x42ce8ed0, v4
	v_dual_fmac_f32 v21, 0xb2a5705f, v5 :: v_dual_cndmask_b32 v12, 0, v12
	v_dual_fmac_f32 v19, 0xb2a5705f, v10 :: v_dual_add_f32 v14, v14, v21
	v_cmp_nlt_f32_e32 vcc_lo, 0x42ce8ed0, v10
	s_delay_alu instid0(VALU_DEP_2) | instskip(SKIP_3) | instid1(VALU_DEP_1)
	v_exp_f32_e32 v14, v14
	s_waitcnt_depctr 0xfff
	v_ldexp_f32 v14, v14, v18
	v_add_f32_e32 v13, v13, v19
	v_exp_f32_e32 v13, v13
	s_waitcnt_depctr 0xfff
	v_ldexp_f32 v13, v13, v17
	s_delay_alu instid0(VALU_DEP_1)
	v_cndmask_b32_e32 v13, 0, v13, vcc_lo
	v_cmp_nlt_f32_e32 vcc_lo, 0x42ce8ed0, v5
	v_cndmask_b32_e32 v14, 0, v14, vcc_lo
	v_cmp_ngt_f32_e32 vcc_lo, 0xc2b17218, v6
	v_cndmask_b32_e32 v6, 0x7f800000, v11, vcc_lo
	v_cmp_ngt_f32_e32 vcc_lo, 0xc2b17218, v4
	;; [unrolled: 2-line block ×4, first 2 shown]
	s_delay_alu instid0(VALU_DEP_4) | instskip(SKIP_3) | instid1(VALU_DEP_4)
	v_add_f32_e32 v13, 1.0, v4
	v_add_f32_e32 v11, 1.0, v6
	v_mul_lo_u32 v4, v9, s11
	v_cndmask_b32_e32 v5, 0x7f800000, v14, vcc_lo
	v_div_scale_f32 v14, null, v13, v13, 1.0
	v_div_scale_f32 v23, s2, 1.0, v13, 1.0
	v_div_scale_f32 v12, null, v11, v11, 1.0
	s_delay_alu instid0(VALU_DEP_3) | instskip(SKIP_1) | instid1(VALU_DEP_2)
	v_rcp_f32_e32 v19, v14
	v_div_scale_f32 v22, vcc_lo, 1.0, v11, 1.0
	v_rcp_f32_e32 v18, v12
	s_waitcnt_depctr 0xfff
	v_fma_f32 v6, -v14, v19, 1.0
	s_delay_alu instid0(VALU_DEP_1) | instskip(NEXT) | instid1(VALU_DEP_1)
	v_dual_fmac_f32 v19, v6, v19 :: v_dual_add_f32 v10, 1.0, v10
	v_div_scale_f32 v16, null, v10, v10, 1.0
	v_div_scale_f32 v24, s3, 1.0, v10, 1.0
	s_delay_alu instid0(VALU_DEP_2) | instskip(SKIP_2) | instid1(VALU_DEP_1)
	v_rcp_f32_e32 v20, v16
	s_waitcnt_depctr 0xfff
	v_fma_f32 v25, -v16, v20, 1.0
	v_dual_fmac_f32 v20, v25, v20 :: v_dual_add_f32 v15, 1.0, v5
	v_fma_f32 v5, -v12, v18, 1.0
	s_delay_alu instid0(VALU_DEP_2) | instskip(NEXT) | instid1(VALU_DEP_3)
	v_mul_f32_e32 v28, v24, v20
	v_div_scale_f32 v17, null, v15, v15, 1.0
	s_delay_alu instid0(VALU_DEP_3) | instskip(NEXT) | instid1(VALU_DEP_3)
	v_dual_fmac_f32 v18, v5, v18 :: v_dual_add_nc_u32 v5, s8, v4
	v_fma_f32 v32, -v16, v28, v24
	s_delay_alu instid0(VALU_DEP_3) | instskip(NEXT) | instid1(VALU_DEP_2)
	v_rcp_f32_e32 v21, v17
	v_ashrrev_i32_e32 v6, 31, v5
	s_delay_alu instid0(VALU_DEP_2) | instskip(NEXT) | instid1(VALU_DEP_2)
	v_fmac_f32_e32 v28, v32, v20
	v_lshlrev_b64 v[5:6], 2, v[5:6]
	s_delay_alu instid0(VALU_DEP_2) | instskip(SKIP_2) | instid1(VALU_DEP_1)
	v_fma_f32 v16, -v16, v28, v24
	s_waitcnt_depctr 0xfff
	v_fma_f32 v26, -v17, v21, 1.0
	v_dual_fmac_f32 v21, v26, v21 :: v_dual_mul_f32 v26, v23, v19
	v_div_scale_f32 v27, s4, 1.0, v15, 1.0
	s_delay_alu instid0(VALU_DEP_2) | instskip(SKIP_1) | instid1(VALU_DEP_3)
	v_fma_f32 v31, -v14, v26, v23
	v_mul_f32_e32 v25, v22, v18
	v_mul_f32_e32 v29, v27, v21
	s_delay_alu instid0(VALU_DEP_3) | instskip(NEXT) | instid1(VALU_DEP_3)
	v_fmac_f32_e32 v26, v31, v19
	v_fma_f32 v30, -v12, v25, v22
	s_delay_alu instid0(VALU_DEP_3) | instskip(NEXT) | instid1(VALU_DEP_3)
	v_fma_f32 v33, -v17, v29, v27
	v_fma_f32 v14, -v14, v26, v23
	s_delay_alu instid0(VALU_DEP_3) | instskip(NEXT) | instid1(VALU_DEP_3)
	v_fmac_f32_e32 v25, v30, v18
	v_fmac_f32_e32 v29, v33, v21
	s_delay_alu instid0(VALU_DEP_2) | instskip(NEXT) | instid1(VALU_DEP_2)
	v_fma_f32 v12, -v12, v25, v22
	v_fma_f32 v17, -v17, v29, v27
	s_delay_alu instid0(VALU_DEP_2)
	v_div_fmas_f32 v12, v12, v18, v25
	s_mov_b32 vcc_lo, s2
	s_cselect_b32 s2, -1, 0
	v_div_fmas_f32 v14, v14, v19, v26
	s_mov_b32 vcc_lo, s3
	v_div_fixup_f32 v12, v12, v11, 1.0
	v_div_fmas_f32 v16, v16, v20, v28
	s_mov_b32 vcc_lo, s4
	v_div_fixup_f32 v13, v14, v13, 1.0
	v_div_fmas_f32 v17, v17, v21, v29
	v_add_co_u32 v5, vcc_lo, s12, v5
	v_add_co_ci_u32_e32 v6, vcc_lo, s13, v6, vcc_lo
	v_div_fixup_f32 v14, v16, v10, 1.0
	s_delay_alu instid0(VALU_DEP_4)
	v_div_fixup_f32 v15, v17, v15, 1.0
	v_mov_b32_e32 v11, 0
	s_cmp_lt_i32 s8, 1
	global_store_b128 v[5:6], v[12:15], off
	s_cbranch_scc1 .LBB244_8
; %bb.5:
	s_waitcnt vmcnt(0)
	v_lshrrev_b32_e32 v5, 16, v0
	s_delay_alu instid0(VALU_DEP_1) | instskip(SKIP_1) | instid1(VALU_DEP_1)
	v_cvt_f32_u32_e32 v17, v5
	v_and_b32_e32 v0, 0xffff, v0
	v_cvt_f32_u32_e32 v18, v0
	s_delay_alu instid0(VALU_DEP_1) | instskip(SKIP_3) | instid1(VALU_DEP_2)
	v_cmp_lt_f32_e32 vcc_lo, v18, v17
	v_cndmask_b32_e32 v5, v18, v17, vcc_lo
	v_and_b32_e32 v0, 0xffff, v1
	v_lshrrev_b32_e32 v1, 16, v1
	v_cvt_f32_u32_e32 v16, v0
	v_cndmask_b32_e64 v0, 0, 1, vcc_lo
	s_delay_alu instid0(VALU_DEP_3) | instskip(NEXT) | instid1(VALU_DEP_3)
	v_cvt_f32_u32_e32 v15, v1
	v_cmp_lt_f32_e32 vcc_lo, v5, v16
	v_cndmask_b32_e32 v1, v5, v16, vcc_lo
	s_delay_alu instid0(VALU_DEP_4) | instskip(SKIP_2) | instid1(VALU_DEP_4)
	v_cndmask_b32_e64 v0, v0, 2, vcc_lo
	v_and_b32_e32 v5, 0xffff, v2
	v_lshrrev_b32_e32 v2, 16, v2
	v_cmp_lt_f32_e32 vcc_lo, v1, v15
	s_delay_alu instid0(VALU_DEP_3) | instskip(NEXT) | instid1(VALU_DEP_3)
	v_cvt_f32_u32_e32 v14, v5
	v_cvt_f32_u32_e32 v13, v2
	v_ashrrev_i32_e32 v5, 31, v4
	v_cndmask_b32_e32 v1, v1, v15, vcc_lo
	v_cndmask_b32_e64 v0, v0, 3, vcc_lo
	v_and_b32_e32 v2, 0xffff, v3
	s_delay_alu instid0(VALU_DEP_4) | instskip(NEXT) | instid1(VALU_DEP_4)
	v_lshlrev_b64 v[5:6], 2, v[4:5]
	v_cmp_lt_f32_e32 vcc_lo, v1, v14
	s_delay_alu instid0(VALU_DEP_3) | instskip(SKIP_3) | instid1(VALU_DEP_3)
	v_cvt_f32_u32_e32 v12, v2
	v_lshrrev_b32_e32 v2, 16, v3
	v_cndmask_b32_e32 v1, v1, v14, vcc_lo
	v_cndmask_b32_e64 v0, v0, 4, vcc_lo
	v_cvt_f32_u32_e32 v20, v2
	v_mul_lo_u32 v2, v9, s8
	s_delay_alu instid0(VALU_DEP_4) | instskip(SKIP_2) | instid1(VALU_DEP_2)
	v_cmp_lt_f32_e32 vcc_lo, v1, v13
	v_cndmask_b32_e32 v1, v1, v13, vcc_lo
	v_cndmask_b32_e64 v0, v0, 5, vcc_lo
	v_cmp_lt_f32_e32 vcc_lo, v1, v12
	v_cndmask_b32_e32 v1, v1, v12, vcc_lo
	s_delay_alu instid0(VALU_DEP_3) | instskip(NEXT) | instid1(VALU_DEP_2)
	v_cndmask_b32_e64 v0, v0, 6, vcc_lo
	v_cmp_lt_f32_e32 vcc_lo, v1, v20
	v_cndmask_b32_e32 v10, v1, v20, vcc_lo
	s_delay_alu instid0(VALU_DEP_3) | instskip(SKIP_2) | instid1(VALU_DEP_4)
	v_cndmask_b32_e64 v19, v0, 7, vcc_lo
	v_add_co_u32 v5, vcc_lo, s12, v5
	v_add_co_ci_u32_e32 v6, vcc_lo, s13, v6, vcc_lo
	v_sub_f32_e32 v11, v10, v10
	s_delay_alu instid0(VALU_DEP_4) | instskip(SKIP_1) | instid1(VALU_DEP_3)
	v_cmp_le_i32_e32 vcc_lo, s9, v19
	v_subrev_nc_u32_e32 v23, s9, v19
	v_mul_f32_e32 v0, 0x3fb8aa3b, v11
	s_delay_alu instid0(VALU_DEP_1) | instskip(SKIP_1) | instid1(VALU_DEP_2)
	v_fma_f32 v1, 0x3fb8aa3b, v11, -v0
	v_rndne_f32_e32 v21, v0
	v_fmac_f32_e32 v1, 0x32a5705f, v11
	s_delay_alu instid0(VALU_DEP_2)
	v_sub_f32_e32 v3, v0, v21
	v_mul_lo_u32 v0, v9, s6
	s_load_b128 s[4:7], s[0:1], 0x20
	v_cvt_i32_f32_e32 v21, v21
	v_cmp_gt_i32_e64 s0, s10, v19
	v_add_f32_e32 v3, v3, v1
	s_delay_alu instid0(VALU_DEP_4) | instskip(NEXT) | instid1(VALU_DEP_2)
	v_ashrrev_i32_e32 v1, 31, v0
	v_exp_f32_e32 v22, v3
	s_delay_alu instid0(VALU_DEP_3) | instskip(SKIP_3) | instid1(VALU_DEP_2)
	s_and_b32 s0, vcc_lo, s0
	v_cmp_ngt_f32_e32 vcc_lo, 0xc2ce8ed0, v11
	v_ashrrev_i32_e32 v3, 31, v2
	v_lshlrev_b64 v[0:1], 2, v[0:1]
	v_lshlrev_b64 v[2:3], 2, v[2:3]
	s_waitcnt_depctr 0xfff
	v_ldexp_f32 v21, v22, v21
	s_delay_alu instid0(VALU_DEP_1)
	v_cndmask_b32_e32 v24, 0, v21, vcc_lo
	s_waitcnt lgkmcnt(0)
	v_add_co_u32 v21, vcc_lo, s4, v0
	v_add_co_ci_u32_e32 v22, vcc_lo, s5, v1, vcc_lo
	s_and_b32 vcc_lo, s15, s0
	s_cmp_eq_u32 s8, 1
	v_cndmask_b32_e32 v25, 8, v23, vcc_lo
	v_cmp_nlt_f32_e32 vcc_lo, 0x42b17218, v11
	v_cndmask_b32_e32 v11, 0x7f800000, v24, vcc_lo
	v_add_co_u32 v23, vcc_lo, s6, v2
	v_add_co_ci_u32_e32 v24, vcc_lo, s7, v3, vcc_lo
	global_store_b32 v[21:22], v25, off
	global_store_b32 v[5:6], v11, off
	;; [unrolled: 1-line block ×3, first 2 shown]
	s_cbranch_scc1 .LBB244_8
; %bb.6:
	v_cmp_ne_u32_e32 vcc_lo, 7, v19
	s_add_i32 s16, s16, s14
	s_add_i32 s3, s8, -1
	v_add3_u32 v7, s16, v8, v7
	v_cndmask_b32_e32 v9, 0xff800000, v20, vcc_lo
	v_cmp_ne_u32_e32 vcc_lo, 6, v19
	v_cndmask_b32_e32 v12, 0xff800000, v12, vcc_lo
	v_cmp_ne_u32_e32 vcc_lo, 5, v19
	;; [unrolled: 2-line block ×7, first 2 shown]
	v_cndmask_b32_e32 v18, 0xff800000, v18, vcc_lo
	v_add_co_u32 v2, vcc_lo, v2, s6
	v_add_co_ci_u32_e32 v3, vcc_lo, s7, v3, vcc_lo
	v_add_co_u32 v19, vcc_lo, v0, s4
	v_add_co_ci_u32_e32 v20, vcc_lo, s5, v1, vcc_lo
	s_delay_alu instid0(VALU_DEP_4) | instskip(NEXT) | instid1(VALU_DEP_4)
	v_add_co_u32 v0, vcc_lo, v2, 4
	v_add_co_ci_u32_e32 v1, vcc_lo, 0, v3, vcc_lo
	s_delay_alu instid0(VALU_DEP_4) | instskip(NEXT) | instid1(VALU_DEP_4)
	v_add_co_u32 v2, vcc_lo, v19, 4
	v_add_co_ci_u32_e32 v3, vcc_lo, 0, v20, vcc_lo
	v_add_co_u32 v5, vcc_lo, v5, 4
	v_add_co_ci_u32_e32 v6, vcc_lo, 0, v6, vcc_lo
.LBB244_7:                              ; =>This Inner Loop Header: Depth=1
	v_cmp_gt_f32_e32 vcc_lo, v17, v18
	s_add_i32 s3, s3, -1
	v_cndmask_b32_e32 v8, v18, v17, vcc_lo
	v_cndmask_b32_e64 v19, 0, 1, vcc_lo
	s_delay_alu instid0(VALU_DEP_2) | instskip(SKIP_1) | instid1(VALU_DEP_3)
	v_cmp_gt_f32_e32 vcc_lo, v16, v8
	v_cndmask_b32_e32 v8, v8, v16, vcc_lo
	v_cndmask_b32_e64 v19, v19, 2, vcc_lo
	s_delay_alu instid0(VALU_DEP_2) | instskip(SKIP_1) | instid1(VALU_DEP_3)
	v_cmp_gt_f32_e32 vcc_lo, v15, v8
	;; [unrolled: 4-line block ×5, first 2 shown]
	v_cndmask_b32_e32 v8, v8, v12, vcc_lo
	v_cndmask_b32_e64 v19, v19, 6, vcc_lo
	s_delay_alu instid0(VALU_DEP_2) | instskip(NEXT) | instid1(VALU_DEP_2)
	v_cmp_gt_f32_e32 vcc_lo, v9, v8
	v_cndmask_b32_e64 v19, v19, 7, vcc_lo
	v_cndmask_b32_e32 v8, v8, v9, vcc_lo
	s_delay_alu instid0(VALU_DEP_2) | instskip(NEXT) | instid1(VALU_DEP_2)
	v_cmp_ne_u32_e64 s1, 7, v19
	v_sub_f32_e32 v8, v8, v10
	v_cmp_le_i32_e32 vcc_lo, s9, v19
	v_cmp_gt_i32_e64 s0, s10, v19
	v_subrev_nc_u32_e32 v21, s9, v19
	v_cndmask_b32_e64 v9, 0xff800000, v9, s1
	v_cmp_ne_u32_e64 s1, 6, v19
	v_mul_f32_e32 v20, 0x3fb8aa3b, v8
	s_and_b32 s0, vcc_lo, s0
	s_delay_alu instid0(SALU_CYCLE_1) | instskip(NEXT) | instid1(VALU_DEP_2)
	s_and_b32 vcc_lo, s15, s0
	v_cndmask_b32_e64 v12, 0xff800000, v12, s1
	v_cmp_ne_u32_e64 s1, 5, v19
	v_rndne_f32_e32 v22, v20
	v_cndmask_b32_e32 v21, 8, v21, vcc_lo
	global_store_b32 v[2:3], v21, off
	global_store_b32 v[0:1], v7, off
	v_cndmask_b32_e64 v13, 0xff800000, v13, s1
	v_cmp_ne_u32_e64 s1, 4, v19
	v_add_co_u32 v0, vcc_lo, v0, 4
	v_add_co_ci_u32_e32 v1, vcc_lo, 0, v1, vcc_lo
	s_delay_alu instid0(VALU_DEP_3) | instskip(SKIP_3) | instid1(VALU_DEP_3)
	v_cndmask_b32_e64 v14, 0xff800000, v14, s1
	v_cmp_ne_u32_e64 s1, 3, v19
	v_add_co_u32 v2, vcc_lo, v2, 4
	v_add_co_ci_u32_e32 v3, vcc_lo, 0, v3, vcc_lo
	v_cndmask_b32_e64 v15, 0xff800000, v15, s1
	v_cmp_ne_u32_e64 s1, 2, v19
	v_cmp_ngt_f32_e32 vcc_lo, 0xc2ce8ed0, v8
	v_add_nc_u32_e32 v7, s14, v7
	s_cmp_eq_u32 s3, 0
	s_delay_alu instid0(VALU_DEP_3) | instskip(SKIP_1) | instid1(VALU_DEP_1)
	v_cndmask_b32_e64 v16, 0xff800000, v16, s1
	v_cmp_ne_u32_e64 s1, 1, v19
	v_cndmask_b32_e64 v17, 0xff800000, v17, s1
	v_cmp_ne_u32_e64 s1, 0, v19
	v_fma_f32 v19, 0x3fb8aa3b, v8, -v20
	v_sub_f32_e32 v20, v20, v22
	v_cvt_i32_f32_e32 v22, v22
	s_delay_alu instid0(VALU_DEP_4) | instskip(NEXT) | instid1(VALU_DEP_4)
	v_cndmask_b32_e64 v18, 0xff800000, v18, s1
	v_fmac_f32_e32 v19, 0x32a5705f, v8
	s_delay_alu instid0(VALU_DEP_1) | instskip(NEXT) | instid1(VALU_DEP_1)
	v_add_f32_e32 v19, v20, v19
	v_exp_f32_e32 v19, v19
	s_waitcnt_depctr 0xfff
	v_ldexp_f32 v19, v19, v22
	s_delay_alu instid0(VALU_DEP_1) | instskip(SKIP_1) | instid1(VALU_DEP_2)
	v_cndmask_b32_e32 v19, 0, v19, vcc_lo
	v_cmp_nlt_f32_e32 vcc_lo, 0x42b17218, v8
	v_cndmask_b32_e32 v8, 0x7f800000, v19, vcc_lo
	global_store_b32 v[5:6], v8, off
	v_add_co_u32 v5, vcc_lo, v5, 4
	v_add_f32_e32 v11, v11, v8
	v_add_co_ci_u32_e32 v6, vcc_lo, 0, v6, vcc_lo
	s_cbranch_scc0 .LBB244_7
.LBB244_8:
	s_delay_alu instid0(VALU_DEP_2)
	v_cmp_neq_f32_e32 vcc_lo, 0, v11
	s_and_b32 exec_lo, exec_lo, vcc_lo
	s_cbranch_execz .LBB244_12
; %bb.9:
	s_and_not1_b32 vcc_lo, exec_lo, s2
	s_cbranch_vccnz .LBB244_12
; %bb.10:
	s_waitcnt vmcnt(0)
	v_div_scale_f32 v0, null, v11, v11, 1.0
	v_div_scale_f32 v3, vcc_lo, 1.0, v11, 1.0
	s_delay_alu instid0(VALU_DEP_2) | instskip(SKIP_2) | instid1(VALU_DEP_1)
	v_rcp_f32_e32 v1, v0
	s_waitcnt_depctr 0xfff
	v_fma_f32 v2, -v0, v1, 1.0
	v_fmac_f32_e32 v1, v2, v1
	s_delay_alu instid0(VALU_DEP_1) | instskip(NEXT) | instid1(VALU_DEP_1)
	v_mul_f32_e32 v2, v3, v1
	v_fma_f32 v5, -v0, v2, v3
	s_delay_alu instid0(VALU_DEP_1) | instskip(SKIP_1) | instid1(VALU_DEP_2)
	v_fmac_f32_e32 v2, v5, v1
	v_ashrrev_i32_e32 v5, 31, v4
	v_fma_f32 v0, -v0, v2, v3
	s_delay_alu instid0(VALU_DEP_1) | instskip(NEXT) | instid1(VALU_DEP_3)
	v_div_fmas_f32 v2, v0, v1, v2
	v_lshlrev_b64 v[0:1], 2, v[4:5]
	s_delay_alu instid0(VALU_DEP_2) | instskip(NEXT) | instid1(VALU_DEP_2)
	v_div_fixup_f32 v2, v2, v11, 1.0
	v_add_co_u32 v0, vcc_lo, s12, v0
	s_delay_alu instid0(VALU_DEP_3)
	v_add_co_ci_u32_e32 v1, vcc_lo, s13, v1, vcc_lo
.LBB244_11:                             ; =>This Inner Loop Header: Depth=1
	global_load_b32 v3, v[0:1], off
	s_add_i32 s8, s8, -1
	s_delay_alu instid0(SALU_CYCLE_1)
	s_cmp_lg_u32 s8, 0
	s_waitcnt vmcnt(0)
	v_mul_f32_e32 v3, v2, v3
	global_store_b32 v[0:1], v3, off
	v_add_co_u32 v0, vcc_lo, v0, 4
	v_add_co_ci_u32_e32 v1, vcc_lo, 0, v1, vcc_lo
	s_cbranch_scc1 .LBB244_11
.LBB244_12:
	s_nop 0
	s_sendmsg sendmsg(MSG_DEALLOC_VGPRS)
	s_endpgm
	.section	.rodata,"a",@progbits
	.p2align	6, 0x0
	.amdhsa_kernel _ZN4vllm3moe17topkGatingSoftmaxItLi8ELi8ELi8ELi16ELb1ELi4ELNS0_23SharedExpertScoringFuncE1EEEvPKT_PKbPfiPiS9_iiiiii
		.amdhsa_group_segment_fixed_size 0
		.amdhsa_private_segment_fixed_size 0
		.amdhsa_kernarg_size 72
		.amdhsa_user_sgpr_count 15
		.amdhsa_user_sgpr_dispatch_ptr 0
		.amdhsa_user_sgpr_queue_ptr 0
		.amdhsa_user_sgpr_kernarg_segment_ptr 1
		.amdhsa_user_sgpr_dispatch_id 0
		.amdhsa_user_sgpr_private_segment_size 0
		.amdhsa_wavefront_size32 1
		.amdhsa_uses_dynamic_stack 0
		.amdhsa_enable_private_segment 0
		.amdhsa_system_sgpr_workgroup_id_x 1
		.amdhsa_system_sgpr_workgroup_id_y 0
		.amdhsa_system_sgpr_workgroup_id_z 0
		.amdhsa_system_sgpr_workgroup_info 0
		.amdhsa_system_vgpr_workitem_id 1
		.amdhsa_next_free_vgpr 34
		.amdhsa_next_free_sgpr 17
		.amdhsa_reserve_vcc 1
		.amdhsa_float_round_mode_32 0
		.amdhsa_float_round_mode_16_64 0
		.amdhsa_float_denorm_mode_32 3
		.amdhsa_float_denorm_mode_16_64 3
		.amdhsa_dx10_clamp 1
		.amdhsa_ieee_mode 1
		.amdhsa_fp16_overflow 0
		.amdhsa_workgroup_processor_mode 1
		.amdhsa_memory_ordered 1
		.amdhsa_forward_progress 0
		.amdhsa_shared_vgpr_count 0
		.amdhsa_exception_fp_ieee_invalid_op 0
		.amdhsa_exception_fp_denorm_src 0
		.amdhsa_exception_fp_ieee_div_zero 0
		.amdhsa_exception_fp_ieee_overflow 0
		.amdhsa_exception_fp_ieee_underflow 0
		.amdhsa_exception_fp_ieee_inexact 0
		.amdhsa_exception_int_div_zero 0
	.end_amdhsa_kernel
	.section	.text._ZN4vllm3moe17topkGatingSoftmaxItLi8ELi8ELi8ELi16ELb1ELi4ELNS0_23SharedExpertScoringFuncE1EEEvPKT_PKbPfiPiS9_iiiiii,"axG",@progbits,_ZN4vllm3moe17topkGatingSoftmaxItLi8ELi8ELi8ELi16ELb1ELi4ELNS0_23SharedExpertScoringFuncE1EEEvPKT_PKbPfiPiS9_iiiiii,comdat
.Lfunc_end244:
	.size	_ZN4vllm3moe17topkGatingSoftmaxItLi8ELi8ELi8ELi16ELb1ELi4ELNS0_23SharedExpertScoringFuncE1EEEvPKT_PKbPfiPiS9_iiiiii, .Lfunc_end244-_ZN4vllm3moe17topkGatingSoftmaxItLi8ELi8ELi8ELi16ELb1ELi4ELNS0_23SharedExpertScoringFuncE1EEEvPKT_PKbPfiPiS9_iiiiii
                                        ; -- End function
	.section	.AMDGPU.csdata,"",@progbits
; Kernel info:
; codeLenInByte = 2548
; NumSgprs: 19
; NumVgprs: 34
; ScratchSize: 0
; MemoryBound: 0
; FloatMode: 240
; IeeeMode: 1
; LDSByteSize: 0 bytes/workgroup (compile time only)
; SGPRBlocks: 2
; VGPRBlocks: 4
; NumSGPRsForWavesPerEU: 19
; NumVGPRsForWavesPerEU: 34
; Occupancy: 16
; WaveLimiterHint : 0
; COMPUTE_PGM_RSRC2:SCRATCH_EN: 0
; COMPUTE_PGM_RSRC2:USER_SGPR: 15
; COMPUTE_PGM_RSRC2:TRAP_HANDLER: 0
; COMPUTE_PGM_RSRC2:TGID_X_EN: 1
; COMPUTE_PGM_RSRC2:TGID_Y_EN: 0
; COMPUTE_PGM_RSRC2:TGID_Z_EN: 0
; COMPUTE_PGM_RSRC2:TIDIG_COMP_CNT: 1
	.section	.text._ZN4vllm3moe17topkGatingSoftmaxItLi8ELi8ELi8ELi16ELb0ELi4ELNS0_23SharedExpertScoringFuncE1EEEvPKT_PKbPfiPiS9_iiiiii,"axG",@progbits,_ZN4vllm3moe17topkGatingSoftmaxItLi8ELi8ELi8ELi16ELb0ELi4ELNS0_23SharedExpertScoringFuncE1EEEvPKT_PKbPfiPiS9_iiiiii,comdat
	.protected	_ZN4vllm3moe17topkGatingSoftmaxItLi8ELi8ELi8ELi16ELb0ELi4ELNS0_23SharedExpertScoringFuncE1EEEvPKT_PKbPfiPiS9_iiiiii ; -- Begin function _ZN4vllm3moe17topkGatingSoftmaxItLi8ELi8ELi8ELi16ELb0ELi4ELNS0_23SharedExpertScoringFuncE1EEEvPKT_PKbPfiPiS9_iiiiii
	.globl	_ZN4vllm3moe17topkGatingSoftmaxItLi8ELi8ELi8ELi16ELb0ELi4ELNS0_23SharedExpertScoringFuncE1EEEvPKT_PKbPfiPiS9_iiiiii
	.p2align	8
	.type	_ZN4vllm3moe17topkGatingSoftmaxItLi8ELi8ELi8ELi16ELb0ELi4ELNS0_23SharedExpertScoringFuncE1EEEvPKT_PKbPfiPiS9_iiiiii,@function
_ZN4vllm3moe17topkGatingSoftmaxItLi8ELi8ELi8ELi16ELb0ELi4ELNS0_23SharedExpertScoringFuncE1EEEvPKT_PKbPfiPiS9_iiiiii: ; @_ZN4vllm3moe17topkGatingSoftmaxItLi8ELi8ELi8ELi16ELb0ELi4ELNS0_23SharedExpertScoringFuncE1EEEvPKT_PKbPfiPiS9_iiiiii
; %bb.0:
	s_load_b32 s20, s[0:1], 0x18
	v_bfe_u32 v1, v0, 10, 10
	v_and_b32_e32 v18, 0x3ff, v0
	s_lshl_b32 s22, s15, 8
	s_mov_b32 s2, exec_lo
	s_delay_alu instid0(VALU_DEP_2) | instskip(NEXT) | instid1(VALU_DEP_1)
	v_lshlrev_b32_e32 v17, 5, v1
	v_add3_u32 v19, v17, v18, s22
	s_waitcnt lgkmcnt(0)
	s_delay_alu instid0(VALU_DEP_1)
	v_cmpx_gt_i32_e64 s20, v19
	s_cbranch_execz .LBB245_12
; %bb.1:
	s_clause 0x1
	s_load_b128 s[4:7], s[0:1], 0x0
	s_load_b64 s[16:17], s[0:1], 0x10
	s_waitcnt lgkmcnt(0)
	s_cmp_eq_u64 s[6:7], 0
	s_cbranch_scc1 .LBB245_3
; %bb.2:
	v_ashrrev_i32_e32 v1, 31, v19
	v_add_co_u32 v0, vcc_lo, s6, v19
	s_delay_alu instid0(VALU_DEP_2) | instskip(SKIP_3) | instid1(VALU_DEP_1)
	v_add_co_ci_u32_e32 v1, vcc_lo, s7, v1, vcc_lo
	global_load_u8 v0, v[0:1], off
	s_waitcnt vmcnt(0)
	v_and_b32_e32 v0, 1, v0
	v_cmp_eq_u32_e32 vcc_lo, 1, v0
	s_xor_b32 s2, vcc_lo, -1
	s_delay_alu instid0(SALU_CYCLE_1)
	s_or_not1_b32 s21, s2, exec_lo
	s_branch .LBB245_4
.LBB245_3:
	s_mov_b32 s21, -1
.LBB245_4:
	s_clause 0x1
	s_load_b64 s[18:19], s[0:1], 0x40
	s_load_b128 s[12:15], s[0:1], 0x30
	s_waitcnt lgkmcnt(0)
	v_mul_lo_u32 v0, v19, s19
	s_cmp_gt_i32 s12, 0
	s_delay_alu instid0(VALU_DEP_1) | instskip(NEXT) | instid1(VALU_DEP_1)
	v_ashrrev_i32_e32 v1, 31, v0
	v_lshlrev_b64 v[0:1], 1, v[0:1]
	s_delay_alu instid0(VALU_DEP_1) | instskip(NEXT) | instid1(VALU_DEP_2)
	v_add_co_u32 v5, vcc_lo, s4, v0
	v_add_co_ci_u32_e32 v6, vcc_lo, s5, v1, vcc_lo
	v_mul_lo_u32 v0, v19, s15
	s_cselect_b32 s15, -1, 0
	s_cmp_lt_i32 s12, 1
	s_clause 0x1
	global_load_b128 v[1:4], v[5:6], off
	global_load_b64 v[5:6], v[5:6], off offset:16
	v_add_nc_u32_e32 v7, s12, v0
	s_delay_alu instid0(VALU_DEP_1) | instskip(NEXT) | instid1(VALU_DEP_1)
	v_ashrrev_i32_e32 v8, 31, v7
	v_lshlrev_b64 v[7:8], 2, v[7:8]
	s_delay_alu instid0(VALU_DEP_1) | instskip(NEXT) | instid1(VALU_DEP_2)
	v_add_co_u32 v20, vcc_lo, s16, v7
	v_add_co_ci_u32_e32 v21, vcc_lo, s17, v8, vcc_lo
	s_waitcnt vmcnt(1)
	v_lshrrev_b32_e32 v8, 16, v2
	s_waitcnt vmcnt(0)
	v_lshrrev_b32_e32 v14, 16, v6
	v_and_b32_e32 v6, 0xffff, v6
	v_lshrrev_b32_e32 v7, 16, v1
	v_lshrrev_b32_e32 v11, 16, v5
	v_cvt_f32_u32_e32 v10, v8
	v_cvt_f32_u32_e32 v16, v14
	;; [unrolled: 1-line block ×3, first 2 shown]
	v_and_b32_e32 v5, 0xffff, v5
	v_cvt_f32_u32_e32 v12, v7
	v_lshrrev_b32_e32 v9, 16, v3
	v_lshrrev_b32_e32 v15, 16, v4
	v_mul_f32_e32 v8, 0xbfb8aa3b, v6
	s_delay_alu instid0(VALU_DEP_3) | instskip(NEXT) | instid1(VALU_DEP_2)
	v_cvt_f32_u32_e32 v9, v9
	v_rndne_f32_e32 v27, v8
	v_and_b32_e32 v1, 0xffff, v1
	v_fma_f32 v26, 0xbfb8aa3b, v6, -v8
	s_delay_alu instid0(VALU_DEP_3) | instskip(NEXT) | instid1(VALU_DEP_3)
	v_sub_f32_e32 v8, v8, v27
	v_cvt_f32_u32_e32 v13, v1
	v_cvt_f32_u32_e32 v1, v5
	s_delay_alu instid0(VALU_DEP_4) | instskip(SKIP_3) | instid1(VALU_DEP_4)
	v_fmac_f32_e32 v26, 0xb2a5705f, v6
	v_cvt_f32_u32_e32 v5, v11
	v_mul_f32_e32 v11, 0xbfb8aa3b, v16
	v_cmp_lt_f32_e64 s3, v13, v12
	v_dual_mul_f32 v7, 0xbfb8aa3b, v1 :: v_dual_add_f32 v8, v8, v26
	v_cmp_nlt_f32_e32 vcc_lo, 0x42ce8ed0, v1
	s_delay_alu instid0(VALU_DEP_4) | instskip(SKIP_1) | instid1(VALU_DEP_4)
	v_fma_f32 v28, 0xbfb8aa3b, v16, -v11
	v_rndne_f32_e32 v29, v11
	v_rndne_f32_e32 v23, v7
	v_and_b32_e32 v2, 0xffff, v2
	v_fma_f32 v22, 0xbfb8aa3b, v1, -v7
	s_delay_alu instid0(VALU_DEP_4) | instskip(NEXT) | instid1(VALU_DEP_4)
	v_dual_sub_f32 v11, v11, v29 :: v_dual_and_b32 v4, 0xffff, v4
	v_sub_f32_e32 v7, v7, v23
	s_delay_alu instid0(VALU_DEP_4) | instskip(SKIP_4) | instid1(VALU_DEP_4)
	v_cvt_f32_u32_e32 v14, v2
	v_mul_f32_e32 v2, 0xbfb8aa3b, v5
	v_fmac_f32_e32 v22, 0xb2a5705f, v1
	v_fmac_f32_e32 v28, 0xb2a5705f, v16
	v_cvt_i32_f32_e32 v26, v29
	v_fma_f32 v24, 0xbfb8aa3b, v5, -v2
	v_rndne_f32_e32 v25, v2
	v_and_b32_e32 v3, 0xffff, v3
	v_add_f32_e32 v7, v7, v22
	v_add_f32_e32 v22, v11, v28
	v_fmac_f32_e32 v24, 0xb2a5705f, v5
	v_sub_f32_e32 v2, v2, v25
	v_cvt_f32_u32_e32 v11, v3
	v_exp_f32_e32 v3, v7
	v_cvt_f32_u32_e32 v7, v15
	v_cvt_i32_f32_e32 v15, v23
	v_add_f32_e32 v2, v2, v24
	v_exp_f32_e32 v24, v8
	v_cvt_i32_f32_e32 v23, v25
	v_exp_f32_e32 v22, v22
	v_cvt_i32_f32_e32 v25, v27
	v_exp_f32_e32 v2, v2
	v_cvt_f32_u32_e32 v8, v4
	v_ldexp_f32 v3, v3, v15
	s_delay_alu instid0(TRANS32_DEP_3) | instid1(VALU_DEP_3)
	v_ldexp_f32 v4, v24, v25
	s_delay_alu instid0(VALU_DEP_2) | instskip(SKIP_1) | instid1(TRANS32_DEP_2)
	v_cndmask_b32_e32 v3, 0, v3, vcc_lo
	v_cmp_nlt_f32_e32 vcc_lo, 0x42ce8ed0, v5
	v_ldexp_f32 v15, v22, v26
	s_delay_alu instid0(TRANS32_DEP_1) | instskip(NEXT) | instid1(VALU_DEP_1)
	v_ldexp_f32 v2, v2, v23
	v_cndmask_b32_e32 v2, 0, v2, vcc_lo
	v_cmp_nlt_f32_e32 vcc_lo, 0x42ce8ed0, v6
	v_cndmask_b32_e32 v4, 0, v4, vcc_lo
	v_cmp_nlt_f32_e32 vcc_lo, 0x42ce8ed0, v16
	v_cndmask_b32_e32 v15, 0, v15, vcc_lo
	v_cmp_ngt_f32_e32 vcc_lo, 0xc2b17218, v1
	v_cndmask_b32_e32 v1, 0x7f800000, v3, vcc_lo
	v_cmp_ngt_f32_e32 vcc_lo, 0xc2b17218, v5
	v_cndmask_b32_e64 v5, v13, v12, s3
	s_delay_alu instid0(VALU_DEP_3) | instskip(NEXT) | instid1(VALU_DEP_2)
	v_dual_add_f32 v1, 1.0, v1 :: v_dual_cndmask_b32 v2, 0x7f800000, v2
	v_cmp_lt_f32_e64 s2, v5, v14
	v_cmp_ngt_f32_e32 vcc_lo, 0xc2b17218, v6
	s_delay_alu instid0(VALU_DEP_3) | instskip(NEXT) | instid1(VALU_DEP_3)
	v_div_scale_f32 v6, null, v1, v1, 1.0
	v_cndmask_b32_e64 v5, v5, v14, s2
	v_dual_cndmask_b32 v3, 0x7f800000, v4 :: v_dual_add_f32 v2, 1.0, v2
	v_cmp_ngt_f32_e32 vcc_lo, 0xc2b17218, v16
	s_delay_alu instid0(VALU_DEP_4) | instskip(NEXT) | instid1(VALU_DEP_3)
	v_rcp_f32_e32 v23, v6
	v_cmp_lt_f32_e64 s6, v5, v10
	s_delay_alu instid0(VALU_DEP_3) | instskip(SKIP_2) | instid1(VALU_DEP_4)
	v_add_f32_e32 v3, 1.0, v3
	v_div_scale_f32 v28, s8, 1.0, v2, 1.0
	v_cndmask_b32_e32 v4, 0x7f800000, v15, vcc_lo
	v_cndmask_b32_e64 v5, v5, v10, s6
	v_div_scale_f32 v15, null, v2, v2, 1.0
	v_div_scale_f32 v16, null, v3, v3, 1.0
	s_delay_alu instid0(VALU_DEP_3) | instskip(SKIP_1) | instid1(VALU_DEP_4)
	v_cmp_lt_f32_e64 s7, v5, v11
	v_add_f32_e32 v4, 1.0, v4
	v_rcp_f32_e32 v24, v15
	s_delay_alu instid0(VALU_DEP_3) | instskip(SKIP_4) | instid1(VALU_DEP_3)
	v_rcp_f32_e32 v25, v16
	v_fma_f32 v30, -v6, v23, 1.0
	v_cndmask_b32_e64 v5, v5, v11, s7
	v_div_scale_f32 v22, null, v4, v4, 1.0
	v_div_scale_f32 v27, vcc_lo, 1.0, v1, 1.0
	v_cmp_lt_f32_e64 s4, v5, v9
	s_delay_alu instid0(VALU_DEP_3) | instskip(NEXT) | instid1(TRANS32_DEP_3)
	v_rcp_f32_e32 v26, v22
	v_fma_f32 v31, -v15, v24, 1.0
	s_delay_alu instid0(TRANS32_DEP_2) | instskip(SKIP_3) | instid1(VALU_DEP_3)
	v_fma_f32 v32, -v16, v25, 1.0
	v_fmac_f32_e32 v23, v30, v23
	v_cndmask_b32_e64 v5, v5, v9, s4
	v_div_scale_f32 v29, s9, 1.0, v3, 1.0
	v_dual_fmac_f32 v25, v32, v25 :: v_dual_mul_f32 v30, v27, v23
	s_delay_alu instid0(VALU_DEP_3) | instskip(NEXT) | instid1(TRANS32_DEP_1)
	v_cmp_lt_f32_e64 s5, v5, v8
	v_fma_f32 v33, -v22, v26, 1.0
	v_div_scale_f32 v34, s10, 1.0, v4, 1.0
	s_delay_alu instid0(VALU_DEP_4) | instskip(NEXT) | instid1(VALU_DEP_4)
	v_mul_f32_e32 v32, v29, v25
	v_cndmask_b32_e64 v5, v5, v8, s5
	v_fmac_f32_e32 v24, v31, v24
	v_fma_f32 v35, -v6, v30, v27
	s_delay_alu instid0(VALU_DEP_4) | instskip(NEXT) | instid1(VALU_DEP_2)
	v_fma_f32 v37, -v16, v32, v29
	v_dual_mul_f32 v31, v28, v24 :: v_dual_fmac_f32 v30, v35, v23
	s_delay_alu instid0(VALU_DEP_2) | instskip(NEXT) | instid1(VALU_DEP_2)
	v_fmac_f32_e32 v32, v37, v25
	v_fma_f32 v36, -v15, v31, v28
	v_fmac_f32_e32 v26, v33, v26
	s_delay_alu instid0(VALU_DEP_4) | instskip(NEXT) | instid1(VALU_DEP_4)
	v_fma_f32 v6, -v6, v30, v27
	v_fma_f32 v16, -v16, v32, v29
	s_delay_alu instid0(VALU_DEP_4) | instskip(NEXT) | instid1(VALU_DEP_4)
	v_fmac_f32_e32 v31, v36, v24
	v_mul_f32_e32 v33, v34, v26
	s_delay_alu instid0(VALU_DEP_4) | instskip(SKIP_1) | instid1(VALU_DEP_3)
	v_div_fmas_f32 v6, v6, v23, v30
	s_mov_b32 vcc_lo, s8
	v_fma_f32 v15, -v15, v31, v28
	s_delay_alu instid0(VALU_DEP_3) | instskip(NEXT) | instid1(VALU_DEP_3)
	v_fma_f32 v38, -v22, v33, v34
	v_div_fixup_f32 v1, v6, v1, 1.0
	s_delay_alu instid0(VALU_DEP_3) | instskip(NEXT) | instid1(VALU_DEP_3)
	v_div_fmas_f32 v23, v15, v24, v31
	v_fmac_f32_e32 v33, v38, v26
	s_mov_b32 vcc_lo, s9
	v_div_fmas_f32 v16, v16, v25, v32
	s_mov_b32 vcc_lo, s10
	s_delay_alu instid0(VALU_DEP_2) | instskip(SKIP_1) | instid1(VALU_DEP_3)
	v_fma_f32 v22, -v22, v33, v34
	v_div_fixup_f32 v2, v23, v2, 1.0
	v_div_fixup_f32 v3, v16, v3, 1.0
	v_mov_b32_e32 v16, 0
	s_delay_alu instid0(VALU_DEP_4) | instskip(SKIP_1) | instid1(VALU_DEP_2)
	v_div_fmas_f32 v22, v22, v26, v33
	v_cmp_lt_f32_e32 vcc_lo, v5, v7
	v_div_fixup_f32 v4, v22, v4, 1.0
	v_cndmask_b32_e32 v15, v5, v7, vcc_lo
	global_store_b128 v[20:21], v[1:4], off
	s_cbranch_scc1 .LBB245_8
; %bb.5:
	v_cndmask_b32_e64 v1, 0, 1, s3
	v_sub_f32_e32 v16, v15, v15
	s_load_b128 s[8:11], s[0:1], 0x20
	v_mul_lo_u32 v2, v19, s18
	v_mul_lo_u32 v20, v19, s12
	v_cndmask_b32_e64 v1, v1, 2, s2
	v_mul_f32_e32 v3, 0x3fb8aa3b, v16
	s_delay_alu instid0(VALU_DEP_2) | instskip(NEXT) | instid1(VALU_DEP_2)
	v_cndmask_b32_e64 v1, v1, 3, s6
	v_rndne_f32_e32 v4, v3
	v_fma_f32 v5, 0x3fb8aa3b, v16, -v3
	s_delay_alu instid0(VALU_DEP_3) | instskip(NEXT) | instid1(VALU_DEP_3)
	v_cndmask_b32_e64 v6, v1, 4, s7
	v_sub_f32_e32 v3, v3, v4
	s_delay_alu instid0(VALU_DEP_3) | instskip(SKIP_3) | instid1(VALU_DEP_4)
	v_fmac_f32_e32 v5, 0x32a5705f, v16
	v_ashrrev_i32_e32 v1, 31, v0
	v_cvt_i32_f32_e32 v4, v4
	v_cndmask_b32_e64 v21, v6, 5, s4
	v_add_f32_e32 v22, v3, v5
	s_delay_alu instid0(VALU_DEP_4) | instskip(SKIP_1) | instid1(VALU_DEP_4)
	v_lshlrev_b64 v[5:6], 2, v[0:1]
	v_ashrrev_i32_e32 v3, 31, v2
	v_cndmask_b32_e64 v1, v21, 6, s5
	v_ashrrev_i32_e32 v21, 31, v20
	v_exp_f32_e32 v22, v22
	s_delay_alu instid0(VALU_DEP_2) | instskip(SKIP_2) | instid1(VALU_DEP_3)
	v_cndmask_b32_e64 v24, v1, 7, vcc_lo
	v_add_co_u32 v5, vcc_lo, s16, v5
	v_add_co_ci_u32_e32 v6, vcc_lo, s17, v6, vcc_lo
	v_cmp_le_i32_e32 vcc_lo, s13, v24
	v_cmp_gt_i32_e64 s0, s14, v24
	v_lshlrev_b64 v[1:2], 2, v[2:3]
	s_delay_alu instid0(TRANS32_DEP_1)
	v_ldexp_f32 v22, v22, v4
	v_lshlrev_b64 v[3:4], 2, v[20:21]
	v_subrev_nc_u32_e32 v23, s13, v24
	s_and_b32 s0, vcc_lo, s0
	v_cmp_ngt_f32_e32 vcc_lo, 0xc2ce8ed0, v16
	v_cndmask_b32_e32 v22, 0, v22, vcc_lo
	s_waitcnt lgkmcnt(0)
	v_add_co_u32 v20, vcc_lo, s8, v1
	v_add_co_ci_u32_e32 v21, vcc_lo, s9, v2, vcc_lo
	s_and_b32 vcc_lo, s21, s0
	s_cmp_eq_u32 s12, 1
	v_cndmask_b32_e32 v25, 8, v23, vcc_lo
	v_cmp_nlt_f32_e32 vcc_lo, 0x42b17218, v16
	v_cndmask_b32_e32 v16, 0x7f800000, v22, vcc_lo
	v_add_co_u32 v22, vcc_lo, s10, v3
	v_add_co_ci_u32_e32 v23, vcc_lo, s11, v4, vcc_lo
	v_cmp_ne_u32_e32 vcc_lo, 7, v24
	global_store_b32 v[5:6], v16, off
	global_store_b32 v[20:21], v25, off
	;; [unrolled: 1-line block ×3, first 2 shown]
	v_cndmask_b32_e32 v7, 0xff800000, v7, vcc_lo
	v_cmp_ne_u32_e32 vcc_lo, 6, v24
	v_cndmask_b32_e32 v8, 0xff800000, v8, vcc_lo
	v_cmp_ne_u32_e32 vcc_lo, 5, v24
	;; [unrolled: 2-line block ×7, first 2 shown]
	v_cndmask_b32_e32 v13, 0xff800000, v13, vcc_lo
	s_cbranch_scc1 .LBB245_8
; %bb.6:
	v_add_co_u32 v3, vcc_lo, v3, s10
	v_add_co_ci_u32_e32 v4, vcc_lo, s11, v4, vcc_lo
	v_add_co_u32 v19, vcc_lo, v1, s8
	v_add_co_ci_u32_e32 v20, vcc_lo, s9, v2, vcc_lo
	s_delay_alu instid0(VALU_DEP_4) | instskip(NEXT) | instid1(VALU_DEP_4)
	v_add_co_u32 v1, vcc_lo, v3, 4
	v_add_co_ci_u32_e32 v2, vcc_lo, 0, v4, vcc_lo
	s_delay_alu instid0(VALU_DEP_4) | instskip(NEXT) | instid1(VALU_DEP_4)
	v_add_co_u32 v3, vcc_lo, v19, 4
	v_add_co_ci_u32_e32 v4, vcc_lo, 0, v20, vcc_lo
	s_add_i32 s22, s22, s20
	v_add_co_u32 v5, vcc_lo, v5, 4
	v_add_co_ci_u32_e32 v6, vcc_lo, 0, v6, vcc_lo
	v_add3_u32 v17, s22, v18, v17
	s_add_i32 s2, s12, -1
.LBB245_7:                              ; =>This Inner Loop Header: Depth=1
	v_cmp_gt_f32_e32 vcc_lo, v12, v13
	s_add_i32 s2, s2, -1
	v_cndmask_b32_e32 v18, v13, v12, vcc_lo
	v_cndmask_b32_e64 v19, 0, 1, vcc_lo
	s_delay_alu instid0(VALU_DEP_2) | instskip(SKIP_1) | instid1(VALU_DEP_3)
	v_cmp_gt_f32_e32 vcc_lo, v14, v18
	v_cndmask_b32_e32 v18, v18, v14, vcc_lo
	v_cndmask_b32_e64 v19, v19, 2, vcc_lo
	s_delay_alu instid0(VALU_DEP_2) | instskip(SKIP_1) | instid1(VALU_DEP_3)
	v_cmp_gt_f32_e32 vcc_lo, v10, v18
	;; [unrolled: 4-line block ×5, first 2 shown]
	v_cndmask_b32_e32 v18, v18, v8, vcc_lo
	v_cndmask_b32_e64 v19, v19, 6, vcc_lo
	s_delay_alu instid0(VALU_DEP_2) | instskip(NEXT) | instid1(VALU_DEP_2)
	v_cmp_gt_f32_e32 vcc_lo, v7, v18
	v_cndmask_b32_e64 v19, v19, 7, vcc_lo
	v_cndmask_b32_e32 v18, v18, v7, vcc_lo
	s_delay_alu instid0(VALU_DEP_2) | instskip(NEXT) | instid1(VALU_DEP_2)
	v_cmp_ne_u32_e64 s1, 7, v19
	v_sub_f32_e32 v18, v18, v15
	v_cmp_le_i32_e32 vcc_lo, s13, v19
	v_cmp_gt_i32_e64 s0, s14, v19
	v_subrev_nc_u32_e32 v21, s13, v19
	v_cndmask_b32_e64 v7, 0xff800000, v7, s1
	v_cmp_ne_u32_e64 s1, 6, v19
	v_mul_f32_e32 v20, 0x3fb8aa3b, v18
	s_and_b32 s0, vcc_lo, s0
	s_delay_alu instid0(SALU_CYCLE_1) | instskip(NEXT) | instid1(VALU_DEP_2)
	s_and_b32 vcc_lo, s21, s0
	v_cndmask_b32_e64 v8, 0xff800000, v8, s1
	v_cmp_ne_u32_e64 s1, 5, v19
	v_rndne_f32_e32 v22, v20
	v_cndmask_b32_e32 v21, 8, v21, vcc_lo
	global_store_b32 v[3:4], v21, off
	global_store_b32 v[1:2], v17, off
	v_cndmask_b32_e64 v9, 0xff800000, v9, s1
	v_cmp_ne_u32_e64 s1, 4, v19
	v_add_co_u32 v1, vcc_lo, v1, 4
	v_add_co_ci_u32_e32 v2, vcc_lo, 0, v2, vcc_lo
	s_delay_alu instid0(VALU_DEP_3) | instskip(SKIP_3) | instid1(VALU_DEP_3)
	v_cndmask_b32_e64 v11, 0xff800000, v11, s1
	v_cmp_ne_u32_e64 s1, 3, v19
	v_add_co_u32 v3, vcc_lo, v3, 4
	v_add_co_ci_u32_e32 v4, vcc_lo, 0, v4, vcc_lo
	v_cndmask_b32_e64 v10, 0xff800000, v10, s1
	v_cmp_ne_u32_e64 s1, 2, v19
	v_cmp_ngt_f32_e32 vcc_lo, 0xc2ce8ed0, v18
	v_add_nc_u32_e32 v17, s20, v17
	s_cmp_eq_u32 s2, 0
	s_delay_alu instid0(VALU_DEP_3) | instskip(SKIP_1) | instid1(VALU_DEP_1)
	v_cndmask_b32_e64 v14, 0xff800000, v14, s1
	v_cmp_ne_u32_e64 s1, 1, v19
	v_cndmask_b32_e64 v12, 0xff800000, v12, s1
	v_cmp_ne_u32_e64 s1, 0, v19
	v_fma_f32 v19, 0x3fb8aa3b, v18, -v20
	v_sub_f32_e32 v20, v20, v22
	v_cvt_i32_f32_e32 v22, v22
	s_delay_alu instid0(VALU_DEP_4) | instskip(NEXT) | instid1(VALU_DEP_4)
	v_cndmask_b32_e64 v13, 0xff800000, v13, s1
	v_fmac_f32_e32 v19, 0x32a5705f, v18
	s_delay_alu instid0(VALU_DEP_1) | instskip(NEXT) | instid1(VALU_DEP_1)
	v_add_f32_e32 v19, v20, v19
	v_exp_f32_e32 v19, v19
	s_waitcnt_depctr 0xfff
	v_ldexp_f32 v19, v19, v22
	s_delay_alu instid0(VALU_DEP_1) | instskip(SKIP_1) | instid1(VALU_DEP_2)
	v_cndmask_b32_e32 v19, 0, v19, vcc_lo
	v_cmp_nlt_f32_e32 vcc_lo, 0x42b17218, v18
	v_cndmask_b32_e32 v18, 0x7f800000, v19, vcc_lo
	global_store_b32 v[5:6], v18, off
	v_add_co_u32 v5, vcc_lo, v5, 4
	v_add_f32_e32 v16, v16, v18
	v_add_co_ci_u32_e32 v6, vcc_lo, 0, v6, vcc_lo
	s_cbranch_scc0 .LBB245_7
.LBB245_8:
	s_delay_alu instid0(VALU_DEP_3) | instskip(NEXT) | instid1(VALU_DEP_2)
	v_sub_f32_e32 v2, v12, v15
	v_sub_f32_e32 v1, v13, v15
	;; [unrolled: 1-line block ×4, first 2 shown]
	s_delay_alu instid0(VALU_DEP_4) | instskip(NEXT) | instid1(VALU_DEP_4)
	v_dual_sub_f32 v7, v7, v15 :: v_dual_mul_f32 v6, 0x3fb8aa3b, v2
	v_mul_f32_e32 v5, 0x3fb8aa3b, v1
	v_cmp_ngt_f32_e32 vcc_lo, 0xc2ce8ed0, v1
	s_delay_alu instid0(VALU_DEP_3) | instskip(NEXT) | instid1(VALU_DEP_3)
	v_fma_f32 v17, 0x3fb8aa3b, v2, -v6
	v_fma_f32 v13, 0x3fb8aa3b, v1, -v5
	v_sub_f32_e32 v4, v10, v15
	v_rndne_f32_e32 v18, v6
	s_delay_alu instid0(VALU_DEP_3) | instskip(NEXT) | instid1(VALU_DEP_3)
	v_fmac_f32_e32 v13, 0x32a5705f, v1
	v_dual_sub_f32 v3, v14, v15 :: v_dual_mul_f32 v12, 0x3fb8aa3b, v4
	v_rndne_f32_e32 v14, v5
	s_delay_alu instid0(VALU_DEP_2) | instskip(NEXT) | instid1(VALU_DEP_3)
	v_mul_f32_e32 v10, 0x3fb8aa3b, v3
	v_fma_f32 v21, 0x3fb8aa3b, v4, -v12
	s_delay_alu instid0(VALU_DEP_3)
	v_sub_f32_e32 v5, v5, v14
	v_sub_f32_e32 v6, v6, v18
	v_rndne_f32_e32 v22, v12
	v_fma_f32 v19, 0x3fb8aa3b, v3, -v10
	v_rndne_f32_e32 v20, v10
	v_add_f32_e32 v5, v5, v13
	v_fmac_f32_e32 v17, 0x32a5705f, v2
	v_cvt_i32_f32_e32 v13, v14
	v_cvt_i32_f32_e32 v14, v18
	v_dual_sub_f32 v10, v10, v20 :: v_dual_fmac_f32 v19, 0x32a5705f, v3
	s_delay_alu instid0(VALU_DEP_4) | instskip(SKIP_2) | instid1(VALU_DEP_2)
	v_add_f32_e32 v6, v6, v17
	v_exp_f32_e32 v5, v5
	v_dual_fmac_f32 v21, 0x32a5705f, v4 :: v_dual_sub_f32 v12, v12, v22
	v_exp_f32_e32 v6, v6
	s_waitcnt_depctr 0xfff
	v_ldexp_f32 v5, v5, v13
	v_add_f32_e32 v10, v10, v19
	v_cvt_i32_f32_e32 v13, v20
	v_ldexp_f32 v6, v6, v14
	s_delay_alu instid0(VALU_DEP_4)
	v_cndmask_b32_e32 v5, 0, v5, vcc_lo
	v_cmp_ngt_f32_e32 vcc_lo, 0xc2ce8ed0, v2
	v_exp_f32_e32 v10, v10
	v_mul_f32_e32 v14, 0x3fb8aa3b, v7
	v_cndmask_b32_e32 v6, 0, v6, vcc_lo
	v_cmp_nlt_f32_e32 vcc_lo, 0x42b17218, v1
	v_cndmask_b32_e32 v1, 0x7f800000, v5, vcc_lo
	v_cmp_nlt_f32_e32 vcc_lo, 0x42b17218, v2
	s_waitcnt_depctr 0xfff
	v_ldexp_f32 v10, v10, v13
	v_cndmask_b32_e32 v2, 0x7f800000, v6, vcc_lo
	v_cmp_ngt_f32_e32 vcc_lo, 0xc2ce8ed0, v3
	v_add_f32_e32 v12, v12, v21
	v_sub_f32_e32 v6, v11, v15
	v_rndne_f32_e32 v15, v14
	v_mul_f32_e32 v11, 0x3fb8aa3b, v8
	v_cndmask_b32_e32 v5, 0, v10, vcc_lo
	v_exp_f32_e32 v12, v12
	v_cvt_i32_f32_e32 v10, v22
	v_cmp_nlt_f32_e32 vcc_lo, 0x42b17218, v3
	v_add_f32_e32 v1, v1, v2
	v_mul_f32_e32 v3, 0x3fb8aa3b, v6
	v_cndmask_b32_e32 v2, 0x7f800000, v5, vcc_lo
	v_cmp_ngt_f32_e32 vcc_lo, 0xc2ce8ed0, v4
	s_delay_alu instid0(TRANS32_DEP_1) | instskip(NEXT) | instid1(VALU_DEP_4)
	v_ldexp_f32 v5, v12, v10
	v_rndne_f32_e32 v10, v3
	s_delay_alu instid0(VALU_DEP_2)
	v_cndmask_b32_e32 v5, 0, v5, vcc_lo
	v_cmp_nlt_f32_e32 vcc_lo, 0x42b17218, v4
	v_add_f32_e32 v1, v1, v2
	v_fma_f32 v2, 0x3fb8aa3b, v6, -v3
	v_sub_f32_e32 v3, v3, v10
	v_cvt_i32_f32_e32 v10, v10
	v_cndmask_b32_e32 v4, 0x7f800000, v5, vcc_lo
	v_cmp_ngt_f32_e32 vcc_lo, 0xc2ce8ed0, v6
	s_delay_alu instid0(VALU_DEP_2) | instskip(NEXT) | instid1(VALU_DEP_1)
	v_dual_fmac_f32 v2, 0x32a5705f, v6 :: v_dual_add_f32 v1, v1, v4
	v_dual_mul_f32 v5, 0x3fb8aa3b, v9 :: v_dual_add_f32 v2, v3, v2
	s_delay_alu instid0(VALU_DEP_1) | instskip(NEXT) | instid1(VALU_DEP_2)
	v_fma_f32 v3, 0x3fb8aa3b, v9, -v5
	v_exp_f32_e32 v2, v2
	v_rndne_f32_e32 v4, v5
	s_waitcnt_depctr 0xfff
	v_ldexp_f32 v2, v2, v10
	v_dual_fmac_f32 v3, 0x32a5705f, v9 :: v_dual_sub_f32 v10, v14, v15
	v_sub_f32_e32 v5, v5, v4
	v_cvt_i32_f32_e32 v4, v4
	s_delay_alu instid0(VALU_DEP_4)
	v_cndmask_b32_e32 v2, 0, v2, vcc_lo
	v_cmp_nlt_f32_e32 vcc_lo, 0x42b17218, v6
	v_fma_f32 v12, 0x3fb8aa3b, v8, -v11
	v_add_f32_e32 v3, v5, v3
	v_rndne_f32_e32 v13, v11
	v_cndmask_b32_e32 v2, 0x7f800000, v2, vcc_lo
	v_cmp_ngt_f32_e32 vcc_lo, 0xc2ce8ed0, v9
	s_delay_alu instid0(VALU_DEP_4) | instskip(NEXT) | instid1(VALU_DEP_2)
	v_exp_f32_e32 v3, v3
	v_dual_fmac_f32 v12, 0x32a5705f, v8 :: v_dual_add_f32 v1, v1, v2
	s_waitcnt_depctr 0xfff
	v_ldexp_f32 v3, v3, v4
	v_cvt_i32_f32_e32 v4, v13
	s_delay_alu instid0(VALU_DEP_2) | instskip(SKIP_1) | instid1(VALU_DEP_2)
	v_cndmask_b32_e32 v3, 0, v3, vcc_lo
	v_cmp_nlt_f32_e32 vcc_lo, 0x42b17218, v9
	v_cndmask_b32_e32 v3, 0x7f800000, v3, vcc_lo
	v_cmp_ngt_f32_e32 vcc_lo, 0xc2ce8ed0, v8
	v_sub_f32_e32 v5, v11, v13
	v_fma_f32 v11, 0x3fb8aa3b, v7, -v14
	s_delay_alu instid0(VALU_DEP_4) | instskip(NEXT) | instid1(VALU_DEP_3)
	v_add_f32_e32 v1, v1, v3
	v_add_f32_e32 v5, v5, v12
	s_delay_alu instid0(VALU_DEP_3) | instskip(NEXT) | instid1(VALU_DEP_2)
	v_fmac_f32_e32 v11, 0x32a5705f, v7
	v_exp_f32_e32 v5, v5
	s_delay_alu instid0(VALU_DEP_1) | instskip(NEXT) | instid1(VALU_DEP_1)
	v_add_f32_e32 v10, v10, v11
	v_exp_f32_e32 v6, v10
	s_waitcnt_depctr 0xfff
	v_ldexp_f32 v2, v5, v4
	v_cvt_i32_f32_e32 v4, v15
	s_delay_alu instid0(VALU_DEP_2) | instskip(SKIP_1) | instid1(VALU_DEP_3)
	v_cndmask_b32_e32 v2, 0, v2, vcc_lo
	v_cmp_nlt_f32_e32 vcc_lo, 0x42b17218, v8
	v_ldexp_f32 v4, v6, v4
	s_delay_alu instid0(VALU_DEP_3) | instskip(SKIP_1) | instid1(VALU_DEP_2)
	v_cndmask_b32_e32 v2, 0x7f800000, v2, vcc_lo
	v_cmp_ngt_f32_e32 vcc_lo, 0xc2ce8ed0, v7
	v_add_f32_e32 v1, v1, v2
	s_delay_alu instid0(VALU_DEP_4) | instskip(SKIP_1) | instid1(VALU_DEP_2)
	v_cndmask_b32_e32 v3, 0, v4, vcc_lo
	v_cmp_nlt_f32_e32 vcc_lo, 0x42b17218, v7
	v_cndmask_b32_e32 v2, 0x7f800000, v3, vcc_lo
	s_delay_alu instid0(VALU_DEP_1) | instskip(NEXT) | instid1(VALU_DEP_1)
	v_add_f32_e32 v1, v1, v2
	v_add_f32_e32 v2, v16, v1
	s_delay_alu instid0(VALU_DEP_1)
	v_cmp_neq_f32_e32 vcc_lo, 0, v2
	s_and_b32 exec_lo, exec_lo, vcc_lo
	s_cbranch_execz .LBB245_12
; %bb.9:
	s_and_not1_b32 vcc_lo, exec_lo, s15
	s_cbranch_vccnz .LBB245_12
; %bb.10:
	v_div_scale_f32 v1, null, v2, v2, 1.0
	v_div_scale_f32 v5, vcc_lo, 1.0, v2, 1.0
	s_delay_alu instid0(VALU_DEP_2) | instskip(SKIP_2) | instid1(VALU_DEP_1)
	v_rcp_f32_e32 v3, v1
	s_waitcnt_depctr 0xfff
	v_fma_f32 v4, -v1, v3, 1.0
	v_fmac_f32_e32 v3, v4, v3
	s_delay_alu instid0(VALU_DEP_1) | instskip(NEXT) | instid1(VALU_DEP_1)
	v_mul_f32_e32 v4, v5, v3
	v_fma_f32 v6, -v1, v4, v5
	s_delay_alu instid0(VALU_DEP_1) | instskip(NEXT) | instid1(VALU_DEP_1)
	v_fmac_f32_e32 v4, v6, v3
	v_fma_f32 v5, -v1, v4, v5
	v_ashrrev_i32_e32 v1, 31, v0
	s_delay_alu instid0(VALU_DEP_2) | instskip(NEXT) | instid1(VALU_DEP_2)
	v_div_fmas_f32 v3, v5, v3, v4
	v_lshlrev_b64 v[0:1], 2, v[0:1]
	s_delay_alu instid0(VALU_DEP_2) | instskip(NEXT) | instid1(VALU_DEP_2)
	v_div_fixup_f32 v2, v3, v2, 1.0
	v_add_co_u32 v0, vcc_lo, s16, v0
	s_delay_alu instid0(VALU_DEP_3)
	v_add_co_ci_u32_e32 v1, vcc_lo, s17, v1, vcc_lo
.LBB245_11:                             ; =>This Inner Loop Header: Depth=1
	global_load_b32 v3, v[0:1], off
	s_add_i32 s12, s12, -1
	s_delay_alu instid0(SALU_CYCLE_1)
	s_cmp_lg_u32 s12, 0
	s_waitcnt vmcnt(0)
	v_mul_f32_e32 v3, v2, v3
	global_store_b32 v[0:1], v3, off
	v_add_co_u32 v0, vcc_lo, v0, 4
	v_add_co_ci_u32_e32 v1, vcc_lo, 0, v1, vcc_lo
	s_cbranch_scc1 .LBB245_11
.LBB245_12:
	s_nop 0
	s_sendmsg sendmsg(MSG_DEALLOC_VGPRS)
	s_endpgm
	.section	.rodata,"a",@progbits
	.p2align	6, 0x0
	.amdhsa_kernel _ZN4vllm3moe17topkGatingSoftmaxItLi8ELi8ELi8ELi16ELb0ELi4ELNS0_23SharedExpertScoringFuncE1EEEvPKT_PKbPfiPiS9_iiiiii
		.amdhsa_group_segment_fixed_size 0
		.amdhsa_private_segment_fixed_size 0
		.amdhsa_kernarg_size 72
		.amdhsa_user_sgpr_count 15
		.amdhsa_user_sgpr_dispatch_ptr 0
		.amdhsa_user_sgpr_queue_ptr 0
		.amdhsa_user_sgpr_kernarg_segment_ptr 1
		.amdhsa_user_sgpr_dispatch_id 0
		.amdhsa_user_sgpr_private_segment_size 0
		.amdhsa_wavefront_size32 1
		.amdhsa_uses_dynamic_stack 0
		.amdhsa_enable_private_segment 0
		.amdhsa_system_sgpr_workgroup_id_x 1
		.amdhsa_system_sgpr_workgroup_id_y 0
		.amdhsa_system_sgpr_workgroup_id_z 0
		.amdhsa_system_sgpr_workgroup_info 0
		.amdhsa_system_vgpr_workitem_id 1
		.amdhsa_next_free_vgpr 39
		.amdhsa_next_free_sgpr 23
		.amdhsa_reserve_vcc 1
		.amdhsa_float_round_mode_32 0
		.amdhsa_float_round_mode_16_64 0
		.amdhsa_float_denorm_mode_32 3
		.amdhsa_float_denorm_mode_16_64 3
		.amdhsa_dx10_clamp 1
		.amdhsa_ieee_mode 1
		.amdhsa_fp16_overflow 0
		.amdhsa_workgroup_processor_mode 1
		.amdhsa_memory_ordered 1
		.amdhsa_forward_progress 0
		.amdhsa_shared_vgpr_count 0
		.amdhsa_exception_fp_ieee_invalid_op 0
		.amdhsa_exception_fp_denorm_src 0
		.amdhsa_exception_fp_ieee_div_zero 0
		.amdhsa_exception_fp_ieee_overflow 0
		.amdhsa_exception_fp_ieee_underflow 0
		.amdhsa_exception_fp_ieee_inexact 0
		.amdhsa_exception_int_div_zero 0
	.end_amdhsa_kernel
	.section	.text._ZN4vllm3moe17topkGatingSoftmaxItLi8ELi8ELi8ELi16ELb0ELi4ELNS0_23SharedExpertScoringFuncE1EEEvPKT_PKbPfiPiS9_iiiiii,"axG",@progbits,_ZN4vllm3moe17topkGatingSoftmaxItLi8ELi8ELi8ELi16ELb0ELi4ELNS0_23SharedExpertScoringFuncE1EEEvPKT_PKbPfiPiS9_iiiiii,comdat
.Lfunc_end245:
	.size	_ZN4vllm3moe17topkGatingSoftmaxItLi8ELi8ELi8ELi16ELb0ELi4ELNS0_23SharedExpertScoringFuncE1EEEvPKT_PKbPfiPiS9_iiiiii, .Lfunc_end245-_ZN4vllm3moe17topkGatingSoftmaxItLi8ELi8ELi8ELi16ELb0ELi4ELNS0_23SharedExpertScoringFuncE1EEEvPKT_PKbPfiPiS9_iiiiii
                                        ; -- End function
	.section	.AMDGPU.csdata,"",@progbits
; Kernel info:
; codeLenInByte = 3400
; NumSgprs: 25
; NumVgprs: 39
; ScratchSize: 0
; MemoryBound: 0
; FloatMode: 240
; IeeeMode: 1
; LDSByteSize: 0 bytes/workgroup (compile time only)
; SGPRBlocks: 3
; VGPRBlocks: 4
; NumSGPRsForWavesPerEU: 25
; NumVGPRsForWavesPerEU: 39
; Occupancy: 16
; WaveLimiterHint : 0
; COMPUTE_PGM_RSRC2:SCRATCH_EN: 0
; COMPUTE_PGM_RSRC2:USER_SGPR: 15
; COMPUTE_PGM_RSRC2:TRAP_HANDLER: 0
; COMPUTE_PGM_RSRC2:TGID_X_EN: 1
; COMPUTE_PGM_RSRC2:TGID_Y_EN: 0
; COMPUTE_PGM_RSRC2:TGID_Z_EN: 0
; COMPUTE_PGM_RSRC2:TIDIG_COMP_CNT: 1
	.section	.text._ZN4vllm3moe17topkGatingSoftmaxItLi8ELi8ELi8ELi16ELb1ELi8ELNS0_23SharedExpertScoringFuncE1EEEvPKT_PKbPfiPiS9_iiiiii,"axG",@progbits,_ZN4vllm3moe17topkGatingSoftmaxItLi8ELi8ELi8ELi16ELb1ELi8ELNS0_23SharedExpertScoringFuncE1EEEvPKT_PKbPfiPiS9_iiiiii,comdat
	.protected	_ZN4vllm3moe17topkGatingSoftmaxItLi8ELi8ELi8ELi16ELb1ELi8ELNS0_23SharedExpertScoringFuncE1EEEvPKT_PKbPfiPiS9_iiiiii ; -- Begin function _ZN4vllm3moe17topkGatingSoftmaxItLi8ELi8ELi8ELi16ELb1ELi8ELNS0_23SharedExpertScoringFuncE1EEEvPKT_PKbPfiPiS9_iiiiii
	.globl	_ZN4vllm3moe17topkGatingSoftmaxItLi8ELi8ELi8ELi16ELb1ELi8ELNS0_23SharedExpertScoringFuncE1EEEvPKT_PKbPfiPiS9_iiiiii
	.p2align	8
	.type	_ZN4vllm3moe17topkGatingSoftmaxItLi8ELi8ELi8ELi16ELb1ELi8ELNS0_23SharedExpertScoringFuncE1EEEvPKT_PKbPfiPiS9_iiiiii,@function
_ZN4vllm3moe17topkGatingSoftmaxItLi8ELi8ELi8ELi16ELb1ELi8ELNS0_23SharedExpertScoringFuncE1EEEvPKT_PKbPfiPiS9_iiiiii: ; @_ZN4vllm3moe17topkGatingSoftmaxItLi8ELi8ELi8ELi16ELb1ELi8ELNS0_23SharedExpertScoringFuncE1EEEvPKT_PKbPfiPiS9_iiiiii
; %bb.0:
	s_load_b32 s9, s[0:1], 0x18
	v_bfe_u32 v1, v0, 10, 10
	v_and_b32_e32 v8, 0x3ff, v0
	s_lshl_b32 s19, s15, 8
	s_mov_b32 s2, exec_lo
	s_delay_alu instid0(VALU_DEP_2) | instskip(NEXT) | instid1(VALU_DEP_1)
	v_lshlrev_b32_e32 v7, 5, v1
	v_add3_u32 v9, v7, v8, s19
	s_waitcnt lgkmcnt(0)
	s_delay_alu instid0(VALU_DEP_1)
	v_cmpx_gt_i32_e64 s9, v9
	s_cbranch_execz .LBB246_12
; %bb.1:
	s_clause 0x1
	s_load_b128 s[4:7], s[0:1], 0x0
	s_load_b64 s[10:11], s[0:1], 0x10
	s_waitcnt lgkmcnt(0)
	s_cmp_eq_u64 s[6:7], 0
	s_cbranch_scc1 .LBB246_3
; %bb.2:
	v_ashrrev_i32_e32 v1, 31, v9
	v_add_co_u32 v0, vcc_lo, s6, v9
	s_delay_alu instid0(VALU_DEP_2) | instskip(SKIP_3) | instid1(VALU_DEP_1)
	v_add_co_ci_u32_e32 v1, vcc_lo, s7, v1, vcc_lo
	global_load_u8 v0, v[0:1], off
	s_waitcnt vmcnt(0)
	v_and_b32_e32 v0, 1, v0
	v_cmp_eq_u32_e32 vcc_lo, 1, v0
	s_xor_b32 s2, vcc_lo, -1
	s_delay_alu instid0(SALU_CYCLE_1)
	s_or_not1_b32 s18, s2, exec_lo
	s_branch .LBB246_4
.LBB246_3:
	s_mov_b32 s18, -1
.LBB246_4:
	s_clause 0x1
	s_load_b64 s[16:17], s[0:1], 0x40
	s_load_b128 s[12:15], s[0:1], 0x30
	s_waitcnt lgkmcnt(0)
	v_mul_lo_u32 v0, v9, s17
	v_mul_lo_u32 v4, v9, s15
	s_cmp_gt_i32 s12, 0
	s_delay_alu instid0(VALU_DEP_2) | instskip(NEXT) | instid1(VALU_DEP_1)
	v_ashrrev_i32_e32 v1, 31, v0
	v_lshlrev_b64 v[0:1], 1, v[0:1]
	s_delay_alu instid0(VALU_DEP_1) | instskip(NEXT) | instid1(VALU_DEP_2)
	v_add_co_u32 v0, vcc_lo, s4, v0
	v_add_co_ci_u32_e32 v1, vcc_lo, s5, v1, vcc_lo
	s_clause 0x1
	global_load_b128 v[10:13], v[0:1], off offset:16
	global_load_b128 v[0:3], v[0:1], off
	s_waitcnt vmcnt(1)
	v_lshrrev_b32_e32 v14, 16, v10
	v_lshrrev_b32_e32 v16, 16, v12
	;; [unrolled: 1-line block ×4, first 2 shown]
	s_delay_alu instid0(VALU_DEP_4) | instskip(NEXT) | instid1(VALU_DEP_4)
	v_cvt_f32_u32_e32 v14, v14
	v_cvt_f32_u32_e32 v16, v16
	s_delay_alu instid0(VALU_DEP_4) | instskip(NEXT) | instid1(VALU_DEP_4)
	v_cvt_f32_u32_e32 v17, v17
	v_cvt_f32_u32_e32 v15, v15
	s_delay_alu instid0(VALU_DEP_4) | instskip(NEXT) | instid1(VALU_DEP_2)
	v_mul_f32_e32 v19, 0xbfb8aa3b, v14
	v_mul_f32_e32 v21, 0xbfb8aa3b, v15
	s_delay_alu instid0(VALU_DEP_2) | instskip(SKIP_2) | instid1(VALU_DEP_4)
	v_rndne_f32_e32 v29, v19
	v_and_b32_e32 v10, 0xffff, v10
	v_fma_f32 v28, 0xbfb8aa3b, v14, -v19
	v_rndne_f32_e32 v33, v21
	s_delay_alu instid0(VALU_DEP_4) | instskip(NEXT) | instid1(VALU_DEP_4)
	v_dual_sub_f32 v19, v19, v29 :: v_dual_and_b32 v12, 0xffff, v12
	v_cvt_f32_u32_e32 v10, v10
	v_add_nc_u32_e32 v5, s12, v4
	v_fma_f32 v32, 0xbfb8aa3b, v15, -v21
	v_sub_f32_e32 v21, v21, v33
	v_cvt_f32_u32_e32 v12, v12
	v_mul_f32_e32 v18, 0xbfb8aa3b, v10
	v_ashrrev_i32_e32 v6, 31, v5
	v_cvt_i32_f32_e32 v29, v29
	v_cvt_i32_f32_e32 v33, v33
	v_mul_f32_e32 v22, 0xbfb8aa3b, v12
	v_rndne_f32_e32 v27, v18
	v_and_b32_e32 v13, 0xffff, v13
	v_fma_f32 v26, 0xbfb8aa3b, v10, -v18
	v_lshlrev_b64 v[5:6], 2, v[5:6]
	v_fma_f32 v34, 0xbfb8aa3b, v12, -v22
	v_sub_f32_e32 v18, v18, v27
	v_cvt_f32_u32_e32 v13, v13
	v_mul_f32_e32 v23, 0xbfb8aa3b, v16
	v_cvt_i32_f32_e32 v27, v27
	v_add_co_u32 v5, vcc_lo, s10, v5
	s_delay_alu instid0(VALU_DEP_4) | instskip(NEXT) | instid1(VALU_DEP_4)
	v_mul_f32_e32 v24, 0xbfb8aa3b, v13
	v_rndne_f32_e32 v37, v23
	v_fma_f32 v36, 0xbfb8aa3b, v16, -v23
	v_fmac_f32_e32 v26, 0xb2a5705f, v10
	v_add_co_ci_u32_e32 v6, vcc_lo, s11, v6, vcc_lo
	s_delay_alu instid0(VALU_DEP_4) | instskip(NEXT) | instid1(VALU_DEP_3)
	v_sub_f32_e32 v23, v23, v37
	v_dual_add_f32 v18, v18, v26 :: v_dual_and_b32 v11, 0xffff, v11
	v_cmp_nlt_f32_e32 vcc_lo, 0x42ce8ed0, v10
	v_rndne_f32_e32 v35, v22
	v_cvt_i32_f32_e32 v37, v37
	s_delay_alu instid0(VALU_DEP_4) | instskip(SKIP_3) | instid1(VALU_DEP_3)
	v_cvt_f32_u32_e32 v11, v11
	v_exp_f32_e32 v18, v18
	v_fma_f32 v38, 0xbfb8aa3b, v13, -v24
	v_rndne_f32_e32 v39, v24
	v_mul_f32_e32 v20, 0xbfb8aa3b, v11
	s_delay_alu instid0(VALU_DEP_2) | instskip(NEXT) | instid1(VALU_DEP_2)
	v_cvt_i32_f32_e32 v26, v39
	v_rndne_f32_e32 v31, v20
	v_mul_f32_e32 v25, 0xbfb8aa3b, v17
	v_fma_f32 v30, 0xbfb8aa3b, v11, -v20
	s_delay_alu instid0(TRANS32_DEP_1) | instskip(NEXT) | instid1(VALU_DEP_4)
	v_ldexp_f32 v18, v18, v27
	v_sub_f32_e32 v20, v20, v31
	s_delay_alu instid0(VALU_DEP_4) | instskip(SKIP_3) | instid1(VALU_DEP_4)
	v_rndne_f32_e32 v41, v25
	v_fmac_f32_e32 v28, 0xb2a5705f, v14
	v_fma_f32 v40, 0xbfb8aa3b, v17, -v25
	v_cvt_i32_f32_e32 v31, v31
	v_dual_cndmask_b32 v18, 0, v18 :: v_dual_sub_f32 v25, v25, v41
	s_delay_alu instid0(VALU_DEP_4) | instskip(SKIP_2) | instid1(VALU_DEP_3)
	v_dual_fmac_f32 v30, 0xb2a5705f, v11 :: v_dual_add_f32 v19, v19, v28
	v_cmp_nlt_f32_e32 vcc_lo, 0x42ce8ed0, v14
	v_cvt_i32_f32_e32 v28, v41
	v_add_f32_e32 v20, v20, v30
	s_delay_alu instid0(VALU_DEP_4) | instskip(NEXT) | instid1(VALU_DEP_1)
	v_exp_f32_e32 v19, v19
	v_exp_f32_e32 v20, v20
	s_waitcnt_depctr 0xfff
	v_ldexp_f32 v19, v19, v29
	v_fmac_f32_e32 v34, 0xb2a5705f, v12
	v_ldexp_f32 v20, v20, v31
	s_delay_alu instid0(VALU_DEP_3) | instskip(SKIP_1) | instid1(VALU_DEP_3)
	v_cndmask_b32_e32 v19, 0, v19, vcc_lo
	v_cmp_nlt_f32_e32 vcc_lo, 0x42ce8ed0, v11
	v_cndmask_b32_e32 v20, 0, v20, vcc_lo
	v_cmp_nlt_f32_e32 vcc_lo, 0x42ce8ed0, v15
	v_fmac_f32_e32 v36, 0xb2a5705f, v16
	s_delay_alu instid0(VALU_DEP_1) | instskip(NEXT) | instid1(VALU_DEP_1)
	v_dual_fmac_f32 v32, 0xb2a5705f, v15 :: v_dual_add_f32 v23, v23, v36
	v_dual_sub_f32 v22, v22, v35 :: v_dual_add_f32 v21, v21, v32
	v_cvt_i32_f32_e32 v35, v35
	s_delay_alu instid0(VALU_DEP_3) | instskip(NEXT) | instid1(VALU_DEP_2)
	v_exp_f32_e32 v23, v23
	v_add_f32_e32 v22, v22, v34
	s_delay_alu instid0(VALU_DEP_3) | instskip(NEXT) | instid1(VALU_DEP_1)
	v_exp_f32_e32 v21, v21
	v_exp_f32_e32 v22, v22
	s_delay_alu instid0(TRANS32_DEP_3) | instskip(SKIP_3) | instid1(VALU_DEP_2)
	v_ldexp_f32 v23, v23, v37
	s_waitcnt_depctr 0xfff
	v_ldexp_f32 v21, v21, v33
	v_ldexp_f32 v22, v22, v35
	v_cndmask_b32_e32 v21, 0, v21, vcc_lo
	v_cmp_nlt_f32_e32 vcc_lo, 0x42ce8ed0, v12
	s_delay_alu instid0(VALU_DEP_3) | instskip(SKIP_2) | instid1(VALU_DEP_1)
	v_cndmask_b32_e32 v22, 0, v22, vcc_lo
	v_cmp_nlt_f32_e32 vcc_lo, 0x42ce8ed0, v16
	v_dual_fmac_f32 v40, 0xb2a5705f, v17 :: v_dual_cndmask_b32 v23, 0, v23
	v_dual_fmac_f32 v38, 0xb2a5705f, v13 :: v_dual_add_f32 v25, v25, v40
	v_cmp_nlt_f32_e32 vcc_lo, 0x42ce8ed0, v13
	s_delay_alu instid0(VALU_DEP_2) | instskip(SKIP_3) | instid1(VALU_DEP_1)
	v_exp_f32_e32 v25, v25
	s_waitcnt_depctr 0xfff
	v_ldexp_f32 v25, v25, v28
	v_sub_f32_e32 v24, v24, v39
	v_add_f32_e32 v24, v24, v38
	s_delay_alu instid0(VALU_DEP_1) | instskip(SKIP_2) | instid1(VALU_DEP_1)
	v_exp_f32_e32 v24, v24
	s_waitcnt_depctr 0xfff
	v_ldexp_f32 v24, v24, v26
	v_cndmask_b32_e32 v24, 0, v24, vcc_lo
	v_cmp_nlt_f32_e32 vcc_lo, 0x42ce8ed0, v17
	v_cndmask_b32_e32 v25, 0, v25, vcc_lo
	v_cmp_ngt_f32_e32 vcc_lo, 0xc2b17218, v10
	v_cndmask_b32_e32 v10, 0x7f800000, v18, vcc_lo
	v_cmp_ngt_f32_e32 vcc_lo, 0xc2b17218, v14
	s_delay_alu instid0(VALU_DEP_2) | instskip(SKIP_4) | instid1(VALU_DEP_2)
	v_add_f32_e32 v10, 1.0, v10
	v_cndmask_b32_e32 v14, 0x7f800000, v19, vcc_lo
	v_cmp_ngt_f32_e32 vcc_lo, 0xc2b17218, v11
	v_cndmask_b32_e32 v11, 0x7f800000, v20, vcc_lo
	v_cmp_ngt_f32_e32 vcc_lo, 0xc2b17218, v15
	v_add_f32_e32 v11, 1.0, v11
	v_cndmask_b32_e32 v15, 0x7f800000, v21, vcc_lo
	v_cmp_ngt_f32_e32 vcc_lo, 0xc2b17218, v12
	s_delay_alu instid0(VALU_DEP_2) | instskip(SKIP_4) | instid1(VALU_DEP_3)
	v_dual_add_f32 v15, 1.0, v15 :: v_dual_cndmask_b32 v12, 0x7f800000, v22
	v_cmp_ngt_f32_e32 vcc_lo, 0xc2b17218, v16
	v_div_scale_f32 v22, null, v11, v11, 1.0
	v_cndmask_b32_e32 v16, 0x7f800000, v23, vcc_lo
	v_cmp_ngt_f32_e32 vcc_lo, 0xc2b17218, v13
	v_rcp_f32_e32 v35, v22
	v_div_scale_f32 v23, s3, 1.0, v11, 1.0
	s_delay_alu instid0(VALU_DEP_3) | instskip(SKIP_3) | instid1(VALU_DEP_4)
	v_add_f32_e32 v19, 1.0, v16
	v_cndmask_b32_e32 v13, 0x7f800000, v24, vcc_lo
	v_div_scale_f32 v24, null, v15, v15, 1.0
	v_cmp_ngt_f32_e32 vcc_lo, 0xc2b17218, v17
	v_div_scale_f32 v28, null, v19, v19, 1.0
	s_delay_alu instid0(VALU_DEP_3) | instskip(NEXT) | instid1(TRANS32_DEP_2)
	v_rcp_f32_e32 v36, v24
	v_fma_f32 v44, -v22, v35, 1.0
	v_cndmask_b32_e32 v17, 0x7f800000, v25, vcc_lo
	s_delay_alu instid0(VALU_DEP_3) | instskip(SKIP_4) | instid1(TRANS32_DEP_2)
	v_rcp_f32_e32 v38, v28
	v_div_scale_f32 v25, s4, 1.0, v15, 1.0
	v_div_scale_f32 v29, s6, 1.0, v19, 1.0
	v_fmac_f32_e32 v35, v44, v35
	v_add_f32_e32 v21, 1.0, v17
	v_fma_f32 v45, -v24, v36, 1.0
	s_waitcnt_depctr 0xfff
	v_fma_f32 v47, -v28, v38, 1.0
	v_div_scale_f32 v32, null, v21, v21, 1.0
	v_fmac_f32_e32 v36, v45, v36
	v_add_f32_e32 v20, 1.0, v13
	v_div_scale_f32 v41, s8, 1.0, v21, 1.0
	s_delay_alu instid0(VALU_DEP_4) | instskip(NEXT) | instid1(VALU_DEP_3)
	v_rcp_f32_e32 v40, v32
	v_mul_f32_e32 v45, v25, v36
	s_delay_alu instid0(VALU_DEP_3) | instskip(SKIP_1) | instid1(VALU_DEP_3)
	v_div_scale_f32 v30, null, v20, v20, 1.0
	v_div_scale_f32 v13, vcc_lo, 1.0, v10, 1.0
	v_fma_f32 v53, -v24, v45, v25
	v_fmac_f32_e32 v38, v47, v38
	v_add_f32_e32 v18, 1.0, v12
	v_rcp_f32_e32 v39, v30
	v_div_scale_f32 v12, null, v10, v10, 1.0
	s_delay_alu instid0(VALU_DEP_3) | instskip(NEXT) | instid1(VALU_DEP_3)
	v_mul_f32_e32 v47, v29, v38
	v_div_scale_f32 v26, null, v18, v18, 1.0
	s_delay_alu instid0(VALU_DEP_3) | instskip(SKIP_1) | instid1(VALU_DEP_3)
	v_rcp_f32_e32 v33, v12
	v_fma_f32 v49, -v32, v40, 1.0
	v_fma_f32 v55, -v28, v47, v29
	s_delay_alu instid0(VALU_DEP_3) | instskip(NEXT) | instid1(TRANS32_DEP_3)
	v_rcp_f32_e32 v37, v26
	v_fma_f32 v48, -v30, v39, 1.0
	v_div_scale_f32 v27, s5, 1.0, v18, 1.0
	v_fmac_f32_e32 v40, v49, v40
	v_div_scale_f32 v31, s7, 1.0, v20, 1.0
	s_delay_alu instid0(VALU_DEP_4) | instskip(NEXT) | instid1(TRANS32_DEP_2)
	v_fmac_f32_e32 v39, v48, v39
	v_fma_f32 v42, -v12, v33, 1.0
	s_delay_alu instid0(VALU_DEP_4) | instskip(NEXT) | instid1(TRANS32_DEP_1)
	v_mul_f32_e32 v49, v41, v40
	v_fma_f32 v46, -v26, v37, 1.0
	s_delay_alu instid0(VALU_DEP_3) | instskip(NEXT) | instid1(VALU_DEP_3)
	v_dual_mul_f32 v48, v31, v39 :: v_dual_fmac_f32 v33, v42, v33
	v_fma_f32 v57, -v32, v49, v41
	s_delay_alu instid0(VALU_DEP_3) | instskip(NEXT) | instid1(VALU_DEP_3)
	v_dual_fmac_f32 v37, v46, v37 :: v_dual_add_f32 v14, 1.0, v14
	v_fma_f32 v56, -v30, v48, v31
	s_delay_alu instid0(VALU_DEP_4) | instskip(NEXT) | instid1(VALU_DEP_3)
	v_mul_f32_e32 v42, v13, v33
	v_mul_f32_e32 v46, v27, v37
	s_delay_alu instid0(VALU_DEP_4) | instskip(SKIP_1) | instid1(VALU_DEP_4)
	v_div_scale_f32 v16, null, v14, v14, 1.0
	v_div_scale_f32 v17, s2, 1.0, v14, 1.0
	v_fma_f32 v50, -v12, v42, v13
	s_delay_alu instid0(VALU_DEP_3) | instskip(SKIP_2) | instid1(VALU_DEP_3)
	v_rcp_f32_e32 v34, v16
	v_fma_f32 v54, -v26, v46, v27
	v_fmac_f32_e32 v48, v56, v39
	v_fmac_f32_e32 v42, v50, v33
	s_delay_alu instid0(VALU_DEP_3) | instskip(NEXT) | instid1(VALU_DEP_2)
	v_fmac_f32_e32 v46, v54, v37
	v_fma_f32 v12, -v12, v42, v13
	s_waitcnt_depctr 0xfff
	v_fma_f32 v43, -v16, v34, 1.0
	v_div_fmas_f32 v12, v12, v33, v42
	s_delay_alu instid0(VALU_DEP_2)
	v_fmac_f32_e32 v34, v43, v34
	s_mov_b32 vcc_lo, s2
	s_cselect_b32 s2, -1, 0
	s_cmp_lt_i32 s12, 1
	v_div_fixup_f32 v12, v12, v10, 1.0
	v_mul_f32_e32 v43, v17, v34
	s_delay_alu instid0(VALU_DEP_1) | instskip(NEXT) | instid1(VALU_DEP_1)
	v_fma_f32 v51, -v16, v43, v17
	v_fmac_f32_e32 v43, v51, v34
	v_fmac_f32_e32 v45, v53, v36
	;; [unrolled: 1-line block ×3, first 2 shown]
	v_dual_mul_f32 v44, v23, v35 :: v_dual_fmac_f32 v49, v57, v40
	s_delay_alu instid0(VALU_DEP_4) | instskip(NEXT) | instid1(VALU_DEP_4)
	v_fma_f32 v13, -v16, v43, v17
	v_fma_f32 v17, -v24, v45, v25
	;; [unrolled: 1-line block ×3, first 2 shown]
	s_delay_alu instid0(VALU_DEP_4) | instskip(SKIP_3) | instid1(VALU_DEP_3)
	v_fma_f32 v52, -v22, v44, v23
	v_fma_f32 v25, -v32, v49, v41
	v_div_fmas_f32 v13, v13, v34, v43
	s_mov_b32 vcc_lo, s3
	v_fmac_f32_e32 v44, v52, v35
	s_delay_alu instid0(VALU_DEP_2) | instskip(NEXT) | instid1(VALU_DEP_2)
	v_div_fixup_f32 v13, v13, v14, 1.0
	v_fma_f32 v16, -v22, v44, v23
	v_fma_f32 v22, -v26, v46, v27
	;; [unrolled: 1-line block ×3, first 2 shown]
	s_delay_alu instid0(VALU_DEP_3) | instskip(SKIP_3) | instid1(VALU_DEP_2)
	v_div_fmas_f32 v16, v16, v35, v44
	s_mov_b32 vcc_lo, s4
	v_div_fmas_f32 v10, v17, v36, v45
	s_mov_b32 vcc_lo, s5
	v_div_fixup_f32 v14, v16, v11, 1.0
	v_div_fmas_f32 v17, v22, v37, v46
	s_mov_b32 vcc_lo, s6
	v_div_fixup_f32 v15, v10, v15, 1.0
	;; [unrolled: 3-line block ×4, first 2 shown]
	v_div_fmas_f32 v23, v25, v40, v49
	v_mov_b32_e32 v11, 0
	v_div_fixup_f32 v18, v22, v20, 1.0
	s_delay_alu instid0(VALU_DEP_3)
	v_div_fixup_f32 v19, v23, v21, 1.0
	s_clause 0x1
	global_store_b128 v[5:6], v[12:15], off
	global_store_b128 v[5:6], v[16:19], off offset:16
	s_cbranch_scc1 .LBB246_8
; %bb.5:
	s_waitcnt vmcnt(0)
	v_lshrrev_b32_e32 v5, 16, v0
	s_load_b128 s[4:7], s[0:1], 0x20
	s_delay_alu instid0(VALU_DEP_1) | instskip(SKIP_1) | instid1(VALU_DEP_1)
	v_cvt_f32_u32_e32 v17, v5
	v_and_b32_e32 v0, 0xffff, v0
	v_cvt_f32_u32_e32 v18, v0
	s_delay_alu instid0(VALU_DEP_1) | instskip(SKIP_3) | instid1(VALU_DEP_2)
	v_cmp_lt_f32_e32 vcc_lo, v18, v17
	v_cndmask_b32_e32 v5, v18, v17, vcc_lo
	v_and_b32_e32 v0, 0xffff, v1
	v_lshrrev_b32_e32 v1, 16, v1
	v_cvt_f32_u32_e32 v16, v0
	v_cndmask_b32_e64 v0, 0, 1, vcc_lo
	s_delay_alu instid0(VALU_DEP_3) | instskip(NEXT) | instid1(VALU_DEP_3)
	v_cvt_f32_u32_e32 v15, v1
	v_cmp_lt_f32_e32 vcc_lo, v5, v16
	v_cndmask_b32_e32 v1, v5, v16, vcc_lo
	s_delay_alu instid0(VALU_DEP_4) | instskip(SKIP_2) | instid1(VALU_DEP_4)
	v_cndmask_b32_e64 v0, v0, 2, vcc_lo
	v_and_b32_e32 v5, 0xffff, v2
	v_lshrrev_b32_e32 v2, 16, v2
	v_cmp_lt_f32_e32 vcc_lo, v1, v15
	s_delay_alu instid0(VALU_DEP_3) | instskip(NEXT) | instid1(VALU_DEP_3)
	v_cvt_f32_u32_e32 v14, v5
	v_cvt_f32_u32_e32 v13, v2
	v_ashrrev_i32_e32 v5, 31, v4
	v_cndmask_b32_e32 v1, v1, v15, vcc_lo
	v_cndmask_b32_e64 v0, v0, 3, vcc_lo
	v_and_b32_e32 v2, 0xffff, v3
	s_delay_alu instid0(VALU_DEP_4) | instskip(NEXT) | instid1(VALU_DEP_4)
	v_lshlrev_b64 v[5:6], 2, v[4:5]
	v_cmp_lt_f32_e32 vcc_lo, v1, v14
	s_delay_alu instid0(VALU_DEP_3) | instskip(SKIP_3) | instid1(VALU_DEP_3)
	v_cvt_f32_u32_e32 v12, v2
	v_lshrrev_b32_e32 v2, 16, v3
	v_cndmask_b32_e32 v1, v1, v14, vcc_lo
	v_cndmask_b32_e64 v0, v0, 4, vcc_lo
	v_cvt_f32_u32_e32 v20, v2
	v_mul_lo_u32 v2, v9, s12
	s_delay_alu instid0(VALU_DEP_4) | instskip(SKIP_2) | instid1(VALU_DEP_2)
	v_cmp_lt_f32_e32 vcc_lo, v1, v13
	v_cndmask_b32_e32 v1, v1, v13, vcc_lo
	v_cndmask_b32_e64 v0, v0, 5, vcc_lo
	v_cmp_lt_f32_e32 vcc_lo, v1, v12
	v_cndmask_b32_e32 v1, v1, v12, vcc_lo
	s_delay_alu instid0(VALU_DEP_3) | instskip(NEXT) | instid1(VALU_DEP_2)
	v_cndmask_b32_e64 v0, v0, 6, vcc_lo
	v_cmp_lt_f32_e32 vcc_lo, v1, v20
	v_cndmask_b32_e32 v10, v1, v20, vcc_lo
	s_delay_alu instid0(VALU_DEP_3) | instskip(SKIP_2) | instid1(VALU_DEP_4)
	v_cndmask_b32_e64 v19, v0, 7, vcc_lo
	v_add_co_u32 v5, vcc_lo, s10, v5
	v_add_co_ci_u32_e32 v6, vcc_lo, s11, v6, vcc_lo
	v_sub_f32_e32 v11, v10, v10
	s_delay_alu instid0(VALU_DEP_4) | instskip(SKIP_2) | instid1(VALU_DEP_4)
	v_cmp_le_i32_e32 vcc_lo, s13, v19
	v_cmp_gt_i32_e64 s0, s14, v19
	v_subrev_nc_u32_e32 v23, s13, v19
	v_mul_f32_e32 v0, 0x3fb8aa3b, v11
	s_delay_alu instid0(VALU_DEP_3) | instskip(SKIP_1) | instid1(VALU_DEP_2)
	s_and_b32 s0, vcc_lo, s0
	v_cmp_ngt_f32_e32 vcc_lo, 0xc2ce8ed0, v11
	v_fma_f32 v1, 0x3fb8aa3b, v11, -v0
	v_rndne_f32_e32 v21, v0
	s_delay_alu instid0(VALU_DEP_2) | instskip(NEXT) | instid1(VALU_DEP_2)
	v_fmac_f32_e32 v1, 0x32a5705f, v11
	v_sub_f32_e32 v3, v0, v21
	v_mul_lo_u32 v0, v9, s16
	v_cvt_i32_f32_e32 v21, v21
	s_delay_alu instid0(VALU_DEP_3) | instskip(NEXT) | instid1(VALU_DEP_3)
	v_add_f32_e32 v3, v3, v1
	v_ashrrev_i32_e32 v1, 31, v0
	s_delay_alu instid0(VALU_DEP_2) | instskip(SKIP_1) | instid1(VALU_DEP_2)
	v_exp_f32_e32 v22, v3
	v_ashrrev_i32_e32 v3, 31, v2
	v_lshlrev_b64 v[0:1], 2, v[0:1]
	s_delay_alu instid0(VALU_DEP_2) | instskip(SKIP_2) | instid1(VALU_DEP_1)
	v_lshlrev_b64 v[2:3], 2, v[2:3]
	s_waitcnt_depctr 0xfff
	v_ldexp_f32 v21, v22, v21
	v_cndmask_b32_e32 v24, 0, v21, vcc_lo
	s_waitcnt lgkmcnt(0)
	v_add_co_u32 v21, vcc_lo, s4, v0
	v_add_co_ci_u32_e32 v22, vcc_lo, s5, v1, vcc_lo
	s_and_b32 vcc_lo, s18, s0
	s_cmp_eq_u32 s12, 1
	v_cndmask_b32_e32 v25, 8, v23, vcc_lo
	v_cmp_nlt_f32_e32 vcc_lo, 0x42b17218, v11
	v_cndmask_b32_e32 v11, 0x7f800000, v24, vcc_lo
	v_add_co_u32 v23, vcc_lo, s6, v2
	v_add_co_ci_u32_e32 v24, vcc_lo, s7, v3, vcc_lo
	global_store_b32 v[21:22], v25, off
	global_store_b32 v[5:6], v11, off
	;; [unrolled: 1-line block ×3, first 2 shown]
	s_cbranch_scc1 .LBB246_8
; %bb.6:
	v_cmp_ne_u32_e32 vcc_lo, 7, v19
	s_add_i32 s19, s19, s9
	s_add_i32 s3, s12, -1
	v_add3_u32 v7, s19, v8, v7
	v_cndmask_b32_e32 v9, 0xff800000, v20, vcc_lo
	v_cmp_ne_u32_e32 vcc_lo, 6, v19
	v_cndmask_b32_e32 v12, 0xff800000, v12, vcc_lo
	v_cmp_ne_u32_e32 vcc_lo, 5, v19
	;; [unrolled: 2-line block ×7, first 2 shown]
	v_cndmask_b32_e32 v18, 0xff800000, v18, vcc_lo
	v_add_co_u32 v2, vcc_lo, v2, s6
	v_add_co_ci_u32_e32 v3, vcc_lo, s7, v3, vcc_lo
	v_add_co_u32 v19, vcc_lo, v0, s4
	v_add_co_ci_u32_e32 v20, vcc_lo, s5, v1, vcc_lo
	s_delay_alu instid0(VALU_DEP_4) | instskip(NEXT) | instid1(VALU_DEP_4)
	v_add_co_u32 v0, vcc_lo, v2, 4
	v_add_co_ci_u32_e32 v1, vcc_lo, 0, v3, vcc_lo
	s_delay_alu instid0(VALU_DEP_4) | instskip(NEXT) | instid1(VALU_DEP_4)
	v_add_co_u32 v2, vcc_lo, v19, 4
	v_add_co_ci_u32_e32 v3, vcc_lo, 0, v20, vcc_lo
	v_add_co_u32 v5, vcc_lo, v5, 4
	v_add_co_ci_u32_e32 v6, vcc_lo, 0, v6, vcc_lo
.LBB246_7:                              ; =>This Inner Loop Header: Depth=1
	v_cmp_gt_f32_e32 vcc_lo, v17, v18
	s_add_i32 s3, s3, -1
	v_cndmask_b32_e32 v8, v18, v17, vcc_lo
	v_cndmask_b32_e64 v19, 0, 1, vcc_lo
	s_delay_alu instid0(VALU_DEP_2) | instskip(SKIP_1) | instid1(VALU_DEP_3)
	v_cmp_gt_f32_e32 vcc_lo, v16, v8
	v_cndmask_b32_e32 v8, v8, v16, vcc_lo
	v_cndmask_b32_e64 v19, v19, 2, vcc_lo
	s_delay_alu instid0(VALU_DEP_2) | instskip(SKIP_1) | instid1(VALU_DEP_3)
	v_cmp_gt_f32_e32 vcc_lo, v15, v8
	;; [unrolled: 4-line block ×5, first 2 shown]
	v_cndmask_b32_e32 v8, v8, v12, vcc_lo
	v_cndmask_b32_e64 v19, v19, 6, vcc_lo
	s_delay_alu instid0(VALU_DEP_2) | instskip(NEXT) | instid1(VALU_DEP_2)
	v_cmp_gt_f32_e32 vcc_lo, v9, v8
	v_cndmask_b32_e64 v19, v19, 7, vcc_lo
	v_cndmask_b32_e32 v8, v8, v9, vcc_lo
	s_delay_alu instid0(VALU_DEP_2) | instskip(NEXT) | instid1(VALU_DEP_2)
	v_cmp_ne_u32_e64 s1, 7, v19
	v_sub_f32_e32 v8, v8, v10
	v_cmp_le_i32_e32 vcc_lo, s13, v19
	v_cmp_gt_i32_e64 s0, s14, v19
	v_subrev_nc_u32_e32 v21, s13, v19
	v_cndmask_b32_e64 v9, 0xff800000, v9, s1
	v_cmp_ne_u32_e64 s1, 6, v19
	v_mul_f32_e32 v20, 0x3fb8aa3b, v8
	s_and_b32 s0, vcc_lo, s0
	s_delay_alu instid0(SALU_CYCLE_1) | instskip(NEXT) | instid1(VALU_DEP_2)
	s_and_b32 vcc_lo, s18, s0
	v_cndmask_b32_e64 v12, 0xff800000, v12, s1
	v_cmp_ne_u32_e64 s1, 5, v19
	v_rndne_f32_e32 v22, v20
	v_cndmask_b32_e32 v21, 8, v21, vcc_lo
	global_store_b32 v[2:3], v21, off
	global_store_b32 v[0:1], v7, off
	v_cndmask_b32_e64 v13, 0xff800000, v13, s1
	v_cmp_ne_u32_e64 s1, 4, v19
	v_add_co_u32 v0, vcc_lo, v0, 4
	v_add_co_ci_u32_e32 v1, vcc_lo, 0, v1, vcc_lo
	s_delay_alu instid0(VALU_DEP_3) | instskip(SKIP_3) | instid1(VALU_DEP_3)
	v_cndmask_b32_e64 v14, 0xff800000, v14, s1
	v_cmp_ne_u32_e64 s1, 3, v19
	v_add_co_u32 v2, vcc_lo, v2, 4
	v_add_co_ci_u32_e32 v3, vcc_lo, 0, v3, vcc_lo
	v_cndmask_b32_e64 v15, 0xff800000, v15, s1
	v_cmp_ne_u32_e64 s1, 2, v19
	v_cmp_ngt_f32_e32 vcc_lo, 0xc2ce8ed0, v8
	v_add_nc_u32_e32 v7, s9, v7
	s_cmp_eq_u32 s3, 0
	s_delay_alu instid0(VALU_DEP_3) | instskip(SKIP_1) | instid1(VALU_DEP_1)
	v_cndmask_b32_e64 v16, 0xff800000, v16, s1
	v_cmp_ne_u32_e64 s1, 1, v19
	v_cndmask_b32_e64 v17, 0xff800000, v17, s1
	v_cmp_ne_u32_e64 s1, 0, v19
	v_fma_f32 v19, 0x3fb8aa3b, v8, -v20
	v_sub_f32_e32 v20, v20, v22
	v_cvt_i32_f32_e32 v22, v22
	s_delay_alu instid0(VALU_DEP_4) | instskip(NEXT) | instid1(VALU_DEP_4)
	v_cndmask_b32_e64 v18, 0xff800000, v18, s1
	v_fmac_f32_e32 v19, 0x32a5705f, v8
	s_delay_alu instid0(VALU_DEP_1) | instskip(NEXT) | instid1(VALU_DEP_1)
	v_add_f32_e32 v19, v20, v19
	v_exp_f32_e32 v19, v19
	s_waitcnt_depctr 0xfff
	v_ldexp_f32 v19, v19, v22
	s_delay_alu instid0(VALU_DEP_1) | instskip(SKIP_1) | instid1(VALU_DEP_2)
	v_cndmask_b32_e32 v19, 0, v19, vcc_lo
	v_cmp_nlt_f32_e32 vcc_lo, 0x42b17218, v8
	v_cndmask_b32_e32 v8, 0x7f800000, v19, vcc_lo
	global_store_b32 v[5:6], v8, off
	v_add_co_u32 v5, vcc_lo, v5, 4
	v_add_f32_e32 v11, v11, v8
	v_add_co_ci_u32_e32 v6, vcc_lo, 0, v6, vcc_lo
	s_cbranch_scc0 .LBB246_7
.LBB246_8:
	s_delay_alu instid0(VALU_DEP_2)
	v_cmp_neq_f32_e32 vcc_lo, 0, v11
	s_and_b32 exec_lo, exec_lo, vcc_lo
	s_cbranch_execz .LBB246_12
; %bb.9:
	s_and_not1_b32 vcc_lo, exec_lo, s2
	s_cbranch_vccnz .LBB246_12
; %bb.10:
	s_waitcnt vmcnt(0)
	v_div_scale_f32 v0, null, v11, v11, 1.0
	v_div_scale_f32 v3, vcc_lo, 1.0, v11, 1.0
	s_delay_alu instid0(VALU_DEP_2) | instskip(SKIP_2) | instid1(VALU_DEP_1)
	v_rcp_f32_e32 v1, v0
	s_waitcnt_depctr 0xfff
	v_fma_f32 v2, -v0, v1, 1.0
	v_fmac_f32_e32 v1, v2, v1
	s_delay_alu instid0(VALU_DEP_1) | instskip(NEXT) | instid1(VALU_DEP_1)
	v_mul_f32_e32 v2, v3, v1
	v_fma_f32 v5, -v0, v2, v3
	s_delay_alu instid0(VALU_DEP_1) | instskip(SKIP_1) | instid1(VALU_DEP_2)
	v_fmac_f32_e32 v2, v5, v1
	v_ashrrev_i32_e32 v5, 31, v4
	v_fma_f32 v0, -v0, v2, v3
	s_delay_alu instid0(VALU_DEP_1) | instskip(NEXT) | instid1(VALU_DEP_3)
	v_div_fmas_f32 v2, v0, v1, v2
	v_lshlrev_b64 v[0:1], 2, v[4:5]
	s_delay_alu instid0(VALU_DEP_2) | instskip(NEXT) | instid1(VALU_DEP_2)
	v_div_fixup_f32 v2, v2, v11, 1.0
	v_add_co_u32 v0, vcc_lo, s10, v0
	s_delay_alu instid0(VALU_DEP_3)
	v_add_co_ci_u32_e32 v1, vcc_lo, s11, v1, vcc_lo
.LBB246_11:                             ; =>This Inner Loop Header: Depth=1
	global_load_b32 v3, v[0:1], off
	s_add_i32 s12, s12, -1
	s_delay_alu instid0(SALU_CYCLE_1)
	s_cmp_lg_u32 s12, 0
	s_waitcnt vmcnt(0)
	v_mul_f32_e32 v3, v2, v3
	global_store_b32 v[0:1], v3, off
	v_add_co_u32 v0, vcc_lo, v0, 4
	v_add_co_ci_u32_e32 v1, vcc_lo, 0, v1, vcc_lo
	s_cbranch_scc1 .LBB246_11
.LBB246_12:
	s_nop 0
	s_sendmsg sendmsg(MSG_DEALLOC_VGPRS)
	s_endpgm
	.section	.rodata,"a",@progbits
	.p2align	6, 0x0
	.amdhsa_kernel _ZN4vllm3moe17topkGatingSoftmaxItLi8ELi8ELi8ELi16ELb1ELi8ELNS0_23SharedExpertScoringFuncE1EEEvPKT_PKbPfiPiS9_iiiiii
		.amdhsa_group_segment_fixed_size 0
		.amdhsa_private_segment_fixed_size 0
		.amdhsa_kernarg_size 72
		.amdhsa_user_sgpr_count 15
		.amdhsa_user_sgpr_dispatch_ptr 0
		.amdhsa_user_sgpr_queue_ptr 0
		.amdhsa_user_sgpr_kernarg_segment_ptr 1
		.amdhsa_user_sgpr_dispatch_id 0
		.amdhsa_user_sgpr_private_segment_size 0
		.amdhsa_wavefront_size32 1
		.amdhsa_uses_dynamic_stack 0
		.amdhsa_enable_private_segment 0
		.amdhsa_system_sgpr_workgroup_id_x 1
		.amdhsa_system_sgpr_workgroup_id_y 0
		.amdhsa_system_sgpr_workgroup_id_z 0
		.amdhsa_system_sgpr_workgroup_info 0
		.amdhsa_system_vgpr_workitem_id 1
		.amdhsa_next_free_vgpr 58
		.amdhsa_next_free_sgpr 20
		.amdhsa_reserve_vcc 1
		.amdhsa_float_round_mode_32 0
		.amdhsa_float_round_mode_16_64 0
		.amdhsa_float_denorm_mode_32 3
		.amdhsa_float_denorm_mode_16_64 3
		.amdhsa_dx10_clamp 1
		.amdhsa_ieee_mode 1
		.amdhsa_fp16_overflow 0
		.amdhsa_workgroup_processor_mode 1
		.amdhsa_memory_ordered 1
		.amdhsa_forward_progress 0
		.amdhsa_shared_vgpr_count 0
		.amdhsa_exception_fp_ieee_invalid_op 0
		.amdhsa_exception_fp_denorm_src 0
		.amdhsa_exception_fp_ieee_div_zero 0
		.amdhsa_exception_fp_ieee_overflow 0
		.amdhsa_exception_fp_ieee_underflow 0
		.amdhsa_exception_fp_ieee_inexact 0
		.amdhsa_exception_int_div_zero 0
	.end_amdhsa_kernel
	.section	.text._ZN4vllm3moe17topkGatingSoftmaxItLi8ELi8ELi8ELi16ELb1ELi8ELNS0_23SharedExpertScoringFuncE1EEEvPKT_PKbPfiPiS9_iiiiii,"axG",@progbits,_ZN4vllm3moe17topkGatingSoftmaxItLi8ELi8ELi8ELi16ELb1ELi8ELNS0_23SharedExpertScoringFuncE1EEEvPKT_PKbPfiPiS9_iiiiii,comdat
.Lfunc_end246:
	.size	_ZN4vllm3moe17topkGatingSoftmaxItLi8ELi8ELi8ELi16ELb1ELi8ELNS0_23SharedExpertScoringFuncE1EEEvPKT_PKbPfiPiS9_iiiiii, .Lfunc_end246-_ZN4vllm3moe17topkGatingSoftmaxItLi8ELi8ELi8ELi16ELb1ELi8ELNS0_23SharedExpertScoringFuncE1EEEvPKT_PKbPfiPiS9_iiiiii
                                        ; -- End function
	.section	.AMDGPU.csdata,"",@progbits
; Kernel info:
; codeLenInByte = 3352
; NumSgprs: 22
; NumVgprs: 58
; ScratchSize: 0
; MemoryBound: 0
; FloatMode: 240
; IeeeMode: 1
; LDSByteSize: 0 bytes/workgroup (compile time only)
; SGPRBlocks: 2
; VGPRBlocks: 7
; NumSGPRsForWavesPerEU: 22
; NumVGPRsForWavesPerEU: 58
; Occupancy: 16
; WaveLimiterHint : 0
; COMPUTE_PGM_RSRC2:SCRATCH_EN: 0
; COMPUTE_PGM_RSRC2:USER_SGPR: 15
; COMPUTE_PGM_RSRC2:TRAP_HANDLER: 0
; COMPUTE_PGM_RSRC2:TGID_X_EN: 1
; COMPUTE_PGM_RSRC2:TGID_Y_EN: 0
; COMPUTE_PGM_RSRC2:TGID_Z_EN: 0
; COMPUTE_PGM_RSRC2:TIDIG_COMP_CNT: 1
	.section	.text._ZN4vllm3moe17topkGatingSoftmaxItLi8ELi8ELi8ELi16ELb0ELi8ELNS0_23SharedExpertScoringFuncE1EEEvPKT_PKbPfiPiS9_iiiiii,"axG",@progbits,_ZN4vllm3moe17topkGatingSoftmaxItLi8ELi8ELi8ELi16ELb0ELi8ELNS0_23SharedExpertScoringFuncE1EEEvPKT_PKbPfiPiS9_iiiiii,comdat
	.protected	_ZN4vllm3moe17topkGatingSoftmaxItLi8ELi8ELi8ELi16ELb0ELi8ELNS0_23SharedExpertScoringFuncE1EEEvPKT_PKbPfiPiS9_iiiiii ; -- Begin function _ZN4vllm3moe17topkGatingSoftmaxItLi8ELi8ELi8ELi16ELb0ELi8ELNS0_23SharedExpertScoringFuncE1EEEvPKT_PKbPfiPiS9_iiiiii
	.globl	_ZN4vllm3moe17topkGatingSoftmaxItLi8ELi8ELi8ELi16ELb0ELi8ELNS0_23SharedExpertScoringFuncE1EEEvPKT_PKbPfiPiS9_iiiiii
	.p2align	8
	.type	_ZN4vllm3moe17topkGatingSoftmaxItLi8ELi8ELi8ELi16ELb0ELi8ELNS0_23SharedExpertScoringFuncE1EEEvPKT_PKbPfiPiS9_iiiiii,@function
_ZN4vllm3moe17topkGatingSoftmaxItLi8ELi8ELi8ELi16ELb0ELi8ELNS0_23SharedExpertScoringFuncE1EEEvPKT_PKbPfiPiS9_iiiiii: ; @_ZN4vllm3moe17topkGatingSoftmaxItLi8ELi8ELi8ELi16ELb0ELi8ELNS0_23SharedExpertScoringFuncE1EEEvPKT_PKbPfiPiS9_iiiiii
; %bb.0:
	s_load_b32 s24, s[0:1], 0x18
	v_bfe_u32 v1, v0, 10, 10
	v_and_b32_e32 v13, 0x3ff, v0
	s_lshl_b32 s26, s15, 8
	s_mov_b32 s2, exec_lo
	s_delay_alu instid0(VALU_DEP_2) | instskip(NEXT) | instid1(VALU_DEP_1)
	v_lshlrev_b32_e32 v12, 5, v1
	v_add3_u32 v16, v12, v13, s26
	s_waitcnt lgkmcnt(0)
	s_delay_alu instid0(VALU_DEP_1)
	v_cmpx_gt_i32_e64 s24, v16
	s_cbranch_execz .LBB247_12
; %bb.1:
	s_clause 0x1
	s_load_b128 s[4:7], s[0:1], 0x0
	s_load_b64 s[20:21], s[0:1], 0x10
	s_waitcnt lgkmcnt(0)
	s_cmp_eq_u64 s[6:7], 0
	s_cbranch_scc1 .LBB247_3
; %bb.2:
	v_ashrrev_i32_e32 v1, 31, v16
	v_add_co_u32 v0, vcc_lo, s6, v16
	s_delay_alu instid0(VALU_DEP_2) | instskip(SKIP_3) | instid1(VALU_DEP_1)
	v_add_co_ci_u32_e32 v1, vcc_lo, s7, v1, vcc_lo
	global_load_u8 v0, v[0:1], off
	s_waitcnt vmcnt(0)
	v_and_b32_e32 v0, 1, v0
	v_cmp_eq_u32_e32 vcc_lo, 1, v0
	s_xor_b32 s2, vcc_lo, -1
	s_delay_alu instid0(SALU_CYCLE_1)
	s_or_not1_b32 s25, s2, exec_lo
	s_branch .LBB247_4
.LBB247_3:
	s_mov_b32 s25, -1
.LBB247_4:
	s_clause 0x1
	s_load_b64 s[22:23], s[0:1], 0x40
	s_load_b128 s[16:19], s[0:1], 0x30
	s_waitcnt lgkmcnt(0)
	v_mul_lo_u32 v0, v16, s23
	s_cmp_gt_i32 s16, 0
	s_delay_alu instid0(VALU_DEP_1) | instskip(NEXT) | instid1(VALU_DEP_1)
	v_ashrrev_i32_e32 v1, 31, v0
	v_lshlrev_b64 v[0:1], 1, v[0:1]
	s_delay_alu instid0(VALU_DEP_1) | instskip(NEXT) | instid1(VALU_DEP_2)
	v_add_co_u32 v5, vcc_lo, s4, v0
	v_add_co_ci_u32_e32 v6, vcc_lo, s5, v1, vcc_lo
	v_mul_lo_u32 v0, v16, s19
	s_clause 0x1
	global_load_b128 v[1:4], v[5:6], off
	global_load_b128 v[5:8], v[5:6], off offset:16
	v_add_nc_u32_e32 v9, s16, v0
	s_delay_alu instid0(VALU_DEP_1) | instskip(NEXT) | instid1(VALU_DEP_1)
	v_ashrrev_i32_e32 v10, 31, v9
	v_lshlrev_b64 v[9:10], 2, v[9:10]
	s_delay_alu instid0(VALU_DEP_1) | instskip(NEXT) | instid1(VALU_DEP_2)
	v_add_co_u32 v24, vcc_lo, s20, v9
	v_add_co_ci_u32_e32 v25, vcc_lo, s21, v10, vcc_lo
	s_waitcnt vmcnt(1)
	v_lshrrev_b32_e32 v10, 16, v2
	v_lshrrev_b32_e32 v17, 16, v3
	v_and_b32_e32 v3, 0xffff, v3
	s_waitcnt vmcnt(0)
	v_lshrrev_b32_e32 v21, 16, v6
	v_and_b32_e32 v6, 0xffff, v6
	v_lshrrev_b32_e32 v22, 16, v7
	v_cvt_f32_u32_e32 v11, v10
	v_cvt_f32_u32_e32 v10, v3
	v_lshrrev_b32_e32 v9, 16, v1
	v_cvt_f32_u32_e32 v3, v6
	v_cvt_f32_u32_e32 v6, v22
	v_lshrrev_b32_e32 v19, 16, v4
	v_and_b32_e32 v26, 0xffff, v7
	v_lshrrev_b32_e32 v20, 16, v5
	v_mul_f32_e32 v22, 0xbfb8aa3b, v3
	v_cvt_f32_u32_e32 v15, v9
	v_cvt_f32_u32_e32 v7, v19
	;; [unrolled: 1-line block ×3, first 2 shown]
	v_and_b32_e32 v4, 0xffff, v4
	v_fma_f32 v35, 0xbfb8aa3b, v3, -v22
	v_rndne_f32_e32 v36, v22
	v_and_b32_e32 v1, 0xffff, v1
	v_lshrrev_b32_e32 v23, 16, v8
	s_delay_alu instid0(VALU_DEP_3) | instskip(SKIP_1) | instid1(VALU_DEP_4)
	v_dual_fmac_f32 v35, 0xb2a5705f, v3 :: v_dual_sub_f32 v22, v22, v36
	v_and_b32_e32 v27, 0xffff, v8
	v_cvt_f32_u32_e32 v18, v1
	v_cvt_f32_u32_e32 v8, v4
	;; [unrolled: 1-line block ×3, first 2 shown]
	v_add_f32_e32 v22, v22, v35
	v_cvt_f32_u32_e32 v19, v27
	v_mul_f32_e32 v27, 0xbfb8aa3b, v6
	v_cmp_lt_f32_e64 s2, v18, v15
	v_cvt_i32_f32_e32 v36, v36
	v_exp_f32_e32 v22, v22
	v_mul_f32_e32 v28, 0xbfb8aa3b, v19
	v_fma_f32 v41, 0xbfb8aa3b, v6, -v27
	v_cndmask_b32_e64 v30, v18, v15, s2
	v_rndne_f32_e32 v42, v27
	s_delay_alu instid0(VALU_DEP_4) | instskip(SKIP_3) | instid1(TRANS32_DEP_1)
	v_rndne_f32_e32 v44, v28
	v_and_b32_e32 v5, 0xffff, v5
	v_fma_f32 v43, 0xbfb8aa3b, v19, -v28
	v_fmac_f32_e32 v41, 0xb2a5705f, v6
	v_ldexp_f32 v22, v22, v36
	v_sub_f32_e32 v28, v28, v44
	v_cvt_f32_u32_e32 v1, v5
	v_fmac_f32_e32 v43, 0xb2a5705f, v19
	v_cvt_i32_f32_e32 v44, v44
	s_delay_alu instid0(VALU_DEP_3) | instskip(SKIP_1) | instid1(VALU_DEP_4)
	v_mul_f32_e32 v17, 0xbfb8aa3b, v1
	v_cmp_nlt_f32_e32 vcc_lo, 0x42ce8ed0, v1
	v_add_f32_e32 v28, v28, v43
	s_delay_alu instid0(VALU_DEP_3) | instskip(SKIP_2) | instid1(VALU_DEP_4)
	v_rndne_f32_e32 v32, v17
	v_and_b32_e32 v2, 0xffff, v2
	v_fma_f32 v31, 0xbfb8aa3b, v1, -v17
	v_exp_f32_e32 v28, v28
	s_delay_alu instid0(VALU_DEP_3) | instskip(NEXT) | instid1(VALU_DEP_3)
	v_sub_f32_e32 v17, v17, v32
	v_cvt_f32_u32_e32 v14, v2
	v_cvt_f32_u32_e32 v2, v20
	;; [unrolled: 1-line block ×3, first 2 shown]
	v_mul_f32_e32 v23, 0xbfb8aa3b, v4
	v_fmac_f32_e32 v31, 0xb2a5705f, v1
	v_cmp_lt_f32_e64 s3, v30, v14
	v_cvt_i32_f32_e32 v32, v32
	s_delay_alu instid0(TRANS32_DEP_1) | instskip(SKIP_4) | instid1(VALU_DEP_4)
	v_ldexp_f32 v28, v28, v44
	v_rndne_f32_e32 v38, v23
	v_fma_f32 v37, 0xbfb8aa3b, v4, -v23
	v_cndmask_b32_e64 v30, v30, v14, s3
	v_add_f32_e32 v17, v17, v31
	v_sub_f32_e32 v23, v23, v38
	v_cvt_f32_u32_e32 v5, v26
	s_delay_alu instid0(VALU_DEP_4)
	v_cmp_lt_f32_e64 s7, v30, v11
	v_mul_f32_e32 v21, 0xbfb8aa3b, v2
	v_exp_f32_e32 v17, v17
	v_fmac_f32_e32 v37, 0xb2a5705f, v4
	v_mul_f32_e32 v26, 0xbfb8aa3b, v5
	v_cndmask_b32_e64 v30, v30, v11, s7
	v_fma_f32 v33, 0xbfb8aa3b, v2, -v21
	v_rndne_f32_e32 v34, v21
	v_add_f32_e32 v23, v23, v37
	v_fma_f32 v39, 0xbfb8aa3b, v5, -v26
	v_cmp_lt_f32_e64 s8, v30, v10
	v_fmac_f32_e32 v33, 0xb2a5705f, v2
	v_sub_f32_e32 v21, v21, v34
	v_rndne_f32_e32 v40, v26
	v_cvt_i32_f32_e32 v34, v34
	v_cndmask_b32_e64 v30, v30, v10, s8
	v_ldexp_f32 v31, v17, v32
	v_add_f32_e32 v21, v21, v33
	v_mul_f32_e32 v29, 0xbfb8aa3b, v20
	v_fmac_f32_e32 v39, 0xb2a5705f, v5
	v_cmp_lt_f32_e64 s5, v30, v9
	v_sub_f32_e32 v26, v26, v40
	v_exp_f32_e32 v21, v21
	v_exp_f32_e32 v23, v23
	v_cvt_i32_f32_e32 v38, v38
	v_cndmask_b32_e64 v30, v30, v9, s5
	v_add_f32_e32 v26, v26, v39
	v_cvt_i32_f32_e32 v40, v40
	s_delay_alu instid0(VALU_DEP_3) | instskip(NEXT) | instid1(VALU_DEP_3)
	v_cmp_lt_f32_e64 s6, v30, v8
	v_exp_f32_e32 v26, v26
	s_delay_alu instid0(TRANS32_DEP_3) | instskip(NEXT) | instid1(TRANS32_DEP_2)
	v_ldexp_f32 v21, v21, v34
	v_ldexp_f32 v23, v23, v38
	s_delay_alu instid0(VALU_DEP_3) | instskip(NEXT) | instid1(VALU_DEP_1)
	v_cndmask_b32_e64 v30, v30, v8, s6
	v_cmp_lt_f32_e64 s4, v30, v7
	s_waitcnt_depctr 0xfff
	v_ldexp_f32 v26, v26, v40
	v_cndmask_b32_e64 v17, v30, v7, s4
	v_cndmask_b32_e32 v30, 0, v31, vcc_lo
	v_cmp_nlt_f32_e32 vcc_lo, 0x42ce8ed0, v2
	v_fma_f32 v45, 0xbfb8aa3b, v20, -v29
	v_rndne_f32_e32 v46, v29
	v_cndmask_b32_e32 v21, 0, v21, vcc_lo
	v_sub_f32_e32 v27, v27, v42
	v_cmp_nlt_f32_e32 vcc_lo, 0x42ce8ed0, v3
	v_fmac_f32_e32 v45, 0xb2a5705f, v20
	v_cvt_i32_f32_e32 v42, v42
	s_delay_alu instid0(VALU_DEP_4) | instskip(SKIP_1) | instid1(VALU_DEP_2)
	v_dual_add_f32 v27, v27, v41 :: v_dual_cndmask_b32 v22, 0, v22
	v_cmp_nlt_f32_e32 vcc_lo, 0x42ce8ed0, v4
	v_exp_f32_e32 v27, v27
	v_cndmask_b32_e32 v23, 0, v23, vcc_lo
	v_sub_f32_e32 v29, v29, v46
	v_cmp_nlt_f32_e32 vcc_lo, 0x42ce8ed0, v5
	v_cvt_i32_f32_e32 v46, v46
	s_delay_alu instid0(VALU_DEP_3) | instskip(SKIP_4) | instid1(VALU_DEP_2)
	v_dual_add_f32 v29, v29, v45 :: v_dual_cndmask_b32 v26, 0, v26
	s_waitcnt_depctr 0xfff
	v_ldexp_f32 v27, v27, v42
	v_cmp_nlt_f32_e32 vcc_lo, 0x42ce8ed0, v6
	v_exp_f32_e32 v29, v29
	v_cndmask_b32_e32 v27, 0, v27, vcc_lo
	v_cmp_nlt_f32_e32 vcc_lo, 0x42ce8ed0, v19
	v_cndmask_b32_e32 v28, 0, v28, vcc_lo
	s_waitcnt_depctr 0xfff
	v_ldexp_f32 v29, v29, v46
	v_cmp_nlt_f32_e32 vcc_lo, 0x42ce8ed0, v20
	s_delay_alu instid0(VALU_DEP_2)
	v_cndmask_b32_e32 v29, 0, v29, vcc_lo
	v_cmp_ngt_f32_e32 vcc_lo, 0xc2b17218, v1
	v_cndmask_b32_e32 v1, 0x7f800000, v30, vcc_lo
	v_cmp_ngt_f32_e32 vcc_lo, 0xc2b17218, v2
	;; [unrolled: 2-line block ×3, first 2 shown]
	s_delay_alu instid0(VALU_DEP_2) | instskip(SKIP_2) | instid1(VALU_DEP_3)
	v_add_f32_e32 v2, 1.0, v2
	v_cndmask_b32_e32 v3, 0x7f800000, v22, vcc_lo
	v_cmp_ngt_f32_e32 vcc_lo, 0xc2b17218, v4
	v_div_scale_f32 v22, null, v2, v2, 1.0
	v_cndmask_b32_e32 v4, 0x7f800000, v23, vcc_lo
	v_cmp_ngt_f32_e32 vcc_lo, 0xc2b17218, v5
	s_delay_alu instid0(VALU_DEP_3) | instskip(NEXT) | instid1(VALU_DEP_2)
	v_rcp_f32_e32 v39, v22
	v_dual_add_f32 v4, 1.0, v4 :: v_dual_cndmask_b32 v5, 0x7f800000, v26
	v_cmp_ngt_f32_e32 vcc_lo, 0xc2b17218, v6
	v_div_scale_f32 v26, s9, 1.0, v2, 1.0
	s_delay_alu instid0(VALU_DEP_3) | instskip(SKIP_4) | instid1(VALU_DEP_2)
	v_div_scale_f32 v30, s11, 1.0, v4, 1.0
	v_cndmask_b32_e32 v6, 0x7f800000, v27, vcc_lo
	s_waitcnt_depctr 0xfff
	v_fma_f32 v48, -v22, v39, 1.0
	v_cmp_ngt_f32_e32 vcc_lo, 0xc2b17218, v19
	v_dual_add_f32 v6, 1.0, v6 :: v_dual_fmac_f32 v39, v48, v39
	v_cndmask_b32_e32 v19, 0x7f800000, v28, vcc_lo
	v_cmp_ngt_f32_e32 vcc_lo, 0xc2b17218, v20
	s_delay_alu instid0(VALU_DEP_3) | instskip(SKIP_2) | instid1(VALU_DEP_3)
	v_div_scale_f32 v33, null, v6, v6, 1.0
	v_div_scale_f32 v34, s13, 1.0, v6, 1.0
	v_mul_f32_e32 v48, v26, v39
	v_rcp_f32_e32 v43, v33
	v_add_f32_e32 v19, 1.0, v19
	s_delay_alu instid0(VALU_DEP_2) | instskip(NEXT) | instid1(VALU_DEP_2)
	v_fma_f32 v56, -v22, v48, v26
	v_div_scale_f32 v35, null, v19, v19, 1.0
	v_div_scale_f32 v36, s14, 1.0, v19, 1.0
	s_waitcnt_depctr 0xfff
	v_fma_f32 v52, -v33, v43, 1.0
	v_fmac_f32_e32 v48, v56, v39
	v_rcp_f32_e32 v44, v35
	s_delay_alu instid0(VALU_DEP_2) | instskip(NEXT) | instid1(VALU_DEP_1)
	v_fmac_f32_e32 v43, v52, v43
	v_mul_f32_e32 v52, v34, v43
	s_waitcnt_depctr 0xfff
	v_fma_f32 v53, -v35, v44, 1.0
	v_fma_f32 v60, -v33, v52, v34
	s_delay_alu instid0(VALU_DEP_2) | instskip(NEXT) | instid1(VALU_DEP_2)
	v_fmac_f32_e32 v44, v53, v44
	v_fmac_f32_e32 v52, v60, v43
	v_dual_cndmask_b32 v20, 0x7f800000, v29 :: v_dual_add_f32 v3, 1.0, v3
	v_div_scale_f32 v29, null, v4, v4, 1.0
	s_delay_alu instid0(VALU_DEP_4) | instskip(NEXT) | instid1(VALU_DEP_3)
	v_mul_f32_e32 v53, v36, v44
	v_add_f32_e32 v23, 1.0, v20
	s_delay_alu instid0(VALU_DEP_4) | instskip(NEXT) | instid1(VALU_DEP_4)
	v_div_scale_f32 v27, null, v3, v3, 1.0
	v_rcp_f32_e32 v41, v29
	v_div_scale_f32 v28, s10, 1.0, v3, 1.0
	s_delay_alu instid0(VALU_DEP_3) | instskip(SKIP_2) | instid1(VALU_DEP_2)
	v_div_scale_f32 v37, null, v23, v23, 1.0
	v_div_scale_f32 v46, s15, 1.0, v23, 1.0
	v_rcp_f32_e32 v40, v27
	v_rcp_f32_e32 v45, v37
	v_fma_f32 v61, -v35, v53, v36
	s_delay_alu instid0(TRANS32_DEP_3) | instskip(NEXT) | instid1(VALU_DEP_2)
	v_fma_f32 v50, -v29, v41, 1.0
	v_fmac_f32_e32 v53, v61, v44
	s_delay_alu instid0(VALU_DEP_2) | instskip(SKIP_4) | instid1(VALU_DEP_2)
	v_fmac_f32_e32 v41, v50, v41
	s_waitcnt_depctr 0xfff
	v_fma_f32 v49, -v27, v40, 1.0
	v_fma_f32 v54, -v37, v45, 1.0
	v_mul_f32_e32 v50, v30, v41
	v_dual_fmac_f32 v40, v49, v40 :: v_dual_fmac_f32 v45, v54, v45
	s_delay_alu instid0(VALU_DEP_2) | instskip(NEXT) | instid1(VALU_DEP_2)
	v_fma_f32 v58, -v29, v50, v30
	v_dual_mul_f32 v49, v28, v40 :: v_dual_mul_f32 v54, v46, v45
	s_delay_alu instid0(VALU_DEP_2) | instskip(SKIP_1) | instid1(VALU_DEP_3)
	v_fmac_f32_e32 v50, v58, v41
	v_add_f32_e32 v1, 1.0, v1
	v_fma_f32 v57, -v27, v49, v28
	s_delay_alu instid0(VALU_DEP_4) | instskip(NEXT) | instid1(VALU_DEP_3)
	v_fma_f32 v62, -v37, v54, v46
	v_div_scale_f32 v20, null, v1, v1, 1.0
	s_delay_alu instid0(VALU_DEP_2) | instskip(SKIP_2) | instid1(VALU_DEP_4)
	v_fmac_f32_e32 v54, v62, v45
	v_add_f32_e32 v5, 1.0, v5
	v_div_scale_f32 v21, vcc_lo, 1.0, v1, 1.0
	v_rcp_f32_e32 v38, v20
	v_fmac_f32_e32 v49, v57, v40
	s_delay_alu instid0(VALU_DEP_3) | instskip(SKIP_1) | instid1(VALU_DEP_2)
	v_div_scale_f32 v31, null, v5, v5, 1.0
	v_div_scale_f32 v32, s12, 1.0, v5, 1.0
	v_rcp_f32_e32 v42, v31
	s_waitcnt_depctr 0xfff
	v_fma_f32 v47, -v20, v38, 1.0
	s_delay_alu instid0(VALU_DEP_1) | instskip(SKIP_1) | instid1(VALU_DEP_2)
	v_fmac_f32_e32 v38, v47, v38
	v_fma_f32 v51, -v31, v42, 1.0
	v_mul_f32_e32 v47, v21, v38
	s_delay_alu instid0(VALU_DEP_2) | instskip(NEXT) | instid1(VALU_DEP_2)
	v_fmac_f32_e32 v42, v51, v42
	v_fma_f32 v55, -v20, v47, v21
	s_delay_alu instid0(VALU_DEP_2) | instskip(NEXT) | instid1(VALU_DEP_2)
	v_mul_f32_e32 v51, v32, v42
	v_fmac_f32_e32 v47, v55, v38
	s_delay_alu instid0(VALU_DEP_2) | instskip(NEXT) | instid1(VALU_DEP_2)
	v_fma_f32 v59, -v31, v51, v32
	v_fma_f32 v20, -v20, v47, v21
	;; [unrolled: 1-line block ×3, first 2 shown]
	s_delay_alu instid0(VALU_DEP_3)
	v_fmac_f32_e32 v51, v59, v42
	v_fma_f32 v22, -v27, v49, v28
	v_fma_f32 v26, -v29, v50, v30
	v_div_fmas_f32 v20, v20, v38, v47
	s_mov_b32 vcc_lo, s9
	v_fma_f32 v27, -v31, v51, v32
	v_div_fmas_f32 v21, v21, v39, v48
	s_mov_b32 vcc_lo, s10
	;; [unrolled: 3-line block ×3, first 2 shown]
	v_div_fixup_f32 v1, v20, v1, 1.0
	v_div_fmas_f32 v20, v26, v41, v50
	s_mov_b32 vcc_lo, s12
	v_fma_f32 v29, -v35, v53, v36
	v_div_fixup_f32 v2, v21, v2, 1.0
	v_div_fmas_f32 v21, v27, v42, v51
	s_mov_b32 vcc_lo, s13
	v_fma_f32 v30, -v37, v54, v46
	v_div_fixup_f32 v3, v22, v3, 1.0
	v_div_fmas_f32 v22, v28, v43, v52
	s_mov_b32 vcc_lo, s14
	v_div_fixup_f32 v4, v20, v4, 1.0
	v_div_fmas_f32 v26, v29, v44, v53
	s_mov_b32 vcc_lo, s15
	v_div_fixup_f32 v20, v21, v5, 1.0
	v_div_fmas_f32 v27, v30, v45, v54
	v_div_fixup_f32 v21, v22, v6, 1.0
	v_div_fixup_f32 v22, v26, v19, 1.0
	v_mov_b32_e32 v19, 0
	s_cselect_b32 s12, -1, 0
	v_div_fixup_f32 v23, v27, v23, 1.0
	s_cmp_lt_i32 s16, 1
	s_clause 0x1
	global_store_b128 v[24:25], v[1:4], off
	global_store_b128 v[24:25], v[20:23], off offset:16
	s_cbranch_scc1 .LBB247_8
; %bb.5:
	v_cndmask_b32_e64 v1, 0, 1, s2
	v_sub_f32_e32 v22, v17, v17
	v_mul_lo_u32 v2, v16, s22
	v_mul_lo_u32 v19, v16, s16
	s_delay_alu instid0(VALU_DEP_4) | instskip(NEXT) | instid1(VALU_DEP_4)
	v_cndmask_b32_e64 v1, v1, 2, s3
	v_mul_f32_e32 v3, 0x3fb8aa3b, v22
	s_delay_alu instid0(VALU_DEP_2) | instskip(NEXT) | instid1(VALU_DEP_2)
	v_cndmask_b32_e64 v1, v1, 3, s7
	v_rndne_f32_e32 v4, v3
	v_fma_f32 v5, 0x3fb8aa3b, v22, -v3
	s_delay_alu instid0(VALU_DEP_3) | instskip(NEXT) | instid1(VALU_DEP_3)
	v_cndmask_b32_e64 v6, v1, 4, s8
	v_sub_f32_e32 v3, v3, v4
	s_delay_alu instid0(VALU_DEP_3)
	v_fmac_f32_e32 v5, 0x32a5705f, v22
	v_ashrrev_i32_e32 v1, 31, v0
	s_load_b128 s[8:11], s[0:1], 0x20
	v_cndmask_b32_e64 v20, v6, 5, s5
	v_cvt_i32_f32_e32 v4, v4
	v_add_f32_e32 v21, v3, v5
	v_lshlrev_b64 v[5:6], 2, v[0:1]
	v_ashrrev_i32_e32 v3, 31, v2
	v_cndmask_b32_e64 v1, v20, 6, s6
	v_ashrrev_i32_e32 v20, 31, v19
	v_exp_f32_e32 v21, v21
	s_delay_alu instid0(VALU_DEP_4) | instskip(NEXT) | instid1(VALU_DEP_3)
	v_add_co_u32 v5, vcc_lo, s20, v5
	v_cndmask_b32_e64 v24, v1, 7, s4
	v_add_co_ci_u32_e32 v6, vcc_lo, s21, v6, vcc_lo
	v_lshlrev_b64 v[1:2], 2, v[2:3]
	s_delay_alu instid0(VALU_DEP_3) | instskip(SKIP_1) | instid1(TRANS32_DEP_1)
	v_cmp_le_i32_e32 vcc_lo, s17, v24
	v_cmp_gt_i32_e64 s0, s18, v24
	v_ldexp_f32 v21, v21, v4
	v_lshlrev_b64 v[3:4], 2, v[19:20]
	v_subrev_nc_u32_e32 v19, s17, v24
	s_delay_alu instid0(VALU_DEP_4)
	s_and_b32 s0, vcc_lo, s0
	v_cmp_ngt_f32_e32 vcc_lo, 0xc2ce8ed0, v22
	v_cndmask_b32_e32 v23, 0, v21, vcc_lo
	s_waitcnt lgkmcnt(0)
	v_add_co_u32 v20, vcc_lo, s8, v1
	v_add_co_ci_u32_e32 v21, vcc_lo, s9, v2, vcc_lo
	s_and_b32 vcc_lo, s25, s0
	s_cmp_eq_u32 s16, 1
	v_cndmask_b32_e32 v25, 8, v19, vcc_lo
	v_cmp_nlt_f32_e32 vcc_lo, 0x42b17218, v22
	v_cndmask_b32_e32 v19, 0x7f800000, v23, vcc_lo
	v_add_co_u32 v22, vcc_lo, s10, v3
	v_add_co_ci_u32_e32 v23, vcc_lo, s11, v4, vcc_lo
	v_cmp_ne_u32_e32 vcc_lo, 7, v24
	global_store_b32 v[5:6], v19, off
	global_store_b32 v[20:21], v25, off
	;; [unrolled: 1-line block ×3, first 2 shown]
	v_cndmask_b32_e32 v7, 0xff800000, v7, vcc_lo
	v_cmp_ne_u32_e32 vcc_lo, 6, v24
	v_cndmask_b32_e32 v8, 0xff800000, v8, vcc_lo
	v_cmp_ne_u32_e32 vcc_lo, 5, v24
	;; [unrolled: 2-line block ×7, first 2 shown]
	v_cndmask_b32_e32 v18, 0xff800000, v18, vcc_lo
	s_cbranch_scc1 .LBB247_8
; %bb.6:
	v_add_co_u32 v3, vcc_lo, v3, s10
	v_add_co_ci_u32_e32 v4, vcc_lo, s11, v4, vcc_lo
	v_add_co_u32 v16, vcc_lo, v1, s8
	v_add_co_ci_u32_e32 v20, vcc_lo, s9, v2, vcc_lo
	s_delay_alu instid0(VALU_DEP_4) | instskip(NEXT) | instid1(VALU_DEP_4)
	v_add_co_u32 v1, vcc_lo, v3, 4
	v_add_co_ci_u32_e32 v2, vcc_lo, 0, v4, vcc_lo
	s_delay_alu instid0(VALU_DEP_4) | instskip(NEXT) | instid1(VALU_DEP_4)
	v_add_co_u32 v3, vcc_lo, v16, 4
	v_add_co_ci_u32_e32 v4, vcc_lo, 0, v20, vcc_lo
	s_add_i32 s26, s26, s24
	v_add_co_u32 v5, vcc_lo, v5, 4
	v_add_co_ci_u32_e32 v6, vcc_lo, 0, v6, vcc_lo
	v_add3_u32 v12, s26, v13, v12
	s_add_i32 s2, s16, -1
.LBB247_7:                              ; =>This Inner Loop Header: Depth=1
	v_cmp_gt_f32_e32 vcc_lo, v15, v18
	s_add_i32 s2, s2, -1
	v_cndmask_b32_e32 v13, v18, v15, vcc_lo
	v_cndmask_b32_e64 v16, 0, 1, vcc_lo
	s_delay_alu instid0(VALU_DEP_2) | instskip(SKIP_1) | instid1(VALU_DEP_3)
	v_cmp_gt_f32_e32 vcc_lo, v14, v13
	v_cndmask_b32_e32 v13, v13, v14, vcc_lo
	v_cndmask_b32_e64 v16, v16, 2, vcc_lo
	s_delay_alu instid0(VALU_DEP_2) | instskip(SKIP_1) | instid1(VALU_DEP_3)
	v_cmp_gt_f32_e32 vcc_lo, v11, v13
	;; [unrolled: 4-line block ×5, first 2 shown]
	v_cndmask_b32_e32 v13, v13, v8, vcc_lo
	v_cndmask_b32_e64 v16, v16, 6, vcc_lo
	s_delay_alu instid0(VALU_DEP_2) | instskip(NEXT) | instid1(VALU_DEP_2)
	v_cmp_gt_f32_e32 vcc_lo, v7, v13
	v_cndmask_b32_e64 v16, v16, 7, vcc_lo
	v_cndmask_b32_e32 v13, v13, v7, vcc_lo
	s_delay_alu instid0(VALU_DEP_2) | instskip(NEXT) | instid1(VALU_DEP_2)
	v_cmp_ne_u32_e64 s1, 7, v16
	v_sub_f32_e32 v13, v13, v17
	v_cmp_le_i32_e32 vcc_lo, s17, v16
	v_cmp_gt_i32_e64 s0, s18, v16
	v_subrev_nc_u32_e32 v21, s17, v16
	v_cndmask_b32_e64 v7, 0xff800000, v7, s1
	v_cmp_ne_u32_e64 s1, 6, v16
	v_mul_f32_e32 v20, 0x3fb8aa3b, v13
	s_and_b32 s0, vcc_lo, s0
	s_delay_alu instid0(SALU_CYCLE_1) | instskip(NEXT) | instid1(VALU_DEP_2)
	s_and_b32 vcc_lo, s25, s0
	v_cndmask_b32_e64 v8, 0xff800000, v8, s1
	v_cmp_ne_u32_e64 s1, 5, v16
	v_rndne_f32_e32 v22, v20
	v_cndmask_b32_e32 v21, 8, v21, vcc_lo
	global_store_b32 v[3:4], v21, off
	global_store_b32 v[1:2], v12, off
	v_cndmask_b32_e64 v9, 0xff800000, v9, s1
	v_cmp_ne_u32_e64 s1, 4, v16
	v_add_co_u32 v1, vcc_lo, v1, 4
	v_add_co_ci_u32_e32 v2, vcc_lo, 0, v2, vcc_lo
	s_delay_alu instid0(VALU_DEP_3) | instskip(SKIP_3) | instid1(VALU_DEP_3)
	v_cndmask_b32_e64 v10, 0xff800000, v10, s1
	v_cmp_ne_u32_e64 s1, 3, v16
	v_add_co_u32 v3, vcc_lo, v3, 4
	v_add_co_ci_u32_e32 v4, vcc_lo, 0, v4, vcc_lo
	v_cndmask_b32_e64 v11, 0xff800000, v11, s1
	v_cmp_ne_u32_e64 s1, 2, v16
	v_cmp_ngt_f32_e32 vcc_lo, 0xc2ce8ed0, v13
	v_add_nc_u32_e32 v12, s24, v12
	s_cmp_eq_u32 s2, 0
	s_delay_alu instid0(VALU_DEP_3) | instskip(SKIP_1) | instid1(VALU_DEP_1)
	v_cndmask_b32_e64 v14, 0xff800000, v14, s1
	v_cmp_ne_u32_e64 s1, 1, v16
	v_cndmask_b32_e64 v15, 0xff800000, v15, s1
	v_cmp_ne_u32_e64 s1, 0, v16
	v_fma_f32 v16, 0x3fb8aa3b, v13, -v20
	v_sub_f32_e32 v20, v20, v22
	v_cvt_i32_f32_e32 v22, v22
	s_delay_alu instid0(VALU_DEP_4) | instskip(NEXT) | instid1(VALU_DEP_4)
	v_cndmask_b32_e64 v18, 0xff800000, v18, s1
	v_fmac_f32_e32 v16, 0x32a5705f, v13
	s_delay_alu instid0(VALU_DEP_1) | instskip(NEXT) | instid1(VALU_DEP_1)
	v_add_f32_e32 v16, v20, v16
	v_exp_f32_e32 v16, v16
	s_waitcnt_depctr 0xfff
	v_ldexp_f32 v16, v16, v22
	s_delay_alu instid0(VALU_DEP_1) | instskip(SKIP_1) | instid1(VALU_DEP_2)
	v_cndmask_b32_e32 v16, 0, v16, vcc_lo
	v_cmp_nlt_f32_e32 vcc_lo, 0x42b17218, v13
	v_cndmask_b32_e32 v13, 0x7f800000, v16, vcc_lo
	global_store_b32 v[5:6], v13, off
	v_add_co_u32 v5, vcc_lo, v5, 4
	v_add_f32_e32 v19, v19, v13
	v_add_co_ci_u32_e32 v6, vcc_lo, 0, v6, vcc_lo
	s_cbranch_scc0 .LBB247_7
.LBB247_8:
	v_sub_f32_e32 v4, v11, v17
	v_sub_f32_e32 v3, v14, v17
	;; [unrolled: 1-line block ×5, first 2 shown]
	v_mul_f32_e32 v12, 0x3fb8aa3b, v4
	v_dual_sub_f32 v2, v15, v17 :: v_dual_mul_f32 v11, 0x3fb8aa3b, v3
	v_sub_f32_e32 v1, v18, v17
	s_delay_alu instid0(VALU_DEP_3) | instskip(NEXT) | instid1(VALU_DEP_3)
	v_rndne_f32_e32 v22, v12
	v_mul_f32_e32 v6, 0x3fb8aa3b, v2
	s_delay_alu instid0(VALU_DEP_4) | instskip(SKIP_2) | instid1(VALU_DEP_4)
	v_rndne_f32_e32 v20, v11
	v_fma_f32 v18, 0x3fb8aa3b, v3, -v11
	v_cmp_ngt_f32_e32 vcc_lo, 0xc2ce8ed0, v1
	v_rndne_f32_e32 v16, v6
	v_mul_f32_e32 v5, 0x3fb8aa3b, v1
	v_fma_f32 v15, 0x3fb8aa3b, v2, -v6
	v_dual_sub_f32 v11, v11, v20 :: v_dual_fmac_f32 v18, 0x32a5705f, v3
	s_delay_alu instid0(VALU_DEP_4) | instskip(NEXT) | instid1(VALU_DEP_4)
	v_sub_f32_e32 v6, v6, v16
	v_rndne_f32_e32 v14, v5
	v_fma_f32 v13, 0x3fb8aa3b, v1, -v5
	s_delay_alu instid0(VALU_DEP_2) | instskip(SKIP_1) | instid1(VALU_DEP_3)
	v_sub_f32_e32 v5, v5, v14
	v_fma_f32 v21, 0x3fb8aa3b, v4, -v12
	v_dual_sub_f32 v12, v12, v22 :: v_dual_fmac_f32 v13, 0x32a5705f, v1
	v_add_f32_e32 v11, v11, v18
	s_delay_alu instid0(VALU_DEP_3) | instskip(NEXT) | instid1(VALU_DEP_1)
	v_fmac_f32_e32 v21, 0x32a5705f, v4
	v_dual_fmac_f32 v15, 0x32a5705f, v2 :: v_dual_add_f32 v12, v12, v21
	s_delay_alu instid0(VALU_DEP_1) | instskip(SKIP_2) | instid1(VALU_DEP_4)
	v_dual_add_f32 v5, v5, v13 :: v_dual_add_f32 v6, v6, v15
	v_cvt_i32_f32_e32 v13, v14
	v_cvt_i32_f32_e32 v14, v16
	v_exp_f32_e32 v12, v12
	s_delay_alu instid0(VALU_DEP_3)
	v_exp_f32_e32 v5, v5
	v_exp_f32_e32 v6, v6
	s_waitcnt_depctr 0xfff
	v_ldexp_f32 v5, v5, v13
	v_ldexp_f32 v6, v6, v14
	v_cvt_i32_f32_e32 v13, v20
	s_delay_alu instid0(VALU_DEP_3) | instskip(SKIP_1) | instid1(VALU_DEP_2)
	v_dual_mul_f32 v14, 0x3fb8aa3b, v7 :: v_dual_cndmask_b32 v5, 0, v5
	v_cmp_ngt_f32_e32 vcc_lo, 0xc2ce8ed0, v2
	v_rndne_f32_e32 v15, v14
	v_cndmask_b32_e32 v6, 0, v6, vcc_lo
	v_cmp_nlt_f32_e32 vcc_lo, 0x42b17218, v1
	v_cndmask_b32_e32 v1, 0x7f800000, v5, vcc_lo
	v_cmp_nlt_f32_e32 vcc_lo, 0x42b17218, v2
	s_delay_alu instid0(VALU_DEP_4)
	v_cndmask_b32_e32 v2, 0x7f800000, v6, vcc_lo
	v_sub_f32_e32 v6, v10, v17
	v_exp_f32_e32 v11, v11
	v_cmp_ngt_f32_e32 vcc_lo, 0xc2ce8ed0, v3
	v_cvt_i32_f32_e32 v10, v22
	s_waitcnt_depctr 0xfff
	v_ldexp_f32 v11, v11, v13
	s_delay_alu instid0(VALU_DEP_1)
	v_cndmask_b32_e32 v5, 0, v11, vcc_lo
	v_cmp_nlt_f32_e32 vcc_lo, 0x42b17218, v3
	v_mul_f32_e32 v11, 0x3fb8aa3b, v8
	v_add_f32_e32 v1, v1, v2
	v_mul_f32_e32 v3, 0x3fb8aa3b, v6
	v_cndmask_b32_e32 v2, 0x7f800000, v5, vcc_lo
	v_ldexp_f32 v5, v12, v10
	v_cmp_ngt_f32_e32 vcc_lo, 0xc2ce8ed0, v4
	v_fma_f32 v12, 0x3fb8aa3b, v8, -v11
	v_rndne_f32_e32 v10, v3
	v_rndne_f32_e32 v13, v11
	s_delay_alu instid0(VALU_DEP_3)
	v_dual_cndmask_b32 v5, 0, v5 :: v_dual_fmac_f32 v12, 0x32a5705f, v8
	v_cmp_nlt_f32_e32 vcc_lo, 0x42b17218, v4
	v_add_f32_e32 v1, v1, v2
	v_fma_f32 v2, 0x3fb8aa3b, v6, -v3
	v_sub_f32_e32 v3, v3, v10
	v_cvt_i32_f32_e32 v10, v10
	v_cndmask_b32_e32 v4, 0x7f800000, v5, vcc_lo
	v_cmp_ngt_f32_e32 vcc_lo, 0xc2ce8ed0, v6
	v_fmac_f32_e32 v2, 0x32a5705f, v6
	s_delay_alu instid0(VALU_DEP_1) | instskip(NEXT) | instid1(VALU_DEP_1)
	v_add_f32_e32 v2, v3, v2
	v_exp_f32_e32 v2, v2
	s_waitcnt_depctr 0xfff
	v_ldexp_f32 v2, v2, v10
	v_dual_sub_f32 v10, v14, v15 :: v_dual_mul_f32 v5, 0x3fb8aa3b, v9
	s_delay_alu instid0(VALU_DEP_2) | instskip(SKIP_1) | instid1(VALU_DEP_3)
	v_dual_add_f32 v1, v1, v4 :: v_dual_cndmask_b32 v2, 0, v2
	v_cmp_nlt_f32_e32 vcc_lo, 0x42b17218, v6
	v_fma_f32 v3, 0x3fb8aa3b, v9, -v5
	v_rndne_f32_e32 v4, v5
	s_delay_alu instid0(VALU_DEP_4) | instskip(NEXT) | instid1(VALU_DEP_3)
	v_cndmask_b32_e32 v2, 0x7f800000, v2, vcc_lo
	v_fmac_f32_e32 v3, 0x32a5705f, v9
	s_delay_alu instid0(VALU_DEP_3) | instskip(SKIP_2) | instid1(VALU_DEP_3)
	v_sub_f32_e32 v5, v5, v4
	v_cvt_i32_f32_e32 v4, v4
	v_cmp_ngt_f32_e32 vcc_lo, 0xc2ce8ed0, v9
	v_add_f32_e32 v3, v5, v3
	v_sub_f32_e32 v5, v11, v13
	v_fma_f32 v11, 0x3fb8aa3b, v7, -v14
	s_delay_alu instid0(VALU_DEP_3) | instskip(NEXT) | instid1(VALU_DEP_2)
	v_exp_f32_e32 v3, v3
	v_add_f32_e32 v5, v5, v12
	s_delay_alu instid0(VALU_DEP_2) | instskip(NEXT) | instid1(VALU_DEP_2)
	v_fmac_f32_e32 v11, 0x32a5705f, v7
	v_exp_f32_e32 v5, v5
	s_delay_alu instid0(VALU_DEP_1) | instskip(SKIP_4) | instid1(VALU_DEP_2)
	v_dual_add_f32 v10, v10, v11 :: v_dual_add_f32 v1, v1, v2
	s_waitcnt_depctr 0xfff
	v_ldexp_f32 v3, v3, v4
	v_cvt_i32_f32_e32 v4, v13
	v_exp_f32_e32 v6, v10
	v_cndmask_b32_e32 v3, 0, v3, vcc_lo
	v_cmp_nlt_f32_e32 vcc_lo, 0x42b17218, v9
	s_delay_alu instid0(VALU_DEP_3) | instskip(SKIP_1) | instid1(VALU_DEP_4)
	v_ldexp_f32 v2, v5, v4
	v_cvt_i32_f32_e32 v4, v15
	v_cndmask_b32_e32 v3, 0x7f800000, v3, vcc_lo
	v_cmp_ngt_f32_e32 vcc_lo, 0xc2ce8ed0, v8
	s_delay_alu instid0(TRANS32_DEP_1) | instid1(VALU_DEP_3)
	v_ldexp_f32 v4, v6, v4
	s_delay_alu instid0(VALU_DEP_3) | instskip(SKIP_1) | instid1(VALU_DEP_2)
	v_dual_add_f32 v1, v1, v3 :: v_dual_cndmask_b32 v2, 0, v2
	v_cmp_nlt_f32_e32 vcc_lo, 0x42b17218, v8
	v_cndmask_b32_e32 v2, 0x7f800000, v2, vcc_lo
	v_cmp_ngt_f32_e32 vcc_lo, 0xc2ce8ed0, v7
	s_delay_alu instid0(VALU_DEP_2) | instskip(SKIP_2) | instid1(VALU_DEP_2)
	v_add_f32_e32 v1, v1, v2
	v_cndmask_b32_e32 v3, 0, v4, vcc_lo
	v_cmp_nlt_f32_e32 vcc_lo, 0x42b17218, v7
	v_cndmask_b32_e32 v2, 0x7f800000, v3, vcc_lo
	s_delay_alu instid0(VALU_DEP_1) | instskip(NEXT) | instid1(VALU_DEP_1)
	v_add_f32_e32 v1, v1, v2
	v_add_f32_e32 v2, v19, v1
	s_delay_alu instid0(VALU_DEP_1)
	v_cmp_neq_f32_e32 vcc_lo, 0, v2
	s_and_b32 exec_lo, exec_lo, vcc_lo
	s_cbranch_execz .LBB247_12
; %bb.9:
	s_and_not1_b32 vcc_lo, exec_lo, s12
	s_cbranch_vccnz .LBB247_12
; %bb.10:
	v_div_scale_f32 v1, null, v2, v2, 1.0
	v_div_scale_f32 v5, vcc_lo, 1.0, v2, 1.0
	s_delay_alu instid0(VALU_DEP_2) | instskip(SKIP_2) | instid1(VALU_DEP_1)
	v_rcp_f32_e32 v3, v1
	s_waitcnt_depctr 0xfff
	v_fma_f32 v4, -v1, v3, 1.0
	v_fmac_f32_e32 v3, v4, v3
	s_delay_alu instid0(VALU_DEP_1) | instskip(NEXT) | instid1(VALU_DEP_1)
	v_mul_f32_e32 v4, v5, v3
	v_fma_f32 v6, -v1, v4, v5
	s_delay_alu instid0(VALU_DEP_1) | instskip(NEXT) | instid1(VALU_DEP_1)
	v_fmac_f32_e32 v4, v6, v3
	v_fma_f32 v5, -v1, v4, v5
	v_ashrrev_i32_e32 v1, 31, v0
	s_delay_alu instid0(VALU_DEP_2) | instskip(NEXT) | instid1(VALU_DEP_2)
	v_div_fmas_f32 v3, v5, v3, v4
	v_lshlrev_b64 v[0:1], 2, v[0:1]
	s_delay_alu instid0(VALU_DEP_2) | instskip(NEXT) | instid1(VALU_DEP_2)
	v_div_fixup_f32 v2, v3, v2, 1.0
	v_add_co_u32 v0, vcc_lo, s20, v0
	s_delay_alu instid0(VALU_DEP_3)
	v_add_co_ci_u32_e32 v1, vcc_lo, s21, v1, vcc_lo
.LBB247_11:                             ; =>This Inner Loop Header: Depth=1
	global_load_b32 v3, v[0:1], off
	s_add_i32 s16, s16, -1
	s_delay_alu instid0(SALU_CYCLE_1)
	s_cmp_lg_u32 s16, 0
	s_waitcnt vmcnt(0)
	v_mul_f32_e32 v3, v2, v3
	global_store_b32 v[0:1], v3, off
	v_add_co_u32 v0, vcc_lo, v0, 4
	v_add_co_ci_u32_e32 v1, vcc_lo, 0, v1, vcc_lo
	s_cbranch_scc1 .LBB247_11
.LBB247_12:
	s_nop 0
	s_sendmsg sendmsg(MSG_DEALLOC_VGPRS)
	s_endpgm
	.section	.rodata,"a",@progbits
	.p2align	6, 0x0
	.amdhsa_kernel _ZN4vllm3moe17topkGatingSoftmaxItLi8ELi8ELi8ELi16ELb0ELi8ELNS0_23SharedExpertScoringFuncE1EEEvPKT_PKbPfiPiS9_iiiiii
		.amdhsa_group_segment_fixed_size 0
		.amdhsa_private_segment_fixed_size 0
		.amdhsa_kernarg_size 72
		.amdhsa_user_sgpr_count 15
		.amdhsa_user_sgpr_dispatch_ptr 0
		.amdhsa_user_sgpr_queue_ptr 0
		.amdhsa_user_sgpr_kernarg_segment_ptr 1
		.amdhsa_user_sgpr_dispatch_id 0
		.amdhsa_user_sgpr_private_segment_size 0
		.amdhsa_wavefront_size32 1
		.amdhsa_uses_dynamic_stack 0
		.amdhsa_enable_private_segment 0
		.amdhsa_system_sgpr_workgroup_id_x 1
		.amdhsa_system_sgpr_workgroup_id_y 0
		.amdhsa_system_sgpr_workgroup_id_z 0
		.amdhsa_system_sgpr_workgroup_info 0
		.amdhsa_system_vgpr_workitem_id 1
		.amdhsa_next_free_vgpr 63
		.amdhsa_next_free_sgpr 27
		.amdhsa_reserve_vcc 1
		.amdhsa_float_round_mode_32 0
		.amdhsa_float_round_mode_16_64 0
		.amdhsa_float_denorm_mode_32 3
		.amdhsa_float_denorm_mode_16_64 3
		.amdhsa_dx10_clamp 1
		.amdhsa_ieee_mode 1
		.amdhsa_fp16_overflow 0
		.amdhsa_workgroup_processor_mode 1
		.amdhsa_memory_ordered 1
		.amdhsa_forward_progress 0
		.amdhsa_shared_vgpr_count 0
		.amdhsa_exception_fp_ieee_invalid_op 0
		.amdhsa_exception_fp_denorm_src 0
		.amdhsa_exception_fp_ieee_div_zero 0
		.amdhsa_exception_fp_ieee_overflow 0
		.amdhsa_exception_fp_ieee_underflow 0
		.amdhsa_exception_fp_ieee_inexact 0
		.amdhsa_exception_int_div_zero 0
	.end_amdhsa_kernel
	.section	.text._ZN4vllm3moe17topkGatingSoftmaxItLi8ELi8ELi8ELi16ELb0ELi8ELNS0_23SharedExpertScoringFuncE1EEEvPKT_PKbPfiPiS9_iiiiii,"axG",@progbits,_ZN4vllm3moe17topkGatingSoftmaxItLi8ELi8ELi8ELi16ELb0ELi8ELNS0_23SharedExpertScoringFuncE1EEEvPKT_PKbPfiPiS9_iiiiii,comdat
.Lfunc_end247:
	.size	_ZN4vllm3moe17topkGatingSoftmaxItLi8ELi8ELi8ELi16ELb0ELi8ELNS0_23SharedExpertScoringFuncE1EEEvPKT_PKbPfiPiS9_iiiiii, .Lfunc_end247-_ZN4vllm3moe17topkGatingSoftmaxItLi8ELi8ELi8ELi16ELb0ELi8ELNS0_23SharedExpertScoringFuncE1EEEvPKT_PKbPfiPiS9_iiiiii
                                        ; -- End function
	.section	.AMDGPU.csdata,"",@progbits
; Kernel info:
; codeLenInByte = 4180
; NumSgprs: 29
; NumVgprs: 63
; ScratchSize: 0
; MemoryBound: 0
; FloatMode: 240
; IeeeMode: 1
; LDSByteSize: 0 bytes/workgroup (compile time only)
; SGPRBlocks: 3
; VGPRBlocks: 7
; NumSGPRsForWavesPerEU: 29
; NumVGPRsForWavesPerEU: 63
; Occupancy: 16
; WaveLimiterHint : 0
; COMPUTE_PGM_RSRC2:SCRATCH_EN: 0
; COMPUTE_PGM_RSRC2:USER_SGPR: 15
; COMPUTE_PGM_RSRC2:TRAP_HANDLER: 0
; COMPUTE_PGM_RSRC2:TGID_X_EN: 1
; COMPUTE_PGM_RSRC2:TGID_Y_EN: 0
; COMPUTE_PGM_RSRC2:TGID_Z_EN: 0
; COMPUTE_PGM_RSRC2:TIDIG_COMP_CNT: 1
	.section	.text._ZN4vllm3moe17topkGatingSoftmaxItLi16ELi16ELi8ELi32ELb1ELi0ELNS0_23SharedExpertScoringFuncE0EEEvPKT_PKbPfiPiS9_iiiiii,"axG",@progbits,_ZN4vllm3moe17topkGatingSoftmaxItLi16ELi16ELi8ELi32ELb1ELi0ELNS0_23SharedExpertScoringFuncE0EEEvPKT_PKbPfiPiS9_iiiiii,comdat
	.protected	_ZN4vllm3moe17topkGatingSoftmaxItLi16ELi16ELi8ELi32ELb1ELi0ELNS0_23SharedExpertScoringFuncE0EEEvPKT_PKbPfiPiS9_iiiiii ; -- Begin function _ZN4vllm3moe17topkGatingSoftmaxItLi16ELi16ELi8ELi32ELb1ELi0ELNS0_23SharedExpertScoringFuncE0EEEvPKT_PKbPfiPiS9_iiiiii
	.globl	_ZN4vllm3moe17topkGatingSoftmaxItLi16ELi16ELi8ELi32ELb1ELi0ELNS0_23SharedExpertScoringFuncE0EEEvPKT_PKbPfiPiS9_iiiiii
	.p2align	8
	.type	_ZN4vllm3moe17topkGatingSoftmaxItLi16ELi16ELi8ELi32ELb1ELi0ELNS0_23SharedExpertScoringFuncE0EEEvPKT_PKbPfiPiS9_iiiiii,@function
_ZN4vllm3moe17topkGatingSoftmaxItLi16ELi16ELi8ELi32ELb1ELi0ELNS0_23SharedExpertScoringFuncE0EEEvPKT_PKbPfiPiS9_iiiiii: ; @_ZN4vllm3moe17topkGatingSoftmaxItLi16ELi16ELi8ELi32ELb1ELi0ELNS0_23SharedExpertScoringFuncE0EEEvPKT_PKbPfiPiS9_iiiiii
; %bb.0:
	s_load_b32 s16, s[0:1], 0x18
	v_bfe_u32 v1, v0, 10, 10
	v_and_b32_e32 v10, 0x3ff, v0
	s_lshl_b32 s19, s15, 8
	s_mov_b32 s2, exec_lo
	s_delay_alu instid0(VALU_DEP_2) | instskip(NEXT) | instid1(VALU_DEP_1)
	v_lshlrev_b32_e32 v9, 5, v1
	v_add3_u32 v6, v9, v10, s19
	s_waitcnt lgkmcnt(0)
	s_delay_alu instid0(VALU_DEP_1)
	v_cmpx_gt_i32_e64 s16, v6
	s_cbranch_execz .LBB248_13
; %bb.1:
	s_clause 0x1
	s_load_b128 s[12:15], s[0:1], 0x0
	s_load_b64 s[2:3], s[0:1], 0x10
	s_waitcnt lgkmcnt(0)
	s_cmp_eq_u64 s[14:15], 0
	s_cbranch_scc1 .LBB248_3
; %bb.2:
	v_ashrrev_i32_e32 v1, 31, v6
	v_add_co_u32 v0, vcc_lo, s14, v6
	s_delay_alu instid0(VALU_DEP_2) | instskip(SKIP_3) | instid1(VALU_DEP_1)
	v_add_co_ci_u32_e32 v1, vcc_lo, s15, v1, vcc_lo
	global_load_u8 v0, v[0:1], off
	s_waitcnt vmcnt(0)
	v_and_b32_e32 v0, 1, v0
	v_cmp_eq_u32_e32 vcc_lo, 1, v0
	s_xor_b32 s4, vcc_lo, -1
	s_delay_alu instid0(SALU_CYCLE_1)
	s_or_not1_b32 s18, s4, exec_lo
	s_branch .LBB248_4
.LBB248_3:
	s_mov_b32 s18, -1
.LBB248_4:
	s_load_b128 s[4:7], s[0:1], 0x30
	s_waitcnt lgkmcnt(0)
	s_cmp_gt_i32 s4, 0
	s_cselect_b32 s17, -1, 0
	s_cmp_lt_i32 s4, 1
	s_cbranch_scc1 .LBB248_9
; %bb.5:
	s_clause 0x1
	s_load_b64 s[14:15], s[0:1], 0x40
	s_load_b128 s[8:11], s[0:1], 0x20
	s_waitcnt lgkmcnt(0)
	v_mul_lo_u32 v0, v6, s15
	s_delay_alu instid0(VALU_DEP_1) | instskip(NEXT) | instid1(VALU_DEP_1)
	v_ashrrev_i32_e32 v1, 31, v0
	v_lshlrev_b64 v[0:1], 1, v[0:1]
	s_delay_alu instid0(VALU_DEP_1) | instskip(NEXT) | instid1(VALU_DEP_2)
	v_add_co_u32 v4, vcc_lo, s12, v0
	v_add_co_ci_u32_e32 v5, vcc_lo, s13, v1, vcc_lo
	s_clause 0x1
	global_load_b128 v[0:3], v[4:5], off
	global_load_b128 v[27:30], v[4:5], off offset:16
	s_waitcnt vmcnt(1)
	v_lshrrev_b32_e32 v4, 16, v0
	v_and_b32_e32 v0, 0xffff, v0
	s_delay_alu instid0(VALU_DEP_2) | instskip(NEXT) | instid1(VALU_DEP_2)
	v_cvt_f32_u32_e32 v25, v4
	v_cvt_f32_u32_e32 v26, v0
	s_delay_alu instid0(VALU_DEP_1) | instskip(SKIP_3) | instid1(VALU_DEP_2)
	v_cmp_lt_f32_e32 vcc_lo, v26, v25
	v_cndmask_b32_e32 v4, v26, v25, vcc_lo
	v_and_b32_e32 v0, 0xffff, v1
	v_lshrrev_b32_e32 v1, 16, v1
	v_cvt_f32_u32_e32 v24, v0
	v_cndmask_b32_e64 v0, 0, 1, vcc_lo
	s_delay_alu instid0(VALU_DEP_3) | instskip(NEXT) | instid1(VALU_DEP_3)
	v_cvt_f32_u32_e32 v23, v1
	v_cmp_lt_f32_e32 vcc_lo, v4, v24
	v_cndmask_b32_e32 v1, v4, v24, vcc_lo
	s_delay_alu instid0(VALU_DEP_4) | instskip(SKIP_2) | instid1(VALU_DEP_4)
	v_cndmask_b32_e64 v0, v0, 2, vcc_lo
	v_and_b32_e32 v4, 0xffff, v2
	v_lshrrev_b32_e32 v2, 16, v2
	v_cmp_lt_f32_e32 vcc_lo, v1, v23
	s_delay_alu instid0(VALU_DEP_3) | instskip(NEXT) | instid1(VALU_DEP_3)
	v_cvt_f32_u32_e32 v22, v4
	v_cvt_f32_u32_e32 v21, v2
	v_cndmask_b32_e32 v1, v1, v23, vcc_lo
	v_cndmask_b32_e64 v0, v0, 3, vcc_lo
	s_delay_alu instid0(VALU_DEP_2) | instskip(SKIP_1) | instid1(VALU_DEP_3)
	v_cmp_lt_f32_e32 vcc_lo, v1, v22
	v_cndmask_b32_e32 v1, v1, v22, vcc_lo
	v_cndmask_b32_e64 v0, v0, 4, vcc_lo
	s_delay_alu instid0(VALU_DEP_2) | instskip(SKIP_1) | instid1(VALU_DEP_3)
	v_cmp_lt_f32_e32 vcc_lo, v1, v21
	v_dual_cndmask_b32 v1, v1, v21 :: v_dual_and_b32 v2, 0xffff, v3
	v_cndmask_b32_e64 v0, v0, 5, vcc_lo
	s_delay_alu instid0(VALU_DEP_2) | instskip(SKIP_1) | instid1(VALU_DEP_2)
	v_cvt_f32_u32_e32 v20, v2
	v_lshrrev_b32_e32 v2, 16, v3
	v_cmp_lt_f32_e32 vcc_lo, v1, v20
	s_delay_alu instid0(VALU_DEP_2) | instskip(SKIP_2) | instid1(VALU_DEP_2)
	v_cvt_f32_u32_e32 v19, v2
	v_cndmask_b32_e32 v1, v1, v20, vcc_lo
	v_cndmask_b32_e64 v0, v0, 6, vcc_lo
	v_cmp_lt_f32_e32 vcc_lo, v1, v19
	v_cndmask_b32_e32 v1, v1, v19, vcc_lo
	s_waitcnt vmcnt(0)
	v_and_b32_e32 v2, 0xffff, v27
	v_cndmask_b32_e64 v0, v0, 7, vcc_lo
	s_delay_alu instid0(VALU_DEP_2) | instskip(SKIP_1) | instid1(VALU_DEP_1)
	v_cvt_f32_u32_e32 v18, v2
	v_lshrrev_b32_e32 v2, 16, v27
	v_cvt_f32_u32_e32 v17, v2
	v_and_b32_e32 v2, 0xffff, v28
	s_delay_alu instid0(VALU_DEP_4) | instskip(NEXT) | instid1(VALU_DEP_2)
	v_cmp_lt_f32_e32 vcc_lo, v1, v18
	v_cvt_f32_u32_e32 v16, v2
	v_cndmask_b32_e32 v1, v1, v18, vcc_lo
	v_lshrrev_b32_e32 v2, 16, v28
	v_cndmask_b32_e64 v0, v0, 8, vcc_lo
	v_mul_lo_u32 v28, v6, s14
	s_delay_alu instid0(VALU_DEP_4) | instskip(NEXT) | instid1(VALU_DEP_4)
	v_cmp_lt_f32_e32 vcc_lo, v1, v17
	v_cvt_f32_u32_e32 v15, v2
	v_and_b32_e32 v2, 0xffff, v29
	v_cndmask_b32_e32 v1, v1, v17, vcc_lo
	v_cndmask_b32_e64 v0, v0, 9, vcc_lo
	s_delay_alu instid0(VALU_DEP_3) | instskip(SKIP_1) | instid1(VALU_DEP_1)
	v_cvt_f32_u32_e32 v14, v2
	v_lshrrev_b32_e32 v2, 16, v29
	v_cvt_f32_u32_e32 v13, v2
	v_and_b32_e32 v2, 0xffff, v30
	v_cmp_lt_f32_e32 vcc_lo, v1, v16
	s_delay_alu instid0(VALU_DEP_2) | instskip(SKIP_3) | instid1(VALU_DEP_3)
	v_cvt_f32_u32_e32 v12, v2
	v_cndmask_b32_e32 v1, v1, v16, vcc_lo
	v_cndmask_b32_e64 v0, v0, 10, vcc_lo
	v_lshrrev_b32_e32 v2, 16, v30
	v_cmp_lt_f32_e32 vcc_lo, v1, v15
	s_delay_alu instid0(VALU_DEP_2) | instskip(SKIP_3) | instid1(VALU_DEP_2)
	v_cvt_f32_u32_e32 v11, v2
	v_mul_lo_u32 v2, v6, s4
	v_cndmask_b32_e32 v1, v1, v15, vcc_lo
	v_cndmask_b32_e64 v0, v0, 11, vcc_lo
	v_cmp_lt_f32_e32 vcc_lo, v1, v14
	v_cndmask_b32_e32 v1, v1, v14, vcc_lo
	s_delay_alu instid0(VALU_DEP_3) | instskip(NEXT) | instid1(VALU_DEP_2)
	v_cndmask_b32_e64 v0, v0, 12, vcc_lo
	v_cmp_lt_f32_e32 vcc_lo, v1, v13
	v_cndmask_b32_e32 v1, v1, v13, vcc_lo
	s_delay_alu instid0(VALU_DEP_3) | instskip(NEXT) | instid1(VALU_DEP_2)
	;; [unrolled: 4-line block ×3, first 2 shown]
	v_cndmask_b32_e64 v0, v0, 14, vcc_lo
	v_cmp_lt_f32_e32 vcc_lo, v1, v11
	v_cndmask_b32_e32 v7, v1, v11, vcc_lo
	s_delay_alu instid0(VALU_DEP_3) | instskip(SKIP_1) | instid1(VALU_DEP_3)
	v_cndmask_b32_e64 v27, v0, 15, vcc_lo
	v_mul_lo_u32 v0, v6, s7
	v_sub_f32_e32 v8, v7, v7
	s_delay_alu instid0(VALU_DEP_3) | instskip(SKIP_1) | instid1(VALU_DEP_3)
	v_cmp_le_i32_e32 vcc_lo, s5, v27
	v_cmp_gt_i32_e64 s0, s6, v27
	v_mul_f32_e32 v1, 0x3fb8aa3b, v8
	s_delay_alu instid0(VALU_DEP_2) | instskip(SKIP_1) | instid1(VALU_DEP_2)
	s_and_b32 s0, vcc_lo, s0
	v_cmp_ngt_f32_e32 vcc_lo, 0xc2ce8ed0, v8
	v_fma_f32 v3, 0x3fb8aa3b, v8, -v1
	v_rndne_f32_e32 v30, v1
	s_delay_alu instid0(VALU_DEP_1) | instskip(SKIP_1) | instid1(VALU_DEP_2)
	v_dual_fmac_f32 v3, 0x32a5705f, v8 :: v_dual_sub_f32 v4, v1, v30
	v_ashrrev_i32_e32 v1, 31, v0
	v_add_f32_e32 v29, v4, v3
	v_ashrrev_i32_e32 v3, 31, v2
	s_delay_alu instid0(VALU_DEP_3) | instskip(NEXT) | instid1(VALU_DEP_3)
	v_lshlrev_b64 v[4:5], 2, v[0:1]
	v_exp_f32_e32 v31, v29
	s_delay_alu instid0(VALU_DEP_2) | instskip(SKIP_2) | instid1(VALU_DEP_4)
	v_lshlrev_b64 v[0:1], 2, v[2:3]
	v_ashrrev_i32_e32 v29, 31, v28
	v_cvt_i32_f32_e32 v2, v30
	v_add_co_u32 v4, s1, s2, v4
	s_delay_alu instid0(VALU_DEP_1) | instskip(SKIP_4) | instid1(VALU_DEP_3)
	v_add_co_ci_u32_e64 v5, s1, s3, v5, s1
	s_waitcnt_depctr 0xfff
	v_ldexp_f32 v30, v31, v2
	v_lshlrev_b64 v[2:3], 2, v[28:29]
	v_subrev_nc_u32_e32 v31, s5, v27
	v_cndmask_b32_e32 v30, 0, v30, vcc_lo
	s_delay_alu instid0(VALU_DEP_3) | instskip(NEXT) | instid1(VALU_DEP_4)
	v_add_co_u32 v28, vcc_lo, s8, v2
	v_add_co_ci_u32_e32 v29, vcc_lo, s9, v3, vcc_lo
	s_and_b32 vcc_lo, s18, s0
	s_cmp_eq_u32 s4, 1
	v_cndmask_b32_e32 v32, 16, v31, vcc_lo
	v_cmp_nlt_f32_e32 vcc_lo, 0x42b17218, v8
	v_cndmask_b32_e32 v8, 0x7f800000, v30, vcc_lo
	v_add_co_u32 v30, vcc_lo, s10, v0
	v_add_co_ci_u32_e32 v31, vcc_lo, s11, v1, vcc_lo
	global_store_b32 v[28:29], v32, off
	global_store_b32 v[4:5], v8, off
	;; [unrolled: 1-line block ×3, first 2 shown]
	s_cbranch_scc1 .LBB248_8
; %bb.6:
	v_cmp_ne_u32_e32 vcc_lo, 15, v27
	s_add_i32 s19, s19, s16
	s_delay_alu instid0(SALU_CYCLE_1)
	v_add3_u32 v9, s19, v10, v9
	v_cndmask_b32_e32 v11, 0xff800000, v11, vcc_lo
	v_cmp_ne_u32_e32 vcc_lo, 14, v27
	v_cndmask_b32_e32 v12, 0xff800000, v12, vcc_lo
	v_cmp_ne_u32_e32 vcc_lo, 13, v27
	;; [unrolled: 2-line block ×15, first 2 shown]
	v_cndmask_b32_e32 v26, 0xff800000, v26, vcc_lo
	v_add_co_u32 v0, vcc_lo, v0, s10
	v_add_co_ci_u32_e32 v1, vcc_lo, s11, v1, vcc_lo
	v_add_co_u32 v2, vcc_lo, v2, s8
	v_add_co_ci_u32_e32 v3, vcc_lo, s9, v3, vcc_lo
	s_delay_alu instid0(VALU_DEP_4) | instskip(NEXT) | instid1(VALU_DEP_4)
	v_add_co_u32 v0, vcc_lo, v0, 4
	v_add_co_ci_u32_e32 v1, vcc_lo, 0, v1, vcc_lo
	s_delay_alu instid0(VALU_DEP_4) | instskip(NEXT) | instid1(VALU_DEP_4)
	v_add_co_u32 v2, vcc_lo, v2, 4
	v_add_co_ci_u32_e32 v3, vcc_lo, 0, v3, vcc_lo
	v_add_co_u32 v4, vcc_lo, v4, 4
	v_add_co_ci_u32_e32 v5, vcc_lo, 0, v5, vcc_lo
	s_add_i32 s8, s4, -1
.LBB248_7:                              ; =>This Inner Loop Header: Depth=1
	v_cmp_gt_f32_e32 vcc_lo, v25, v26
	s_add_i32 s8, s8, -1
	v_cndmask_b32_e32 v10, v26, v25, vcc_lo
	v_cndmask_b32_e64 v27, 0, 1, vcc_lo
	s_delay_alu instid0(VALU_DEP_2) | instskip(SKIP_1) | instid1(VALU_DEP_3)
	v_cmp_gt_f32_e32 vcc_lo, v24, v10
	v_cndmask_b32_e32 v10, v10, v24, vcc_lo
	v_cndmask_b32_e64 v27, v27, 2, vcc_lo
	s_delay_alu instid0(VALU_DEP_2) | instskip(SKIP_1) | instid1(VALU_DEP_3)
	v_cmp_gt_f32_e32 vcc_lo, v23, v10
	;; [unrolled: 4-line block ×13, first 2 shown]
	v_cndmask_b32_e32 v10, v10, v12, vcc_lo
	v_cndmask_b32_e64 v27, v27, 14, vcc_lo
	s_delay_alu instid0(VALU_DEP_2) | instskip(NEXT) | instid1(VALU_DEP_2)
	v_cmp_gt_f32_e32 vcc_lo, v11, v10
	v_cndmask_b32_e64 v27, v27, 15, vcc_lo
	v_cndmask_b32_e32 v10, v10, v11, vcc_lo
	s_delay_alu instid0(VALU_DEP_2) | instskip(NEXT) | instid1(VALU_DEP_2)
	v_cmp_ne_u32_e64 s1, 15, v27
	v_sub_f32_e32 v10, v10, v7
	v_cmp_le_i32_e32 vcc_lo, s5, v27
	v_cmp_gt_i32_e64 s0, s6, v27
	v_subrev_nc_u32_e32 v29, s5, v27
	v_cndmask_b32_e64 v11, 0xff800000, v11, s1
	v_cmp_ne_u32_e64 s1, 14, v27
	v_mul_f32_e32 v28, 0x3fb8aa3b, v10
	s_and_b32 s0, vcc_lo, s0
	s_delay_alu instid0(SALU_CYCLE_1) | instskip(NEXT) | instid1(VALU_DEP_2)
	s_and_b32 vcc_lo, s18, s0
	v_cndmask_b32_e64 v12, 0xff800000, v12, s1
	v_cmp_ne_u32_e64 s1, 13, v27
	v_rndne_f32_e32 v30, v28
	v_cndmask_b32_e32 v29, 16, v29, vcc_lo
	global_store_b32 v[2:3], v29, off
	global_store_b32 v[0:1], v9, off
	v_cndmask_b32_e64 v13, 0xff800000, v13, s1
	v_cmp_ne_u32_e64 s1, 12, v27
	v_add_co_u32 v0, vcc_lo, v0, 4
	v_add_co_ci_u32_e32 v1, vcc_lo, 0, v1, vcc_lo
	s_delay_alu instid0(VALU_DEP_3) | instskip(SKIP_3) | instid1(VALU_DEP_3)
	v_cndmask_b32_e64 v14, 0xff800000, v14, s1
	v_cmp_ne_u32_e64 s1, 11, v27
	v_add_co_u32 v2, vcc_lo, v2, 4
	v_add_co_ci_u32_e32 v3, vcc_lo, 0, v3, vcc_lo
	v_cndmask_b32_e64 v15, 0xff800000, v15, s1
	v_cmp_ne_u32_e64 s1, 10, v27
	v_cmp_ngt_f32_e32 vcc_lo, 0xc2ce8ed0, v10
	v_add_nc_u32_e32 v9, s16, v9
	s_cmp_eq_u32 s8, 0
	s_delay_alu instid0(VALU_DEP_3) | instskip(SKIP_1) | instid1(VALU_DEP_1)
	v_cndmask_b32_e64 v16, 0xff800000, v16, s1
	v_cmp_ne_u32_e64 s1, 9, v27
	v_cndmask_b32_e64 v17, 0xff800000, v17, s1
	v_cmp_ne_u32_e64 s1, 8, v27
	s_delay_alu instid0(VALU_DEP_1) | instskip(SKIP_1) | instid1(VALU_DEP_1)
	v_cndmask_b32_e64 v18, 0xff800000, v18, s1
	v_cmp_ne_u32_e64 s1, 7, v27
	v_cndmask_b32_e64 v19, 0xff800000, v19, s1
	v_cmp_ne_u32_e64 s1, 6, v27
	s_delay_alu instid0(VALU_DEP_1) | instskip(SKIP_1) | instid1(VALU_DEP_1)
	;; [unrolled: 5-line block ×4, first 2 shown]
	v_cndmask_b32_e64 v24, 0xff800000, v24, s1
	v_cmp_ne_u32_e64 s1, 1, v27
	v_cndmask_b32_e64 v25, 0xff800000, v25, s1
	v_cmp_ne_u32_e64 s1, 0, v27
	v_fma_f32 v27, 0x3fb8aa3b, v10, -v28
	v_sub_f32_e32 v28, v28, v30
	v_cvt_i32_f32_e32 v30, v30
	s_delay_alu instid0(VALU_DEP_4) | instskip(NEXT) | instid1(VALU_DEP_4)
	v_cndmask_b32_e64 v26, 0xff800000, v26, s1
	v_fmac_f32_e32 v27, 0x32a5705f, v10
	s_delay_alu instid0(VALU_DEP_1) | instskip(NEXT) | instid1(VALU_DEP_1)
	v_add_f32_e32 v27, v28, v27
	v_exp_f32_e32 v27, v27
	s_waitcnt_depctr 0xfff
	v_ldexp_f32 v27, v27, v30
	s_delay_alu instid0(VALU_DEP_1) | instskip(SKIP_1) | instid1(VALU_DEP_2)
	v_cndmask_b32_e32 v27, 0, v27, vcc_lo
	v_cmp_nlt_f32_e32 vcc_lo, 0x42b17218, v10
	v_cndmask_b32_e32 v10, 0x7f800000, v27, vcc_lo
	global_store_b32 v[4:5], v10, off
	v_add_co_u32 v4, vcc_lo, v4, 4
	v_add_f32_e32 v8, v8, v10
	v_add_co_ci_u32_e32 v5, vcc_lo, 0, v5, vcc_lo
	s_cbranch_scc0 .LBB248_7
.LBB248_8:
	s_delay_alu instid0(VALU_DEP_2)
	v_cmp_neq_f32_e32 vcc_lo, 0, v8
	s_and_b32 exec_lo, exec_lo, vcc_lo
	s_cbranch_execnz .LBB248_10
	s_branch .LBB248_13
.LBB248_9:
	v_mov_b32_e32 v8, 0
	s_delay_alu instid0(VALU_DEP_1)
	v_cmp_neq_f32_e32 vcc_lo, 0, v8
	s_and_b32 exec_lo, exec_lo, vcc_lo
	s_cbranch_execz .LBB248_13
.LBB248_10:
	s_and_not1_b32 vcc_lo, exec_lo, s17
	s_cbranch_vccnz .LBB248_13
; %bb.11:
	v_div_scale_f32 v1, null, v8, v8, 1.0
	v_div_scale_f32 v3, vcc_lo, 1.0, v8, 1.0
	s_delay_alu instid0(VALU_DEP_2) | instskip(SKIP_2) | instid1(VALU_DEP_1)
	v_rcp_f32_e32 v2, v1
	s_waitcnt_depctr 0xfff
	v_fma_f32 v0, -v1, v2, 1.0
	v_fmac_f32_e32 v2, v0, v2
	v_mul_lo_u32 v0, v6, s7
	s_delay_alu instid0(VALU_DEP_2) | instskip(NEXT) | instid1(VALU_DEP_1)
	v_mul_f32_e32 v4, v3, v2
	v_fma_f32 v5, -v1, v4, v3
	s_delay_alu instid0(VALU_DEP_1) | instskip(NEXT) | instid1(VALU_DEP_1)
	v_fmac_f32_e32 v4, v5, v2
	v_fma_f32 v3, -v1, v4, v3
	v_ashrrev_i32_e32 v1, 31, v0
	s_delay_alu instid0(VALU_DEP_2) | instskip(NEXT) | instid1(VALU_DEP_2)
	v_div_fmas_f32 v2, v3, v2, v4
	v_lshlrev_b64 v[0:1], 2, v[0:1]
	s_delay_alu instid0(VALU_DEP_2) | instskip(NEXT) | instid1(VALU_DEP_2)
	v_div_fixup_f32 v2, v2, v8, 1.0
	v_add_co_u32 v0, vcc_lo, s2, v0
	s_delay_alu instid0(VALU_DEP_3)
	v_add_co_ci_u32_e32 v1, vcc_lo, s3, v1, vcc_lo
.LBB248_12:                             ; =>This Inner Loop Header: Depth=1
	global_load_b32 v3, v[0:1], off
	s_add_i32 s4, s4, -1
	s_delay_alu instid0(SALU_CYCLE_1)
	s_cmp_lg_u32 s4, 0
	s_waitcnt vmcnt(0)
	v_mul_f32_e32 v3, v2, v3
	global_store_b32 v[0:1], v3, off
	v_add_co_u32 v0, vcc_lo, v0, 4
	v_add_co_ci_u32_e32 v1, vcc_lo, 0, v1, vcc_lo
	s_cbranch_scc1 .LBB248_12
.LBB248_13:
	s_nop 0
	s_sendmsg sendmsg(MSG_DEALLOC_VGPRS)
	s_endpgm
	.section	.rodata,"a",@progbits
	.p2align	6, 0x0
	.amdhsa_kernel _ZN4vllm3moe17topkGatingSoftmaxItLi16ELi16ELi8ELi32ELb1ELi0ELNS0_23SharedExpertScoringFuncE0EEEvPKT_PKbPfiPiS9_iiiiii
		.amdhsa_group_segment_fixed_size 0
		.amdhsa_private_segment_fixed_size 0
		.amdhsa_kernarg_size 72
		.amdhsa_user_sgpr_count 15
		.amdhsa_user_sgpr_dispatch_ptr 0
		.amdhsa_user_sgpr_queue_ptr 0
		.amdhsa_user_sgpr_kernarg_segment_ptr 1
		.amdhsa_user_sgpr_dispatch_id 0
		.amdhsa_user_sgpr_private_segment_size 0
		.amdhsa_wavefront_size32 1
		.amdhsa_uses_dynamic_stack 0
		.amdhsa_enable_private_segment 0
		.amdhsa_system_sgpr_workgroup_id_x 1
		.amdhsa_system_sgpr_workgroup_id_y 0
		.amdhsa_system_sgpr_workgroup_id_z 0
		.amdhsa_system_sgpr_workgroup_info 0
		.amdhsa_system_vgpr_workitem_id 1
		.amdhsa_next_free_vgpr 33
		.amdhsa_next_free_sgpr 20
		.amdhsa_reserve_vcc 1
		.amdhsa_float_round_mode_32 0
		.amdhsa_float_round_mode_16_64 0
		.amdhsa_float_denorm_mode_32 3
		.amdhsa_float_denorm_mode_16_64 3
		.amdhsa_dx10_clamp 1
		.amdhsa_ieee_mode 1
		.amdhsa_fp16_overflow 0
		.amdhsa_workgroup_processor_mode 1
		.amdhsa_memory_ordered 1
		.amdhsa_forward_progress 0
		.amdhsa_shared_vgpr_count 0
		.amdhsa_exception_fp_ieee_invalid_op 0
		.amdhsa_exception_fp_denorm_src 0
		.amdhsa_exception_fp_ieee_div_zero 0
		.amdhsa_exception_fp_ieee_overflow 0
		.amdhsa_exception_fp_ieee_underflow 0
		.amdhsa_exception_fp_ieee_inexact 0
		.amdhsa_exception_int_div_zero 0
	.end_amdhsa_kernel
	.section	.text._ZN4vllm3moe17topkGatingSoftmaxItLi16ELi16ELi8ELi32ELb1ELi0ELNS0_23SharedExpertScoringFuncE0EEEvPKT_PKbPfiPiS9_iiiiii,"axG",@progbits,_ZN4vllm3moe17topkGatingSoftmaxItLi16ELi16ELi8ELi32ELb1ELi0ELNS0_23SharedExpertScoringFuncE0EEEvPKT_PKbPfiPiS9_iiiiii,comdat
.Lfunc_end248:
	.size	_ZN4vllm3moe17topkGatingSoftmaxItLi16ELi16ELi8ELi32ELb1ELi0ELNS0_23SharedExpertScoringFuncE0EEEvPKT_PKbPfiPiS9_iiiiii, .Lfunc_end248-_ZN4vllm3moe17topkGatingSoftmaxItLi16ELi16ELi8ELi32ELb1ELi0ELNS0_23SharedExpertScoringFuncE0EEEvPKT_PKbPfiPiS9_iiiiii
                                        ; -- End function
	.section	.AMDGPU.csdata,"",@progbits
; Kernel info:
; codeLenInByte = 2420
; NumSgprs: 22
; NumVgprs: 33
; ScratchSize: 0
; MemoryBound: 0
; FloatMode: 240
; IeeeMode: 1
; LDSByteSize: 0 bytes/workgroup (compile time only)
; SGPRBlocks: 2
; VGPRBlocks: 4
; NumSGPRsForWavesPerEU: 22
; NumVGPRsForWavesPerEU: 33
; Occupancy: 16
; WaveLimiterHint : 0
; COMPUTE_PGM_RSRC2:SCRATCH_EN: 0
; COMPUTE_PGM_RSRC2:USER_SGPR: 15
; COMPUTE_PGM_RSRC2:TRAP_HANDLER: 0
; COMPUTE_PGM_RSRC2:TGID_X_EN: 1
; COMPUTE_PGM_RSRC2:TGID_Y_EN: 0
; COMPUTE_PGM_RSRC2:TGID_Z_EN: 0
; COMPUTE_PGM_RSRC2:TIDIG_COMP_CNT: 1
	.section	.text._ZN4vllm3moe17topkGatingSoftmaxItLi16ELi16ELi8ELi32ELb0ELi0ELNS0_23SharedExpertScoringFuncE0EEEvPKT_PKbPfiPiS9_iiiiii,"axG",@progbits,_ZN4vllm3moe17topkGatingSoftmaxItLi16ELi16ELi8ELi32ELb0ELi0ELNS0_23SharedExpertScoringFuncE0EEEvPKT_PKbPfiPiS9_iiiiii,comdat
	.protected	_ZN4vllm3moe17topkGatingSoftmaxItLi16ELi16ELi8ELi32ELb0ELi0ELNS0_23SharedExpertScoringFuncE0EEEvPKT_PKbPfiPiS9_iiiiii ; -- Begin function _ZN4vllm3moe17topkGatingSoftmaxItLi16ELi16ELi8ELi32ELb0ELi0ELNS0_23SharedExpertScoringFuncE0EEEvPKT_PKbPfiPiS9_iiiiii
	.globl	_ZN4vllm3moe17topkGatingSoftmaxItLi16ELi16ELi8ELi32ELb0ELi0ELNS0_23SharedExpertScoringFuncE0EEEvPKT_PKbPfiPiS9_iiiiii
	.p2align	8
	.type	_ZN4vllm3moe17topkGatingSoftmaxItLi16ELi16ELi8ELi32ELb0ELi0ELNS0_23SharedExpertScoringFuncE0EEEvPKT_PKbPfiPiS9_iiiiii,@function
_ZN4vllm3moe17topkGatingSoftmaxItLi16ELi16ELi8ELi32ELb0ELi0ELNS0_23SharedExpertScoringFuncE0EEEvPKT_PKbPfiPiS9_iiiiii: ; @_ZN4vllm3moe17topkGatingSoftmaxItLi16ELi16ELi8ELi32ELb0ELi0ELNS0_23SharedExpertScoringFuncE0EEEvPKT_PKbPfiPiS9_iiiiii
; %bb.0:
	s_load_b32 s24, s[0:1], 0x18
	v_bfe_u32 v1, v0, 10, 10
	v_and_b32_e32 v26, 0x3ff, v0
	s_lshl_b32 s26, s15, 8
	s_mov_b32 s2, exec_lo
	s_delay_alu instid0(VALU_DEP_2) | instskip(NEXT) | instid1(VALU_DEP_1)
	v_lshlrev_b32_e32 v25, 5, v1
	v_add3_u32 v6, v25, v26, s26
	s_waitcnt lgkmcnt(0)
	s_delay_alu instid0(VALU_DEP_1)
	v_cmpx_gt_i32_e64 s24, v6
	s_cbranch_execz .LBB249_13
; %bb.1:
	s_clause 0x1
	s_load_b128 s[4:7], s[0:1], 0x0
	s_load_b64 s[20:21], s[0:1], 0x10
	s_waitcnt lgkmcnt(0)
	s_cmp_eq_u64 s[6:7], 0
	s_cbranch_scc1 .LBB249_3
; %bb.2:
	v_ashrrev_i32_e32 v1, 31, v6
	v_add_co_u32 v0, vcc_lo, s6, v6
	s_delay_alu instid0(VALU_DEP_2) | instskip(SKIP_3) | instid1(VALU_DEP_1)
	v_add_co_ci_u32_e32 v1, vcc_lo, s7, v1, vcc_lo
	global_load_u8 v0, v[0:1], off
	s_waitcnt vmcnt(0)
	v_and_b32_e32 v0, 1, v0
	v_cmp_eq_u32_e32 vcc_lo, 1, v0
	s_xor_b32 s2, vcc_lo, -1
	s_delay_alu instid0(SALU_CYCLE_1)
	s_or_not1_b32 s25, s2, exec_lo
	s_branch .LBB249_4
.LBB249_3:
	s_mov_b32 s25, -1
.LBB249_4:
	s_clause 0x1
	s_load_b64 s[22:23], s[0:1], 0x40
	s_load_b128 s[16:19], s[0:1], 0x30
	s_waitcnt lgkmcnt(0)
	v_mul_lo_u32 v0, v6, s23
	s_cmp_gt_i32 s16, 0
	s_cselect_b32 s23, -1, 0
	s_cmp_lt_i32 s16, 1
	s_delay_alu instid0(VALU_DEP_1) | instskip(NEXT) | instid1(VALU_DEP_1)
	v_ashrrev_i32_e32 v1, 31, v0
	v_lshlrev_b64 v[0:1], 1, v[0:1]
	s_delay_alu instid0(VALU_DEP_1) | instskip(NEXT) | instid1(VALU_DEP_2)
	v_add_co_u32 v4, vcc_lo, s4, v0
	v_add_co_ci_u32_e32 v5, vcc_lo, s5, v1, vcc_lo
	s_clause 0x1
	global_load_b128 v[0:3], v[4:5], off
	global_load_b128 v[9:12], v[4:5], off offset:16
	s_waitcnt vmcnt(1)
	v_lshrrev_b32_e32 v4, 16, v0
	v_and_b32_e32 v0, 0xffff, v0
	v_and_b32_e32 v5, 0xffff, v1
	s_delay_alu instid0(VALU_DEP_3) | instskip(NEXT) | instid1(VALU_DEP_3)
	v_cvt_f32_u32_e32 v23, v4
	v_cvt_f32_u32_e32 v24, v0
	v_lshrrev_b32_e32 v0, 16, v1
	s_delay_alu instid0(VALU_DEP_4) | instskip(SKIP_1) | instid1(VALU_DEP_4)
	v_cvt_f32_u32_e32 v21, v5
	v_and_b32_e32 v4, 0xffff, v2
	v_cmp_lt_f32_e64 s5, v24, v23
	s_delay_alu instid0(VALU_DEP_4) | instskip(NEXT) | instid1(VALU_DEP_3)
	v_cvt_f32_u32_e32 v22, v0
	v_cvt_f32_u32_e32 v20, v4
	s_delay_alu instid0(VALU_DEP_3) | instskip(NEXT) | instid1(VALU_DEP_1)
	v_cndmask_b32_e64 v1, v24, v23, s5
	v_cmp_lt_f32_e64 s10, v1, v21
	s_delay_alu instid0(VALU_DEP_1) | instskip(SKIP_2) | instid1(VALU_DEP_3)
	v_cndmask_b32_e64 v0, v1, v21, s10
	v_lshrrev_b32_e32 v1, 16, v2
	v_and_b32_e32 v2, 0xffff, v3
	v_cmp_lt_f32_e64 s12, v0, v22
	s_delay_alu instid0(VALU_DEP_3) | instskip(NEXT) | instid1(VALU_DEP_3)
	v_cvt_f32_u32_e32 v19, v1
	v_cvt_f32_u32_e32 v18, v2
	v_lshrrev_b32_e32 v1, 16, v3
	s_waitcnt vmcnt(0)
	v_and_b32_e32 v2, 0xffff, v9
	v_cndmask_b32_e64 v0, v0, v22, s12
	s_delay_alu instid0(VALU_DEP_3) | instskip(NEXT) | instid1(VALU_DEP_3)
	v_cvt_f32_u32_e32 v17, v1
	v_cvt_f32_u32_e32 v16, v2
	s_delay_alu instid0(VALU_DEP_3) | instskip(SKIP_2) | instid1(VALU_DEP_3)
	v_cmp_lt_f32_e64 s13, v0, v20
	v_lshrrev_b32_e32 v1, 16, v9
	v_and_b32_e32 v2, 0xffff, v10
	v_cndmask_b32_e64 v0, v0, v20, s13
	s_delay_alu instid0(VALU_DEP_3) | instskip(NEXT) | instid1(VALU_DEP_3)
	v_cvt_f32_u32_e32 v15, v1
	v_cvt_f32_u32_e32 v14, v2
	v_lshrrev_b32_e32 v1, 16, v10
	v_and_b32_e32 v2, 0xffff, v11
	v_cmp_lt_f32_e64 s14, v0, v19
	s_delay_alu instid0(VALU_DEP_3) | instskip(SKIP_1) | instid1(VALU_DEP_3)
	v_cvt_f32_u32_e32 v13, v1
	v_lshrrev_b32_e32 v1, 16, v11
	v_cndmask_b32_e64 v0, v0, v19, s14
	v_cvt_f32_u32_e32 v11, v2
	v_and_b32_e32 v2, 0xffff, v12
	s_delay_alu instid0(VALU_DEP_4) | instskip(NEXT) | instid1(VALU_DEP_4)
	v_cvt_f32_u32_e32 v10, v1
	v_cmp_lt_f32_e64 s15, v0, v18
	v_lshrrev_b32_e32 v1, 16, v12
	s_delay_alu instid0(VALU_DEP_4) | instskip(NEXT) | instid1(VALU_DEP_3)
	v_cvt_f32_u32_e32 v9, v2
	v_cndmask_b32_e64 v0, v0, v18, s15
	s_delay_alu instid0(VALU_DEP_3) | instskip(NEXT) | instid1(VALU_DEP_2)
	v_cvt_f32_u32_e32 v7, v1
	v_cmp_lt_f32_e64 s7, v0, v17
	s_delay_alu instid0(VALU_DEP_1) | instskip(NEXT) | instid1(VALU_DEP_1)
	v_cndmask_b32_e64 v0, v0, v17, s7
	v_cmp_lt_f32_e64 s11, v0, v16
	s_delay_alu instid0(VALU_DEP_1) | instskip(NEXT) | instid1(VALU_DEP_1)
	v_cndmask_b32_e64 v0, v0, v16, s11
	;; [unrolled: 3-line block ×7, first 2 shown]
	v_cmp_lt_f32_e32 vcc_lo, v0, v9
	v_cndmask_b32_e32 v0, v0, v9, vcc_lo
	s_delay_alu instid0(VALU_DEP_1) | instskip(NEXT) | instid1(VALU_DEP_1)
	v_cmp_lt_f32_e64 s2, v0, v7
	v_cndmask_b32_e64 v8, v0, v7, s2
	s_cbranch_scc1 .LBB249_8
; %bb.5:
	v_cndmask_b32_e64 v0, 0, 1, s5
	s_delay_alu instid0(VALU_DEP_2) | instskip(SKIP_1) | instid1(VALU_DEP_3)
	v_sub_f32_e32 v12, v8, v8
	v_mul_lo_u32 v4, v6, s16
	v_cndmask_b32_e64 v0, v0, 2, s10
	s_delay_alu instid0(VALU_DEP_3) | instskip(NEXT) | instid1(VALU_DEP_2)
	v_mul_f32_e32 v1, 0x3fb8aa3b, v12
	v_cndmask_b32_e64 v0, v0, 3, s12
	s_delay_alu instid0(VALU_DEP_2) | instskip(SKIP_1) | instid1(VALU_DEP_3)
	v_rndne_f32_e32 v29, v1
	v_fma_f32 v3, 0x3fb8aa3b, v12, -v1
	v_cndmask_b32_e64 v0, v0, 4, s13
	s_delay_alu instid0(VALU_DEP_3) | instskip(NEXT) | instid1(VALU_DEP_3)
	v_sub_f32_e32 v1, v1, v29
	v_fmac_f32_e32 v3, 0x32a5705f, v12
	v_cvt_i32_f32_e32 v29, v29
	s_delay_alu instid0(VALU_DEP_4) | instskip(NEXT) | instid1(VALU_DEP_3)
	v_cndmask_b32_e64 v0, v0, 5, s14
	v_add_f32_e32 v27, v1, v3
	s_delay_alu instid0(VALU_DEP_2) | instskip(SKIP_1) | instid1(VALU_DEP_2)
	v_cndmask_b32_e64 v0, v0, 6, s15
	s_load_b128 s[12:15], s[0:1], 0x20
	v_exp_f32_e32 v30, v27
	s_delay_alu instid0(VALU_DEP_1) | instskip(NEXT) | instid1(VALU_DEP_1)
	v_cndmask_b32_e64 v0, v0, 7, s7
	v_cndmask_b32_e64 v2, v0, 8, s11
	v_mul_lo_u32 v0, v6, s19
	s_waitcnt_depctr 0xfff
	v_ldexp_f32 v29, v30, v29
	v_cndmask_b32_e64 v5, v2, 9, s9
	v_mul_lo_u32 v2, v6, s22
	v_ashrrev_i32_e32 v1, 31, v0
	s_delay_alu instid0(VALU_DEP_3) | instskip(NEXT) | instid1(VALU_DEP_3)
	v_cndmask_b32_e64 v5, v5, 10, s6
	v_ashrrev_i32_e32 v3, 31, v2
	s_delay_alu instid0(VALU_DEP_2) | instskip(SKIP_1) | instid1(VALU_DEP_2)
	v_cndmask_b32_e64 v28, v5, 11, s8
	v_ashrrev_i32_e32 v5, 31, v4
	v_cndmask_b32_e64 v31, v28, 12, s4
	v_lshlrev_b64 v[27:28], 2, v[0:1]
	v_lshlrev_b64 v[0:1], 2, v[2:3]
	s_delay_alu instid0(VALU_DEP_4) | instskip(NEXT) | instid1(VALU_DEP_4)
	v_lshlrev_b64 v[2:3], 2, v[4:5]
	v_cndmask_b32_e64 v31, v31, 13, s3
	s_delay_alu instid0(VALU_DEP_4) | instskip(NEXT) | instid1(VALU_DEP_1)
	v_add_co_u32 v4, s0, s20, v27
	v_add_co_ci_u32_e64 v5, s0, s21, v28, s0
	s_delay_alu instid0(VALU_DEP_3) | instskip(SKIP_3) | instid1(VALU_DEP_3)
	v_cndmask_b32_e64 v30, v31, 14, vcc_lo
	s_waitcnt lgkmcnt(0)
	v_add_co_u32 v27, vcc_lo, s12, v0
	v_add_co_ci_u32_e32 v28, vcc_lo, s13, v1, vcc_lo
	v_cndmask_b32_e64 v32, v30, 15, s2
	v_cmp_ngt_f32_e32 vcc_lo, 0xc2ce8ed0, v12
	s_delay_alu instid0(VALU_DEP_2) | instskip(SKIP_3) | instid1(VALU_DEP_4)
	v_cmp_ne_u32_e64 s1, 15, v32
	v_cndmask_b32_e32 v31, 0, v29, vcc_lo
	v_add_co_u32 v29, vcc_lo, s14, v2
	v_add_co_ci_u32_e32 v30, vcc_lo, s15, v3, vcc_lo
	v_cndmask_b32_e64 v7, 0xff800000, v7, s1
	v_cmp_ne_u32_e64 s1, 14, v32
	v_cmp_nlt_f32_e32 vcc_lo, 0x42b17218, v12
	v_cmp_gt_i32_e64 s0, s18, v32
	s_delay_alu instid0(VALU_DEP_3) | instskip(SKIP_4) | instid1(VALU_DEP_4)
	v_cndmask_b32_e64 v9, 0xff800000, v9, s1
	v_cmp_ne_u32_e64 s1, 13, v32
	v_cndmask_b32_e32 v12, 0x7f800000, v31, vcc_lo
	v_cmp_le_i32_e32 vcc_lo, s17, v32
	v_subrev_nc_u32_e32 v31, s17, v32
	v_cndmask_b32_e64 v10, 0xff800000, v10, s1
	v_cmp_ne_u32_e64 s1, 12, v32
	s_and_b32 s0, vcc_lo, s0
	v_cmp_ne_u32_e32 vcc_lo, 3, v32
	global_store_b32 v[4:5], v12, off
	v_cndmask_b32_e64 v11, 0xff800000, v11, s1
	v_cmp_ne_u32_e64 s1, 11, v32
	v_cndmask_b32_e32 v22, 0xff800000, v22, vcc_lo
	s_and_b32 vcc_lo, s25, s0
	s_cmp_eq_u32 s16, 1
	v_cndmask_b32_e32 v31, 16, v31, vcc_lo
	v_cndmask_b32_e64 v13, 0xff800000, v13, s1
	v_cmp_ne_u32_e64 s1, 10, v32
	v_cmp_ne_u32_e32 vcc_lo, 2, v32
	global_store_b32 v[27:28], v31, off
	global_store_b32 v[29:30], v6, off
	v_cndmask_b32_e64 v14, 0xff800000, v14, s1
	v_cmp_ne_u32_e64 s1, 9, v32
	v_cndmask_b32_e32 v21, 0xff800000, v21, vcc_lo
	v_cmp_ne_u32_e32 vcc_lo, 1, v32
	s_delay_alu instid0(VALU_DEP_3) | instskip(SKIP_3) | instid1(VALU_DEP_3)
	v_cndmask_b32_e64 v15, 0xff800000, v15, s1
	v_cmp_ne_u32_e64 s1, 8, v32
	v_cndmask_b32_e32 v23, 0xff800000, v23, vcc_lo
	v_cmp_ne_u32_e32 vcc_lo, 0, v32
	v_cndmask_b32_e64 v16, 0xff800000, v16, s1
	v_cmp_ne_u32_e64 s1, 7, v32
	v_cndmask_b32_e32 v24, 0xff800000, v24, vcc_lo
	s_delay_alu instid0(VALU_DEP_2) | instskip(SKIP_1) | instid1(VALU_DEP_1)
	v_cndmask_b32_e64 v17, 0xff800000, v17, s1
	v_cmp_ne_u32_e64 s1, 6, v32
	v_cndmask_b32_e64 v18, 0xff800000, v18, s1
	v_cmp_ne_u32_e64 s1, 5, v32
	s_delay_alu instid0(VALU_DEP_1) | instskip(SKIP_1) | instid1(VALU_DEP_1)
	v_cndmask_b32_e64 v19, 0xff800000, v19, s1
	v_cmp_ne_u32_e64 s1, 4, v32
	v_cndmask_b32_e64 v20, 0xff800000, v20, s1
	s_cbranch_scc1 .LBB249_9
; %bb.6:
	v_add_co_u32 v2, vcc_lo, v2, s14
	v_add_co_ci_u32_e32 v3, vcc_lo, s15, v3, vcc_lo
	v_add_co_u32 v27, vcc_lo, v0, s12
	v_add_co_ci_u32_e32 v28, vcc_lo, s13, v1, vcc_lo
	s_delay_alu instid0(VALU_DEP_4) | instskip(NEXT) | instid1(VALU_DEP_4)
	v_add_co_u32 v0, vcc_lo, v2, 4
	v_add_co_ci_u32_e32 v1, vcc_lo, 0, v3, vcc_lo
	s_delay_alu instid0(VALU_DEP_4) | instskip(NEXT) | instid1(VALU_DEP_4)
	v_add_co_u32 v2, vcc_lo, v27, 4
	v_add_co_ci_u32_e32 v3, vcc_lo, 0, v28, vcc_lo
	s_add_i32 s26, s26, s24
	v_add_co_u32 v4, vcc_lo, v4, 4
	v_add_co_ci_u32_e32 v5, vcc_lo, 0, v5, vcc_lo
	v_add3_u32 v25, s26, v26, v25
	s_add_i32 s2, s16, -1
.LBB249_7:                              ; =>This Inner Loop Header: Depth=1
	v_cmp_gt_f32_e32 vcc_lo, v23, v24
	s_add_i32 s2, s2, -1
	v_cndmask_b32_e32 v26, v24, v23, vcc_lo
	v_cndmask_b32_e64 v27, 0, 1, vcc_lo
	s_delay_alu instid0(VALU_DEP_2) | instskip(SKIP_1) | instid1(VALU_DEP_3)
	v_cmp_gt_f32_e32 vcc_lo, v21, v26
	v_cndmask_b32_e32 v26, v26, v21, vcc_lo
	v_cndmask_b32_e64 v27, v27, 2, vcc_lo
	s_delay_alu instid0(VALU_DEP_2) | instskip(SKIP_1) | instid1(VALU_DEP_3)
	v_cmp_gt_f32_e32 vcc_lo, v22, v26
	;; [unrolled: 4-line block ×13, first 2 shown]
	v_cndmask_b32_e32 v26, v26, v9, vcc_lo
	v_cndmask_b32_e64 v27, v27, 14, vcc_lo
	s_delay_alu instid0(VALU_DEP_2) | instskip(NEXT) | instid1(VALU_DEP_2)
	v_cmp_gt_f32_e32 vcc_lo, v7, v26
	v_cndmask_b32_e64 v27, v27, 15, vcc_lo
	v_cndmask_b32_e32 v26, v26, v7, vcc_lo
	s_delay_alu instid0(VALU_DEP_2) | instskip(NEXT) | instid1(VALU_DEP_2)
	v_cmp_ne_u32_e64 s1, 15, v27
	v_sub_f32_e32 v26, v26, v8
	v_cmp_le_i32_e32 vcc_lo, s17, v27
	v_cmp_gt_i32_e64 s0, s18, v27
	v_subrev_nc_u32_e32 v29, s17, v27
	v_cndmask_b32_e64 v7, 0xff800000, v7, s1
	v_cmp_ne_u32_e64 s1, 14, v27
	v_mul_f32_e32 v28, 0x3fb8aa3b, v26
	s_and_b32 s0, vcc_lo, s0
	s_delay_alu instid0(SALU_CYCLE_1) | instskip(NEXT) | instid1(VALU_DEP_2)
	s_and_b32 vcc_lo, s25, s0
	v_cndmask_b32_e64 v9, 0xff800000, v9, s1
	v_cmp_ne_u32_e64 s1, 13, v27
	v_rndne_f32_e32 v30, v28
	v_cndmask_b32_e32 v29, 16, v29, vcc_lo
	global_store_b32 v[2:3], v29, off
	global_store_b32 v[0:1], v25, off
	v_cndmask_b32_e64 v10, 0xff800000, v10, s1
	v_cmp_ne_u32_e64 s1, 12, v27
	v_add_co_u32 v0, vcc_lo, v0, 4
	v_add_co_ci_u32_e32 v1, vcc_lo, 0, v1, vcc_lo
	s_delay_alu instid0(VALU_DEP_3) | instskip(SKIP_3) | instid1(VALU_DEP_3)
	v_cndmask_b32_e64 v11, 0xff800000, v11, s1
	v_cmp_ne_u32_e64 s1, 11, v27
	v_add_co_u32 v2, vcc_lo, v2, 4
	v_add_co_ci_u32_e32 v3, vcc_lo, 0, v3, vcc_lo
	v_cndmask_b32_e64 v13, 0xff800000, v13, s1
	v_cmp_ne_u32_e64 s1, 10, v27
	v_cmp_ngt_f32_e32 vcc_lo, 0xc2ce8ed0, v26
	v_add_nc_u32_e32 v25, s24, v25
	s_cmp_eq_u32 s2, 0
	s_delay_alu instid0(VALU_DEP_3) | instskip(SKIP_1) | instid1(VALU_DEP_1)
	v_cndmask_b32_e64 v14, 0xff800000, v14, s1
	v_cmp_ne_u32_e64 s1, 9, v27
	v_cndmask_b32_e64 v15, 0xff800000, v15, s1
	v_cmp_ne_u32_e64 s1, 8, v27
	s_delay_alu instid0(VALU_DEP_1) | instskip(SKIP_1) | instid1(VALU_DEP_1)
	v_cndmask_b32_e64 v16, 0xff800000, v16, s1
	v_cmp_ne_u32_e64 s1, 7, v27
	v_cndmask_b32_e64 v17, 0xff800000, v17, s1
	v_cmp_ne_u32_e64 s1, 6, v27
	s_delay_alu instid0(VALU_DEP_1) | instskip(SKIP_1) | instid1(VALU_DEP_1)
	;; [unrolled: 5-line block ×4, first 2 shown]
	v_cndmask_b32_e64 v21, 0xff800000, v21, s1
	v_cmp_ne_u32_e64 s1, 1, v27
	v_cndmask_b32_e64 v23, 0xff800000, v23, s1
	v_cmp_ne_u32_e64 s1, 0, v27
	v_fma_f32 v27, 0x3fb8aa3b, v26, -v28
	v_sub_f32_e32 v28, v28, v30
	v_cvt_i32_f32_e32 v30, v30
	s_delay_alu instid0(VALU_DEP_4) | instskip(NEXT) | instid1(VALU_DEP_4)
	v_cndmask_b32_e64 v24, 0xff800000, v24, s1
	v_fmac_f32_e32 v27, 0x32a5705f, v26
	s_delay_alu instid0(VALU_DEP_1) | instskip(NEXT) | instid1(VALU_DEP_1)
	v_add_f32_e32 v27, v28, v27
	v_exp_f32_e32 v27, v27
	s_waitcnt_depctr 0xfff
	v_ldexp_f32 v27, v27, v30
	s_delay_alu instid0(VALU_DEP_1) | instskip(SKIP_1) | instid1(VALU_DEP_2)
	v_cndmask_b32_e32 v27, 0, v27, vcc_lo
	v_cmp_nlt_f32_e32 vcc_lo, 0x42b17218, v26
	v_cndmask_b32_e32 v26, 0x7f800000, v27, vcc_lo
	global_store_b32 v[4:5], v26, off
	v_add_co_u32 v4, vcc_lo, v4, 4
	v_add_f32_e32 v12, v12, v26
	v_add_co_ci_u32_e32 v5, vcc_lo, 0, v5, vcc_lo
	s_cbranch_scc0 .LBB249_7
	s_branch .LBB249_9
.LBB249_8:
	v_mov_b32_e32 v12, 0
.LBB249_9:
	s_delay_alu instid0(VALU_DEP_2) | instskip(SKIP_4) | instid1(VALU_DEP_4)
	v_sub_f32_e32 v3, v21, v8
	v_sub_f32_e32 v0, v24, v8
	;; [unrolled: 1-line block ×5, first 2 shown]
	v_dual_mul_f32 v25, 0x3fb8aa3b, v3 :: v_dual_mul_f32 v2, 0x3fb8aa3b, v0
	v_cmp_ngt_f32_e32 vcc_lo, 0xc2ce8ed0, v0
	v_sub_f32_e32 v19, v19, v8
	v_sub_f32_e32 v17, v17, v8
	;; [unrolled: 1-line block ×3, first 2 shown]
	v_rndne_f32_e32 v22, v2
	v_sub_f32_e32 v1, v23, v8
	v_fma_f32 v21, 0x3fb8aa3b, v0, -v2
	v_sub_f32_e32 v10, v10, v8
	s_delay_alu instid0(VALU_DEP_4) | instskip(NEXT) | instid1(VALU_DEP_4)
	v_sub_f32_e32 v2, v2, v22
	v_mul_f32_e32 v4, 0x3fb8aa3b, v1
	v_cvt_i32_f32_e32 v22, v22
	s_delay_alu instid0(VALU_DEP_2) | instskip(SKIP_1) | instid1(VALU_DEP_2)
	v_fma_f32 v23, 0x3fb8aa3b, v1, -v4
	v_rndne_f32_e32 v24, v4
	v_dual_sub_f32 v20, v20, v8 :: v_dual_fmac_f32 v23, 0x32a5705f, v1
	s_delay_alu instid0(VALU_DEP_2) | instskip(NEXT) | instid1(VALU_DEP_2)
	v_sub_f32_e32 v4, v4, v24
	v_mul_f32_e32 v27, 0x3fb8aa3b, v20
	v_cvt_i32_f32_e32 v24, v24
	s_delay_alu instid0(VALU_DEP_3) | instskip(SKIP_2) | instid1(VALU_DEP_3)
	v_add_f32_e32 v4, v4, v23
	v_mul_f32_e32 v26, 0x3fb8aa3b, v5
	v_rndne_f32_e32 v23, v25
	v_exp_f32_e32 v4, v4
	s_delay_alu instid0(VALU_DEP_2) | instskip(SKIP_2) | instid1(VALU_DEP_3)
	v_fma_f32 v28, 0x3fb8aa3b, v5, -v26
	v_fmac_f32_e32 v21, 0x32a5705f, v0
	v_rndne_f32_e32 v29, v26
	v_fmac_f32_e32 v28, 0x32a5705f, v5
	s_delay_alu instid0(VALU_DEP_3) | instskip(SKIP_2) | instid1(TRANS32_DEP_1)
	v_add_f32_e32 v2, v2, v21
	v_fma_f32 v21, 0x3fb8aa3b, v3, -v25
	v_sub_f32_e32 v25, v25, v23
	v_ldexp_f32 v4, v4, v24
	v_cvt_i32_f32_e32 v23, v23
	v_exp_f32_e32 v2, v2
	v_fmac_f32_e32 v21, 0x32a5705f, v3
	s_waitcnt_depctr 0xfff
	v_ldexp_f32 v2, v2, v22
	s_delay_alu instid0(VALU_DEP_1) | instskip(SKIP_1) | instid1(VALU_DEP_2)
	v_dual_add_f32 v21, v25, v21 :: v_dual_cndmask_b32 v2, 0, v2
	v_cmp_ngt_f32_e32 vcc_lo, 0xc2ce8ed0, v1
	v_exp_f32_e32 v21, v21
	v_cndmask_b32_e32 v4, 0, v4, vcc_lo
	v_cmp_nlt_f32_e32 vcc_lo, 0x42b17218, v0
	v_cndmask_b32_e32 v0, 0x7f800000, v2, vcc_lo
	v_cmp_nlt_f32_e32 vcc_lo, 0x42b17218, v1
	v_fma_f32 v2, 0x3fb8aa3b, v20, -v27
	v_cndmask_b32_e32 v1, 0x7f800000, v4, vcc_lo
	s_delay_alu instid0(TRANS32_DEP_1) | instskip(SKIP_3) | instid1(VALU_DEP_4)
	v_ldexp_f32 v4, v21, v23
	v_cmp_ngt_f32_e32 vcc_lo, 0xc2ce8ed0, v3
	v_sub_f32_e32 v22, v26, v29
	v_rndne_f32_e32 v21, v27
	v_dual_add_f32 v0, v0, v1 :: v_dual_cndmask_b32 v1, 0, v4
	v_cmp_nlt_f32_e32 vcc_lo, 0x42b17218, v3
	s_delay_alu instid0(VALU_DEP_4) | instskip(SKIP_3) | instid1(VALU_DEP_4)
	v_add_f32_e32 v22, v22, v28
	v_cvt_i32_f32_e32 v4, v29
	v_sub_f32_e32 v23, v27, v21
	v_cndmask_b32_e32 v1, 0x7f800000, v1, vcc_lo
	v_exp_f32_e32 v22, v22
	v_cmp_ngt_f32_e32 vcc_lo, 0xc2ce8ed0, v5
	s_delay_alu instid0(VALU_DEP_2) | instskip(SKIP_3) | instid1(VALU_DEP_2)
	v_add_f32_e32 v0, v0, v1
	s_waitcnt_depctr 0xfff
	v_ldexp_f32 v3, v22, v4
	v_mul_f32_e32 v4, 0x3fb8aa3b, v19
	v_cndmask_b32_e32 v1, 0, v3, vcc_lo
	v_cmp_nlt_f32_e32 vcc_lo, 0x42b17218, v5
	v_cvt_i32_f32_e32 v5, v21
	v_mul_f32_e32 v21, 0x3fb8aa3b, v18
	v_fma_f32 v3, 0x3fb8aa3b, v19, -v4
	v_fmac_f32_e32 v2, 0x32a5705f, v20
	v_cndmask_b32_e32 v1, 0x7f800000, v1, vcc_lo
	v_rndne_f32_e32 v22, v4
	v_cmp_ngt_f32_e32 vcc_lo, 0xc2ce8ed0, v20
	s_delay_alu instid0(VALU_DEP_4) | instskip(NEXT) | instid1(VALU_DEP_4)
	v_dual_fmac_f32 v3, 0x32a5705f, v19 :: v_dual_add_f32 v2, v23, v2
	v_add_f32_e32 v0, v0, v1
	s_delay_alu instid0(VALU_DEP_4) | instskip(NEXT) | instid1(VALU_DEP_3)
	v_sub_f32_e32 v4, v4, v22
	v_exp_f32_e32 v2, v2
	s_waitcnt_depctr 0xfff
	v_ldexp_f32 v1, v2, v5
	s_delay_alu instid0(VALU_DEP_1)
	v_cndmask_b32_e32 v1, 0, v1, vcc_lo
	v_cmp_nlt_f32_e32 vcc_lo, 0x42b17218, v20
	v_add_f32_e32 v2, v4, v3
	v_fma_f32 v3, 0x3fb8aa3b, v18, -v21
	v_rndne_f32_e32 v4, v21
	v_cvt_i32_f32_e32 v20, v22
	v_cndmask_b32_e32 v1, 0x7f800000, v1, vcc_lo
	v_exp_f32_e32 v2, v2
	v_fmac_f32_e32 v3, 0x32a5705f, v18
	v_sub_f32_e32 v5, v21, v4
	v_cmp_ngt_f32_e32 vcc_lo, 0xc2ce8ed0, v19
	v_add_f32_e32 v0, v0, v1
	v_cvt_i32_f32_e32 v4, v4
	s_delay_alu instid0(VALU_DEP_4) | instskip(SKIP_1) | instid1(TRANS32_DEP_1)
	v_add_f32_e32 v3, v5, v3
	v_mul_f32_e32 v5, 0x3fb8aa3b, v17
	v_ldexp_f32 v1, v2, v20
	s_delay_alu instid0(VALU_DEP_3)
	v_exp_f32_e32 v2, v3
	s_waitcnt_depctr 0xfff
	v_ldexp_f32 v2, v2, v4
	v_dual_sub_f32 v4, v16, v8 :: v_dual_cndmask_b32 v1, 0, v1
	v_cmp_nlt_f32_e32 vcc_lo, 0x42b17218, v19
	v_fma_f32 v3, 0x3fb8aa3b, v17, -v5
	v_rndne_f32_e32 v20, v5
	s_delay_alu instid0(VALU_DEP_4) | instskip(SKIP_1) | instid1(VALU_DEP_4)
	v_cndmask_b32_e32 v1, 0x7f800000, v1, vcc_lo
	v_cmp_ngt_f32_e32 vcc_lo, 0xc2ce8ed0, v18
	v_fmac_f32_e32 v3, 0x32a5705f, v17
	s_delay_alu instid0(VALU_DEP_3) | instskip(SKIP_2) | instid1(VALU_DEP_2)
	v_dual_sub_f32 v5, v5, v20 :: v_dual_add_f32 v0, v0, v1
	v_cndmask_b32_e32 v1, 0, v2, vcc_lo
	v_cmp_nlt_f32_e32 vcc_lo, 0x42b17218, v18
	v_cndmask_b32_e32 v1, 0x7f800000, v1, vcc_lo
	s_delay_alu instid0(VALU_DEP_4)
	v_add_f32_e32 v3, v5, v3
	v_sub_f32_e32 v5, v15, v8
	v_cvt_i32_f32_e32 v15, v20
	v_cmp_ngt_f32_e32 vcc_lo, 0xc2ce8ed0, v17
	v_add_f32_e32 v0, v0, v1
	v_exp_f32_e32 v2, v3
	v_mul_f32_e32 v19, 0x3fb8aa3b, v5
	s_waitcnt_depctr 0xfff
	v_ldexp_f32 v1, v2, v15
	v_rndne_f32_e32 v15, v19
	v_mul_f32_e32 v3, 0x3fb8aa3b, v4
	s_delay_alu instid0(VALU_DEP_3) | instskip(SKIP_1) | instid1(VALU_DEP_3)
	v_cndmask_b32_e32 v1, 0, v1, vcc_lo
	v_cmp_nlt_f32_e32 vcc_lo, 0x42b17218, v17
	v_fma_f32 v16, 0x3fb8aa3b, v4, -v3
	v_rndne_f32_e32 v18, v3
	s_delay_alu instid0(VALU_DEP_4) | instskip(NEXT) | instid1(VALU_DEP_3)
	v_cndmask_b32_e32 v1, 0x7f800000, v1, vcc_lo
	v_fmac_f32_e32 v16, 0x32a5705f, v4
	s_delay_alu instid0(VALU_DEP_3) | instskip(SKIP_1) | instid1(VALU_DEP_4)
	v_sub_f32_e32 v2, v3, v18
	v_fma_f32 v3, 0x3fb8aa3b, v5, -v19
	v_dual_sub_f32 v13, v13, v8 :: v_dual_add_f32 v0, v0, v1
	v_cvt_i32_f32_e32 v18, v18
	s_delay_alu instid0(VALU_DEP_3) | instskip(SKIP_1) | instid1(VALU_DEP_4)
	v_dual_add_f32 v2, v2, v16 :: v_dual_fmac_f32 v3, 0x32a5705f, v5
	v_dual_sub_f32 v16, v19, v15 :: v_dual_mul_f32 v19, 0x3fb8aa3b, v14
	v_mul_f32_e32 v20, 0x3fb8aa3b, v13
	s_delay_alu instid0(VALU_DEP_3) | instskip(SKIP_1) | instid1(VALU_DEP_3)
	v_exp_f32_e32 v2, v2
	v_cmp_ngt_f32_e32 vcc_lo, 0xc2ce8ed0, v4
	v_add_f32_e32 v3, v16, v3
	v_fma_f32 v16, 0x3fb8aa3b, v14, -v19
	v_rndne_f32_e32 v17, v19
	s_delay_alu instid0(VALU_DEP_1) | instskip(SKIP_4) | instid1(VALU_DEP_3)
	v_dual_fmac_f32 v16, 0x32a5705f, v14 :: v_dual_sub_f32 v19, v19, v17
	s_waitcnt_depctr 0xfff
	v_ldexp_f32 v1, v2, v18
	v_cvt_i32_f32_e32 v2, v15
	v_rndne_f32_e32 v18, v20
	v_cndmask_b32_e32 v1, 0, v1, vcc_lo
	v_cmp_nlt_f32_e32 vcc_lo, 0x42b17218, v4
	v_cvt_i32_f32_e32 v4, v17
	s_delay_alu instid0(VALU_DEP_3) | instskip(SKIP_3) | instid1(VALU_DEP_4)
	v_cndmask_b32_e32 v1, 0x7f800000, v1, vcc_lo
	v_add_f32_e32 v15, v19, v16
	v_fma_f32 v16, 0x3fb8aa3b, v13, -v20
	v_cmp_ngt_f32_e32 vcc_lo, 0xc2ce8ed0, v5
	v_add_f32_e32 v0, v0, v1
	s_delay_alu instid0(VALU_DEP_3) | instskip(SKIP_4) | instid1(VALU_DEP_1)
	v_fmac_f32_e32 v16, 0x32a5705f, v13
	v_exp_f32_e32 v3, v3
	s_waitcnt_depctr 0xfff
	v_ldexp_f32 v2, v3, v2
	v_exp_f32_e32 v3, v15
	v_cndmask_b32_e32 v2, 0, v2, vcc_lo
	v_cmp_nlt_f32_e32 vcc_lo, 0x42b17218, v5
	s_waitcnt_depctr 0xfff
	v_ldexp_f32 v1, v3, v4
	v_cndmask_b32_e32 v2, 0x7f800000, v2, vcc_lo
	v_cmp_ngt_f32_e32 vcc_lo, 0xc2ce8ed0, v14
	v_dual_sub_f32 v4, v11, v8 :: v_dual_mul_f32 v11, 0x3fb8aa3b, v10
	v_sub_f32_e32 v15, v20, v18
	s_delay_alu instid0(VALU_DEP_4) | instskip(SKIP_3) | instid1(VALU_DEP_4)
	v_dual_add_f32 v0, v0, v2 :: v_dual_cndmask_b32 v1, 0, v1
	v_cmp_nlt_f32_e32 vcc_lo, 0x42b17218, v14
	v_cvt_i32_f32_e32 v2, v18
	v_mul_f32_e32 v5, 0x3fb8aa3b, v4
	v_cndmask_b32_e32 v1, 0x7f800000, v1, vcc_lo
	v_add_f32_e32 v15, v15, v16
	v_cmp_ngt_f32_e32 vcc_lo, 0xc2ce8ed0, v13
	s_delay_alu instid0(VALU_DEP_3) | instskip(NEXT) | instid1(VALU_DEP_3)
	v_add_f32_e32 v0, v0, v1
	v_exp_f32_e32 v3, v15
	v_fma_f32 v1, 0x3fb8aa3b, v4, -v5
	s_delay_alu instid0(VALU_DEP_1) | instskip(SKIP_3) | instid1(VALU_DEP_2)
	v_fmac_f32_e32 v1, 0x32a5705f, v4
	s_waitcnt_depctr 0xfff
	v_ldexp_f32 v2, v3, v2
	v_rndne_f32_e32 v3, v5
	v_cndmask_b32_e32 v2, 0, v2, vcc_lo
	v_cmp_nlt_f32_e32 vcc_lo, 0x42b17218, v13
	s_delay_alu instid0(VALU_DEP_3) | instskip(SKIP_1) | instid1(VALU_DEP_2)
	v_sub_f32_e32 v5, v5, v3
	v_cvt_i32_f32_e32 v3, v3
	v_dual_cndmask_b32 v2, 0x7f800000, v2 :: v_dual_add_f32 v1, v5, v1
	v_cmp_ngt_f32_e32 vcc_lo, 0xc2ce8ed0, v4
	v_rndne_f32_e32 v5, v11
	s_delay_alu instid0(VALU_DEP_3) | instskip(NEXT) | instid1(VALU_DEP_4)
	v_add_f32_e32 v0, v0, v2
	v_exp_f32_e32 v1, v1
	v_fma_f32 v2, 0x3fb8aa3b, v10, -v11
	s_delay_alu instid0(VALU_DEP_1) | instskip(SKIP_2) | instid1(VALU_DEP_1)
	v_fmac_f32_e32 v2, 0x32a5705f, v10
	s_waitcnt_depctr 0xfff
	v_ldexp_f32 v1, v1, v3
	v_cndmask_b32_e32 v1, 0, v1, vcc_lo
	v_cmp_nlt_f32_e32 vcc_lo, 0x42b17218, v4
	s_delay_alu instid0(VALU_DEP_2) | instskip(SKIP_3) | instid1(VALU_DEP_4)
	v_cndmask_b32_e32 v1, 0x7f800000, v1, vcc_lo
	v_dual_sub_f32 v9, v9, v8 :: v_dual_sub_f32 v8, v11, v5
	v_cvt_i32_f32_e32 v5, v5
	v_cmp_ngt_f32_e32 vcc_lo, 0xc2ce8ed0, v10
	v_add_f32_e32 v0, v0, v1
	s_delay_alu instid0(VALU_DEP_4) | instskip(NEXT) | instid1(VALU_DEP_1)
	v_add_f32_e32 v2, v8, v2
	v_exp_f32_e32 v2, v2
	s_waitcnt_depctr 0xfff
	v_ldexp_f32 v2, v2, v5
	s_delay_alu instid0(VALU_DEP_1) | instskip(SKIP_1) | instid1(VALU_DEP_2)
	v_cndmask_b32_e32 v2, 0, v2, vcc_lo
	v_cmp_nlt_f32_e32 vcc_lo, 0x42b17218, v10
	v_cndmask_b32_e32 v2, 0x7f800000, v2, vcc_lo
	v_mul_f32_e32 v13, 0x3fb8aa3b, v9
	v_cmp_ngt_f32_e32 vcc_lo, 0xc2ce8ed0, v9
	s_delay_alu instid0(VALU_DEP_3) | instskip(NEXT) | instid1(VALU_DEP_3)
	v_add_f32_e32 v0, v0, v2
	v_fma_f32 v11, 0x3fb8aa3b, v9, -v13
	v_rndne_f32_e32 v14, v13
	s_delay_alu instid0(VALU_DEP_1) | instskip(SKIP_1) | instid1(VALU_DEP_2)
	v_dual_fmac_f32 v11, 0x32a5705f, v9 :: v_dual_sub_f32 v8, v13, v14
	v_cvt_i32_f32_e32 v4, v14
	v_add_f32_e32 v3, v8, v11
	s_delay_alu instid0(VALU_DEP_1) | instskip(SKIP_2) | instid1(VALU_DEP_1)
	v_exp_f32_e32 v3, v3
	s_waitcnt_depctr 0xfff
	v_ldexp_f32 v1, v3, v4
	v_cndmask_b32_e32 v1, 0, v1, vcc_lo
	v_cmp_nlt_f32_e32 vcc_lo, 0x42b17218, v9
	s_delay_alu instid0(VALU_DEP_2) | instskip(SKIP_2) | instid1(VALU_DEP_3)
	v_cndmask_b32_e32 v1, 0x7f800000, v1, vcc_lo
	v_mul_f32_e32 v15, 0x3fb8aa3b, v7
	v_cmp_ngt_f32_e32 vcc_lo, 0xc2ce8ed0, v7
	v_add_f32_e32 v0, v0, v1
	s_delay_alu instid0(VALU_DEP_3) | instskip(SKIP_1) | instid1(VALU_DEP_1)
	v_fma_f32 v13, 0x3fb8aa3b, v7, -v15
	v_rndne_f32_e32 v16, v15
	v_dual_fmac_f32 v13, 0x32a5705f, v7 :: v_dual_sub_f32 v8, v15, v16
	v_cvt_i32_f32_e32 v3, v16
	s_delay_alu instid0(VALU_DEP_2) | instskip(NEXT) | instid1(VALU_DEP_1)
	v_add_f32_e32 v8, v8, v13
	v_exp_f32_e32 v5, v8
	s_waitcnt_depctr 0xfff
	v_ldexp_f32 v3, v5, v3
	s_delay_alu instid0(VALU_DEP_1) | instskip(SKIP_1) | instid1(VALU_DEP_2)
	v_cndmask_b32_e32 v2, 0, v3, vcc_lo
	v_cmp_nlt_f32_e32 vcc_lo, 0x42b17218, v7
	v_cndmask_b32_e32 v1, 0x7f800000, v2, vcc_lo
	s_delay_alu instid0(VALU_DEP_1) | instskip(NEXT) | instid1(VALU_DEP_1)
	v_add_f32_e32 v0, v0, v1
	v_add_f32_e32 v0, v12, v0
	s_delay_alu instid0(VALU_DEP_1)
	v_cmp_neq_f32_e32 vcc_lo, 0, v0
	s_and_b32 exec_lo, exec_lo, vcc_lo
	s_cbranch_execz .LBB249_13
; %bb.10:
	s_and_not1_b32 vcc_lo, exec_lo, s23
	s_cbranch_vccnz .LBB249_13
; %bb.11:
	v_div_scale_f32 v2, null, v0, v0, 1.0
	v_div_scale_f32 v4, vcc_lo, 1.0, v0, 1.0
	s_delay_alu instid0(VALU_DEP_2) | instskip(SKIP_2) | instid1(VALU_DEP_1)
	v_rcp_f32_e32 v3, v2
	s_waitcnt_depctr 0xfff
	v_fma_f32 v1, -v2, v3, 1.0
	v_fmac_f32_e32 v3, v1, v3
	v_mul_lo_u32 v1, v6, s19
	s_delay_alu instid0(VALU_DEP_2) | instskip(NEXT) | instid1(VALU_DEP_1)
	v_mul_f32_e32 v5, v4, v3
	v_fma_f32 v7, -v2, v5, v4
	s_delay_alu instid0(VALU_DEP_1) | instskip(NEXT) | instid1(VALU_DEP_1)
	v_fmac_f32_e32 v5, v7, v3
	v_fma_f32 v4, -v2, v5, v4
	v_ashrrev_i32_e32 v2, 31, v1
	s_delay_alu instid0(VALU_DEP_2) | instskip(NEXT) | instid1(VALU_DEP_2)
	v_div_fmas_f32 v5, v4, v3, v5
	v_lshlrev_b64 v[3:4], 2, v[1:2]
	s_delay_alu instid0(VALU_DEP_2) | instskip(NEXT) | instid1(VALU_DEP_2)
	v_div_fixup_f32 v2, v5, v0, 1.0
	v_add_co_u32 v0, vcc_lo, s20, v3
	s_delay_alu instid0(VALU_DEP_3)
	v_add_co_ci_u32_e32 v1, vcc_lo, s21, v4, vcc_lo
.LBB249_12:                             ; =>This Inner Loop Header: Depth=1
	global_load_b32 v3, v[0:1], off
	s_add_i32 s16, s16, -1
	s_delay_alu instid0(SALU_CYCLE_1)
	s_cmp_lg_u32 s16, 0
	s_waitcnt vmcnt(0)
	v_mul_f32_e32 v3, v2, v3
	global_store_b32 v[0:1], v3, off
	v_add_co_u32 v0, vcc_lo, v0, 4
	v_add_co_ci_u32_e32 v1, vcc_lo, 0, v1, vcc_lo
	s_cbranch_scc1 .LBB249_12
.LBB249_13:
	s_nop 0
	s_sendmsg sendmsg(MSG_DEALLOC_VGPRS)
	s_endpgm
	.section	.rodata,"a",@progbits
	.p2align	6, 0x0
	.amdhsa_kernel _ZN4vllm3moe17topkGatingSoftmaxItLi16ELi16ELi8ELi32ELb0ELi0ELNS0_23SharedExpertScoringFuncE0EEEvPKT_PKbPfiPiS9_iiiiii
		.amdhsa_group_segment_fixed_size 0
		.amdhsa_private_segment_fixed_size 0
		.amdhsa_kernarg_size 72
		.amdhsa_user_sgpr_count 15
		.amdhsa_user_sgpr_dispatch_ptr 0
		.amdhsa_user_sgpr_queue_ptr 0
		.amdhsa_user_sgpr_kernarg_segment_ptr 1
		.amdhsa_user_sgpr_dispatch_id 0
		.amdhsa_user_sgpr_private_segment_size 0
		.amdhsa_wavefront_size32 1
		.amdhsa_uses_dynamic_stack 0
		.amdhsa_enable_private_segment 0
		.amdhsa_system_sgpr_workgroup_id_x 1
		.amdhsa_system_sgpr_workgroup_id_y 0
		.amdhsa_system_sgpr_workgroup_id_z 0
		.amdhsa_system_sgpr_workgroup_info 0
		.amdhsa_system_vgpr_workitem_id 1
		.amdhsa_next_free_vgpr 33
		.amdhsa_next_free_sgpr 27
		.amdhsa_reserve_vcc 1
		.amdhsa_float_round_mode_32 0
		.amdhsa_float_round_mode_16_64 0
		.amdhsa_float_denorm_mode_32 3
		.amdhsa_float_denorm_mode_16_64 3
		.amdhsa_dx10_clamp 1
		.amdhsa_ieee_mode 1
		.amdhsa_fp16_overflow 0
		.amdhsa_workgroup_processor_mode 1
		.amdhsa_memory_ordered 1
		.amdhsa_forward_progress 0
		.amdhsa_shared_vgpr_count 0
		.amdhsa_exception_fp_ieee_invalid_op 0
		.amdhsa_exception_fp_denorm_src 0
		.amdhsa_exception_fp_ieee_div_zero 0
		.amdhsa_exception_fp_ieee_overflow 0
		.amdhsa_exception_fp_ieee_underflow 0
		.amdhsa_exception_fp_ieee_inexact 0
		.amdhsa_exception_int_div_zero 0
	.end_amdhsa_kernel
	.section	.text._ZN4vllm3moe17topkGatingSoftmaxItLi16ELi16ELi8ELi32ELb0ELi0ELNS0_23SharedExpertScoringFuncE0EEEvPKT_PKbPfiPiS9_iiiiii,"axG",@progbits,_ZN4vllm3moe17topkGatingSoftmaxItLi16ELi16ELi8ELi32ELb0ELi0ELNS0_23SharedExpertScoringFuncE0EEEvPKT_PKbPfiPiS9_iiiiii,comdat
.Lfunc_end249:
	.size	_ZN4vllm3moe17topkGatingSoftmaxItLi16ELi16ELi8ELi32ELb0ELi0ELNS0_23SharedExpertScoringFuncE0EEEvPKT_PKbPfiPiS9_iiiiii, .Lfunc_end249-_ZN4vllm3moe17topkGatingSoftmaxItLi16ELi16ELi8ELi32ELb0ELi0ELNS0_23SharedExpertScoringFuncE0EEEvPKT_PKbPfiPiS9_iiiiii
                                        ; -- End function
	.section	.AMDGPU.csdata,"",@progbits
; Kernel info:
; codeLenInByte = 4352
; NumSgprs: 29
; NumVgprs: 33
; ScratchSize: 0
; MemoryBound: 0
; FloatMode: 240
; IeeeMode: 1
; LDSByteSize: 0 bytes/workgroup (compile time only)
; SGPRBlocks: 3
; VGPRBlocks: 4
; NumSGPRsForWavesPerEU: 29
; NumVGPRsForWavesPerEU: 33
; Occupancy: 16
; WaveLimiterHint : 0
; COMPUTE_PGM_RSRC2:SCRATCH_EN: 0
; COMPUTE_PGM_RSRC2:USER_SGPR: 15
; COMPUTE_PGM_RSRC2:TRAP_HANDLER: 0
; COMPUTE_PGM_RSRC2:TGID_X_EN: 1
; COMPUTE_PGM_RSRC2:TGID_Y_EN: 0
; COMPUTE_PGM_RSRC2:TGID_Z_EN: 0
; COMPUTE_PGM_RSRC2:TIDIG_COMP_CNT: 1
	.section	.text._ZN4vllm3moe17topkGatingSoftmaxItLi16ELi16ELi8ELi32ELb1ELi1ELNS0_23SharedExpertScoringFuncE1EEEvPKT_PKbPfiPiS9_iiiiii,"axG",@progbits,_ZN4vllm3moe17topkGatingSoftmaxItLi16ELi16ELi8ELi32ELb1ELi1ELNS0_23SharedExpertScoringFuncE1EEEvPKT_PKbPfiPiS9_iiiiii,comdat
	.protected	_ZN4vllm3moe17topkGatingSoftmaxItLi16ELi16ELi8ELi32ELb1ELi1ELNS0_23SharedExpertScoringFuncE1EEEvPKT_PKbPfiPiS9_iiiiii ; -- Begin function _ZN4vllm3moe17topkGatingSoftmaxItLi16ELi16ELi8ELi32ELb1ELi1ELNS0_23SharedExpertScoringFuncE1EEEvPKT_PKbPfiPiS9_iiiiii
	.globl	_ZN4vllm3moe17topkGatingSoftmaxItLi16ELi16ELi8ELi32ELb1ELi1ELNS0_23SharedExpertScoringFuncE1EEEvPKT_PKbPfiPiS9_iiiiii
	.p2align	8
	.type	_ZN4vllm3moe17topkGatingSoftmaxItLi16ELi16ELi8ELi32ELb1ELi1ELNS0_23SharedExpertScoringFuncE1EEEvPKT_PKbPfiPiS9_iiiiii,@function
_ZN4vllm3moe17topkGatingSoftmaxItLi16ELi16ELi8ELi32ELb1ELi1ELNS0_23SharedExpertScoringFuncE1EEEvPKT_PKbPfiPiS9_iiiiii: ; @_ZN4vllm3moe17topkGatingSoftmaxItLi16ELi16ELi8ELi32ELb1ELi1ELNS0_23SharedExpertScoringFuncE1EEEvPKT_PKbPfiPiS9_iiiiii
; %bb.0:
	s_load_b32 s12, s[0:1], 0x18
	v_bfe_u32 v1, v0, 10, 10
	v_and_b32_e32 v12, 0x3ff, v0
	s_lshl_b32 s14, s15, 8
	s_mov_b32 s2, exec_lo
	s_delay_alu instid0(VALU_DEP_2) | instskip(NEXT) | instid1(VALU_DEP_1)
	v_lshlrev_b32_e32 v11, 5, v1
	v_add3_u32 v13, v11, v12, s14
	s_waitcnt lgkmcnt(0)
	s_delay_alu instid0(VALU_DEP_1)
	v_cmpx_gt_i32_e64 s12, v13
	s_cbranch_execz .LBB250_12
; %bb.1:
	s_clause 0x1
	s_load_b128 s[4:7], s[0:1], 0x0
	s_load_b64 s[2:3], s[0:1], 0x10
	s_waitcnt lgkmcnt(0)
	s_cmp_eq_u64 s[6:7], 0
	s_cbranch_scc1 .LBB250_3
; %bb.2:
	v_ashrrev_i32_e32 v1, 31, v13
	v_add_co_u32 v0, vcc_lo, s6, v13
	s_delay_alu instid0(VALU_DEP_2) | instskip(SKIP_3) | instid1(VALU_DEP_1)
	v_add_co_ci_u32_e32 v1, vcc_lo, s7, v1, vcc_lo
	global_load_u8 v0, v[0:1], off
	s_waitcnt vmcnt(0)
	v_and_b32_e32 v0, 1, v0
	v_cmp_eq_u32_e32 vcc_lo, 1, v0
	s_xor_b32 s6, vcc_lo, -1
	s_delay_alu instid0(SALU_CYCLE_1)
	s_or_not1_b32 s13, s6, exec_lo
	s_branch .LBB250_4
.LBB250_3:
	s_mov_b32 s13, -1
.LBB250_4:
	s_load_b64 s[8:9], s[0:1], 0x40
	s_waitcnt lgkmcnt(0)
	v_mul_lo_u32 v0, v13, s9
	s_delay_alu instid0(VALU_DEP_1) | instskip(NEXT) | instid1(VALU_DEP_1)
	v_ashrrev_i32_e32 v1, 31, v0
	v_lshlrev_b64 v[0:1], 1, v[0:1]
	s_delay_alu instid0(VALU_DEP_1) | instskip(NEXT) | instid1(VALU_DEP_2)
	v_add_co_u32 v4, vcc_lo, s4, v0
	v_add_co_ci_u32_e32 v5, vcc_lo, s5, v1, vcc_lo
	s_load_b128 s[4:7], s[0:1], 0x30
	s_clause 0x2
	global_load_u16 v8, v[4:5], off offset:32
	global_load_b128 v[0:3], v[4:5], off offset:16
	global_load_b128 v[4:7], v[4:5], off
	s_waitcnt lgkmcnt(0)
	s_cmp_gt_i32 s4, 0
	s_waitcnt vmcnt(2)
	v_cvt_f32_u32_e32 v8, v8
	s_delay_alu instid0(VALU_DEP_1) | instskip(SKIP_1) | instid1(VALU_DEP_2)
	v_mul_f32_e32 v9, 0xbfb8aa3b, v8
	v_cmp_nlt_f32_e32 vcc_lo, 0x42ce8ed0, v8
	v_fma_f32 v10, 0xbfb8aa3b, v8, -v9
	v_rndne_f32_e32 v14, v9
	s_delay_alu instid0(VALU_DEP_1) | instskip(NEXT) | instid1(VALU_DEP_1)
	v_dual_fmamk_f32 v10, v8, 0xb2a5705f, v10 :: v_dual_sub_f32 v9, v9, v14
	v_add_f32_e32 v9, v9, v10
	v_cvt_i32_f32_e32 v10, v14
	s_delay_alu instid0(VALU_DEP_2) | instskip(SKIP_2) | instid1(VALU_DEP_1)
	v_exp_f32_e32 v9, v9
	s_waitcnt_depctr 0xfff
	v_ldexp_f32 v9, v9, v10
	v_cndmask_b32_e32 v9, 0, v9, vcc_lo
	v_cmp_ngt_f32_e32 vcc_lo, 0xc2b17218, v8
	s_delay_alu instid0(VALU_DEP_2) | instskip(NEXT) | instid1(VALU_DEP_1)
	v_cndmask_b32_e32 v8, 0x7f800000, v9, vcc_lo
	v_add_f32_e32 v16, 1.0, v8
	s_delay_alu instid0(VALU_DEP_1) | instskip(SKIP_1) | instid1(VALU_DEP_2)
	v_div_scale_f32 v14, null, v16, v16, 1.0
	v_div_scale_f32 v17, vcc_lo, 1.0, v16, 1.0
	v_rcp_f32_e32 v15, v14
	s_waitcnt_depctr 0xfff
	v_fma_f32 v8, -v14, v15, 1.0
	s_delay_alu instid0(VALU_DEP_1) | instskip(SKIP_3) | instid1(VALU_DEP_1)
	v_fmac_f32_e32 v15, v8, v15
	v_mul_lo_u32 v8, v13, s7
	s_cselect_b32 s7, -1, 0
	s_cmp_lt_i32 s4, 1
	v_dual_mul_f32 v18, v17, v15 :: v_dual_add_nc_u32 v9, s4, v8
	s_delay_alu instid0(VALU_DEP_1) | instskip(NEXT) | instid1(VALU_DEP_1)
	v_fma_f32 v10, -v14, v18, v17
	v_fmac_f32_e32 v18, v10, v15
	s_delay_alu instid0(VALU_DEP_3) | instskip(NEXT) | instid1(VALU_DEP_2)
	v_ashrrev_i32_e32 v10, 31, v9
	v_fma_f32 v14, -v14, v18, v17
	s_delay_alu instid0(VALU_DEP_2) | instskip(NEXT) | instid1(VALU_DEP_2)
	v_lshlrev_b64 v[9:10], 2, v[9:10]
	v_div_fmas_f32 v17, v14, v15, v18
	s_delay_alu instid0(VALU_DEP_2) | instskip(NEXT) | instid1(VALU_DEP_3)
	v_add_co_u32 v14, vcc_lo, s2, v9
	v_add_co_ci_u32_e32 v15, vcc_lo, s3, v10, vcc_lo
	v_mov_b32_e32 v10, 0
	s_delay_alu instid0(VALU_DEP_4)
	v_div_fixup_f32 v9, v17, v16, 1.0
	global_store_b32 v[14:15], v9, off
	s_cbranch_scc1 .LBB250_8
; %bb.5:
	s_waitcnt vmcnt(0)
	v_lshrrev_b32_e32 v9, 16, v4
	s_delay_alu instid0(VALU_DEP_1) | instskip(SKIP_1) | instid1(VALU_DEP_1)
	v_cvt_f32_u32_e32 v25, v9
	v_and_b32_e32 v4, 0xffff, v4
	v_cvt_f32_u32_e32 v26, v4
	s_delay_alu instid0(VALU_DEP_1) | instskip(SKIP_3) | instid1(VALU_DEP_2)
	v_cmp_lt_f32_e32 vcc_lo, v26, v25
	v_cndmask_b32_e32 v9, v26, v25, vcc_lo
	v_and_b32_e32 v4, 0xffff, v5
	v_lshrrev_b32_e32 v5, 16, v5
	v_cvt_f32_u32_e32 v24, v4
	v_cndmask_b32_e64 v4, 0, 1, vcc_lo
	s_delay_alu instid0(VALU_DEP_3) | instskip(NEXT) | instid1(VALU_DEP_3)
	v_cvt_f32_u32_e32 v23, v5
	v_cmp_lt_f32_e32 vcc_lo, v9, v24
	v_cndmask_b32_e32 v5, v9, v24, vcc_lo
	v_and_b32_e32 v9, 0xffff, v6
	v_lshrrev_b32_e32 v6, 16, v6
	v_cndmask_b32_e64 v4, v4, 2, vcc_lo
	s_delay_alu instid0(VALU_DEP_4) | instskip(NEXT) | instid1(VALU_DEP_4)
	v_cmp_lt_f32_e32 vcc_lo, v5, v23
	v_cvt_f32_u32_e32 v22, v9
	s_delay_alu instid0(VALU_DEP_4) | instskip(SKIP_4) | instid1(VALU_DEP_4)
	v_cvt_f32_u32_e32 v21, v6
	v_and_b32_e32 v6, 0xffff, v7
	v_ashrrev_i32_e32 v9, 31, v8
	v_cndmask_b32_e32 v5, v5, v23, vcc_lo
	v_cndmask_b32_e64 v4, v4, 3, vcc_lo
	v_cvt_f32_u32_e32 v20, v6
	v_lshrrev_b32_e32 v6, 16, v7
	s_delay_alu instid0(VALU_DEP_1) | instskip(SKIP_3) | instid1(VALU_DEP_3)
	v_cvt_f32_u32_e32 v19, v6
	v_and_b32_e32 v6, 0xffff, v0
	v_cmp_lt_f32_e32 vcc_lo, v5, v22
	v_lshrrev_b32_e32 v0, 16, v0
	v_cvt_f32_u32_e32 v18, v6
	v_cndmask_b32_e32 v5, v5, v22, vcc_lo
	v_cndmask_b32_e64 v4, v4, 4, vcc_lo
	s_delay_alu instid0(VALU_DEP_4) | instskip(NEXT) | instid1(VALU_DEP_3)
	v_cvt_f32_u32_e32 v17, v0
	v_cmp_lt_f32_e32 vcc_lo, v5, v21
	v_cndmask_b32_e32 v5, v5, v21, vcc_lo
	s_delay_alu instid0(VALU_DEP_4) | instskip(NEXT) | instid1(VALU_DEP_2)
	v_cndmask_b32_e64 v4, v4, 5, vcc_lo
	v_cmp_lt_f32_e32 vcc_lo, v5, v20
	v_cndmask_b32_e32 v5, v5, v20, vcc_lo
	s_delay_alu instid0(VALU_DEP_3) | instskip(NEXT) | instid1(VALU_DEP_2)
	v_cndmask_b32_e64 v4, v4, 6, vcc_lo
	v_cmp_lt_f32_e32 vcc_lo, v5, v19
	v_cndmask_b32_e32 v5, v5, v19, vcc_lo
	s_delay_alu instid0(VALU_DEP_3) | instskip(NEXT) | instid1(VALU_DEP_2)
	v_cndmask_b32_e64 v4, v4, 7, vcc_lo
	v_cmp_lt_f32_e32 vcc_lo, v5, v18
	s_delay_alu instid0(VALU_DEP_2) | instskip(SKIP_2) | instid1(VALU_DEP_2)
	v_cndmask_b32_e64 v0, v4, 8, vcc_lo
	v_dual_cndmask_b32 v4, v5, v18 :: v_dual_and_b32 v5, 0xffff, v1
	v_lshrrev_b32_e32 v1, 16, v1
	v_cmp_lt_f32_e32 vcc_lo, v4, v17
	s_delay_alu instid0(VALU_DEP_3) | instskip(NEXT) | instid1(VALU_DEP_3)
	v_cvt_f32_u32_e32 v16, v5
	v_cvt_f32_u32_e32 v15, v1
	v_cndmask_b32_e32 v4, v4, v17, vcc_lo
	v_cndmask_b32_e64 v0, v0, 9, vcc_lo
	s_delay_alu instid0(VALU_DEP_2) | instskip(SKIP_1) | instid1(VALU_DEP_3)
	v_cmp_lt_f32_e32 vcc_lo, v4, v16
	v_cndmask_b32_e32 v1, v4, v16, vcc_lo
	v_cndmask_b32_e64 v0, v0, 10, vcc_lo
	v_and_b32_e32 v4, 0xffff, v2
	v_lshrrev_b32_e32 v2, 16, v2
	s_delay_alu instid0(VALU_DEP_4) | instskip(NEXT) | instid1(VALU_DEP_3)
	v_cmp_lt_f32_e32 vcc_lo, v1, v15
	v_cvt_f32_u32_e32 v14, v4
	s_delay_alu instid0(VALU_DEP_3) | instskip(SKIP_4) | instid1(VALU_DEP_4)
	v_cvt_f32_u32_e32 v28, v2
	v_and_b32_e32 v2, 0xffff, v3
	v_cndmask_b32_e32 v1, v1, v15, vcc_lo
	v_cndmask_b32_e64 v0, v0, 11, vcc_lo
	v_lshlrev_b64 v[4:5], 2, v[8:9]
	v_cvt_f32_u32_e32 v29, v2
	s_delay_alu instid0(VALU_DEP_4) | instskip(SKIP_3) | instid1(VALU_DEP_3)
	v_cmp_lt_f32_e32 vcc_lo, v1, v14
	v_lshrrev_b32_e32 v2, 16, v3
	v_cndmask_b32_e32 v1, v1, v14, vcc_lo
	v_cndmask_b32_e64 v0, v0, 12, vcc_lo
	v_cvt_f32_u32_e32 v7, v2
	v_mul_lo_u32 v2, v13, s4
	s_delay_alu instid0(VALU_DEP_4) | instskip(SKIP_2) | instid1(VALU_DEP_2)
	v_cmp_lt_f32_e32 vcc_lo, v1, v28
	v_cndmask_b32_e32 v1, v1, v28, vcc_lo
	v_cndmask_b32_e64 v0, v0, 13, vcc_lo
	v_cmp_lt_f32_e32 vcc_lo, v1, v29
	v_cndmask_b32_e32 v1, v1, v29, vcc_lo
	s_delay_alu instid0(VALU_DEP_3) | instskip(NEXT) | instid1(VALU_DEP_2)
	v_cndmask_b32_e64 v0, v0, 14, vcc_lo
	v_cmp_lt_f32_e32 vcc_lo, v1, v7
	v_cndmask_b32_e32 v6, v1, v7, vcc_lo
	s_delay_alu instid0(VALU_DEP_3) | instskip(SKIP_2) | instid1(VALU_DEP_4)
	v_cndmask_b32_e64 v27, v0, 15, vcc_lo
	v_add_co_u32 v4, vcc_lo, s2, v4
	v_add_co_ci_u32_e32 v5, vcc_lo, s3, v5, vcc_lo
	v_sub_f32_e32 v10, v6, v6
	s_delay_alu instid0(VALU_DEP_4) | instskip(SKIP_1) | instid1(VALU_DEP_3)
	v_cmp_le_i32_e32 vcc_lo, s5, v27
	v_subrev_nc_u32_e32 v32, s5, v27
	v_mul_f32_e32 v0, 0x3fb8aa3b, v10
	s_delay_alu instid0(VALU_DEP_1) | instskip(SKIP_1) | instid1(VALU_DEP_2)
	v_fma_f32 v1, 0x3fb8aa3b, v10, -v0
	v_rndne_f32_e32 v30, v0
	v_fmac_f32_e32 v1, 0x32a5705f, v10
	s_delay_alu instid0(VALU_DEP_2)
	v_sub_f32_e32 v3, v0, v30
	v_mul_lo_u32 v0, v13, s8
	s_load_b128 s[8:11], s[0:1], 0x20
	v_cvt_i32_f32_e32 v30, v30
	v_cmp_gt_i32_e64 s0, s6, v27
	v_add_f32_e32 v3, v3, v1
	s_delay_alu instid0(VALU_DEP_4) | instskip(NEXT) | instid1(VALU_DEP_2)
	v_ashrrev_i32_e32 v1, 31, v0
	v_exp_f32_e32 v9, v3
	s_delay_alu instid0(VALU_DEP_3) | instskip(SKIP_3) | instid1(VALU_DEP_2)
	s_and_b32 s0, vcc_lo, s0
	v_cmp_ngt_f32_e32 vcc_lo, 0xc2ce8ed0, v10
	v_ashrrev_i32_e32 v3, 31, v2
	v_lshlrev_b64 v[0:1], 2, v[0:1]
	v_lshlrev_b64 v[2:3], 2, v[2:3]
	s_waitcnt_depctr 0xfff
	v_ldexp_f32 v9, v9, v30
	s_delay_alu instid0(VALU_DEP_1)
	v_cndmask_b32_e32 v9, 0, v9, vcc_lo
	s_waitcnt lgkmcnt(0)
	v_add_co_u32 v30, vcc_lo, s8, v0
	v_add_co_ci_u32_e32 v31, vcc_lo, s9, v1, vcc_lo
	s_and_b32 vcc_lo, s13, s0
	s_cmp_eq_u32 s4, 1
	v_cndmask_b32_e32 v34, 16, v32, vcc_lo
	v_cmp_nlt_f32_e32 vcc_lo, 0x42b17218, v10
	v_cndmask_b32_e32 v10, 0x7f800000, v9, vcc_lo
	v_add_co_u32 v32, vcc_lo, s10, v2
	v_add_co_ci_u32_e32 v33, vcc_lo, s11, v3, vcc_lo
	global_store_b32 v[30:31], v34, off
	global_store_b32 v[4:5], v10, off
	;; [unrolled: 1-line block ×3, first 2 shown]
	s_cbranch_scc1 .LBB250_8
; %bb.6:
	v_cmp_ne_u32_e32 vcc_lo, 15, v27
	s_add_i32 s14, s14, s12
	s_delay_alu instid0(SALU_CYCLE_1)
	v_add3_u32 v11, s14, v12, v11
	v_cndmask_b32_e32 v7, 0xff800000, v7, vcc_lo
	v_cmp_ne_u32_e32 vcc_lo, 14, v27
	v_cndmask_b32_e32 v9, 0xff800000, v29, vcc_lo
	v_cmp_ne_u32_e32 vcc_lo, 13, v27
	;; [unrolled: 2-line block ×15, first 2 shown]
	v_cndmask_b32_e32 v26, 0xff800000, v26, vcc_lo
	v_add_co_u32 v2, vcc_lo, v2, s10
	v_add_co_ci_u32_e32 v3, vcc_lo, s11, v3, vcc_lo
	v_add_co_u32 v27, vcc_lo, v0, s8
	v_add_co_ci_u32_e32 v28, vcc_lo, s9, v1, vcc_lo
	s_delay_alu instid0(VALU_DEP_4) | instskip(NEXT) | instid1(VALU_DEP_4)
	v_add_co_u32 v0, vcc_lo, v2, 4
	v_add_co_ci_u32_e32 v1, vcc_lo, 0, v3, vcc_lo
	s_delay_alu instid0(VALU_DEP_4) | instskip(NEXT) | instid1(VALU_DEP_4)
	v_add_co_u32 v2, vcc_lo, v27, 4
	v_add_co_ci_u32_e32 v3, vcc_lo, 0, v28, vcc_lo
	v_add_co_u32 v4, vcc_lo, v4, 4
	v_add_co_ci_u32_e32 v5, vcc_lo, 0, v5, vcc_lo
	s_add_i32 s8, s4, -1
.LBB250_7:                              ; =>This Inner Loop Header: Depth=1
	v_cmp_gt_f32_e32 vcc_lo, v25, v26
	s_add_i32 s8, s8, -1
	v_cndmask_b32_e32 v12, v26, v25, vcc_lo
	v_cndmask_b32_e64 v27, 0, 1, vcc_lo
	s_delay_alu instid0(VALU_DEP_2) | instskip(SKIP_1) | instid1(VALU_DEP_3)
	v_cmp_gt_f32_e32 vcc_lo, v24, v12
	v_cndmask_b32_e32 v12, v12, v24, vcc_lo
	v_cndmask_b32_e64 v27, v27, 2, vcc_lo
	s_delay_alu instid0(VALU_DEP_2) | instskip(SKIP_1) | instid1(VALU_DEP_3)
	v_cmp_gt_f32_e32 vcc_lo, v23, v12
	;; [unrolled: 4-line block ×13, first 2 shown]
	v_cndmask_b32_e32 v12, v12, v9, vcc_lo
	v_cndmask_b32_e64 v27, v27, 14, vcc_lo
	s_delay_alu instid0(VALU_DEP_2) | instskip(NEXT) | instid1(VALU_DEP_2)
	v_cmp_gt_f32_e32 vcc_lo, v7, v12
	v_cndmask_b32_e64 v27, v27, 15, vcc_lo
	v_cndmask_b32_e32 v12, v12, v7, vcc_lo
	s_delay_alu instid0(VALU_DEP_2) | instskip(NEXT) | instid1(VALU_DEP_2)
	v_cmp_ne_u32_e64 s1, 15, v27
	v_sub_f32_e32 v12, v12, v6
	v_cmp_le_i32_e32 vcc_lo, s5, v27
	v_cmp_gt_i32_e64 s0, s6, v27
	v_subrev_nc_u32_e32 v29, s5, v27
	v_cndmask_b32_e64 v7, 0xff800000, v7, s1
	v_cmp_ne_u32_e64 s1, 14, v27
	v_mul_f32_e32 v28, 0x3fb8aa3b, v12
	s_and_b32 s0, vcc_lo, s0
	s_delay_alu instid0(SALU_CYCLE_1) | instskip(NEXT) | instid1(VALU_DEP_2)
	s_and_b32 vcc_lo, s13, s0
	v_cndmask_b32_e64 v9, 0xff800000, v9, s1
	v_cmp_ne_u32_e64 s1, 13, v27
	v_rndne_f32_e32 v30, v28
	v_cndmask_b32_e32 v29, 16, v29, vcc_lo
	global_store_b32 v[2:3], v29, off
	global_store_b32 v[0:1], v11, off
	v_cndmask_b32_e64 v13, 0xff800000, v13, s1
	v_cmp_ne_u32_e64 s1, 12, v27
	v_add_co_u32 v0, vcc_lo, v0, 4
	v_add_co_ci_u32_e32 v1, vcc_lo, 0, v1, vcc_lo
	s_delay_alu instid0(VALU_DEP_3) | instskip(SKIP_3) | instid1(VALU_DEP_3)
	v_cndmask_b32_e64 v14, 0xff800000, v14, s1
	v_cmp_ne_u32_e64 s1, 11, v27
	v_add_co_u32 v2, vcc_lo, v2, 4
	v_add_co_ci_u32_e32 v3, vcc_lo, 0, v3, vcc_lo
	v_cndmask_b32_e64 v15, 0xff800000, v15, s1
	v_cmp_ne_u32_e64 s1, 10, v27
	v_cmp_ngt_f32_e32 vcc_lo, 0xc2ce8ed0, v12
	v_add_nc_u32_e32 v11, s12, v11
	s_cmp_eq_u32 s8, 0
	s_delay_alu instid0(VALU_DEP_3) | instskip(SKIP_1) | instid1(VALU_DEP_1)
	v_cndmask_b32_e64 v16, 0xff800000, v16, s1
	v_cmp_ne_u32_e64 s1, 9, v27
	v_cndmask_b32_e64 v17, 0xff800000, v17, s1
	v_cmp_ne_u32_e64 s1, 8, v27
	s_delay_alu instid0(VALU_DEP_1) | instskip(SKIP_1) | instid1(VALU_DEP_1)
	v_cndmask_b32_e64 v18, 0xff800000, v18, s1
	v_cmp_ne_u32_e64 s1, 7, v27
	v_cndmask_b32_e64 v19, 0xff800000, v19, s1
	v_cmp_ne_u32_e64 s1, 6, v27
	s_delay_alu instid0(VALU_DEP_1) | instskip(SKIP_1) | instid1(VALU_DEP_1)
	;; [unrolled: 5-line block ×4, first 2 shown]
	v_cndmask_b32_e64 v24, 0xff800000, v24, s1
	v_cmp_ne_u32_e64 s1, 1, v27
	v_cndmask_b32_e64 v25, 0xff800000, v25, s1
	v_cmp_ne_u32_e64 s1, 0, v27
	v_fma_f32 v27, 0x3fb8aa3b, v12, -v28
	v_sub_f32_e32 v28, v28, v30
	v_cvt_i32_f32_e32 v30, v30
	s_delay_alu instid0(VALU_DEP_4) | instskip(NEXT) | instid1(VALU_DEP_4)
	v_cndmask_b32_e64 v26, 0xff800000, v26, s1
	v_fmac_f32_e32 v27, 0x32a5705f, v12
	s_delay_alu instid0(VALU_DEP_1) | instskip(NEXT) | instid1(VALU_DEP_1)
	v_add_f32_e32 v27, v28, v27
	v_exp_f32_e32 v27, v27
	s_waitcnt_depctr 0xfff
	v_ldexp_f32 v27, v27, v30
	s_delay_alu instid0(VALU_DEP_1) | instskip(SKIP_1) | instid1(VALU_DEP_2)
	v_cndmask_b32_e32 v27, 0, v27, vcc_lo
	v_cmp_nlt_f32_e32 vcc_lo, 0x42b17218, v12
	v_cndmask_b32_e32 v12, 0x7f800000, v27, vcc_lo
	global_store_b32 v[4:5], v12, off
	v_add_co_u32 v4, vcc_lo, v4, 4
	v_add_f32_e32 v10, v10, v12
	v_add_co_ci_u32_e32 v5, vcc_lo, 0, v5, vcc_lo
	s_cbranch_scc0 .LBB250_7
.LBB250_8:
	s_delay_alu instid0(VALU_DEP_2)
	v_cmp_neq_f32_e32 vcc_lo, 0, v10
	s_and_b32 exec_lo, exec_lo, vcc_lo
	s_cbranch_execz .LBB250_12
; %bb.9:
	s_and_not1_b32 vcc_lo, exec_lo, s7
	s_cbranch_vccnz .LBB250_12
; %bb.10:
	s_waitcnt vmcnt(1)
	v_div_scale_f32 v0, null, v10, v10, 1.0
	v_div_scale_f32 v3, vcc_lo, 1.0, v10, 1.0
	v_ashrrev_i32_e32 v9, 31, v8
	s_delay_alu instid0(VALU_DEP_3) | instskip(SKIP_2) | instid1(VALU_DEP_1)
	v_rcp_f32_e32 v1, v0
	s_waitcnt_depctr 0xfff
	v_fma_f32 v2, -v0, v1, 1.0
	v_fmac_f32_e32 v1, v2, v1
	s_delay_alu instid0(VALU_DEP_1) | instskip(SKIP_1) | instid1(VALU_DEP_1)
	v_mul_f32_e32 v2, v3, v1
	s_waitcnt vmcnt(0)
	v_fma_f32 v4, -v0, v2, v3
	s_delay_alu instid0(VALU_DEP_1) | instskip(NEXT) | instid1(VALU_DEP_1)
	v_fmac_f32_e32 v2, v4, v1
	v_fma_f32 v0, -v0, v2, v3
	s_delay_alu instid0(VALU_DEP_1) | instskip(SKIP_1) | instid1(VALU_DEP_2)
	v_div_fmas_f32 v2, v0, v1, v2
	v_lshlrev_b64 v[0:1], 2, v[8:9]
	v_div_fixup_f32 v2, v2, v10, 1.0
	s_delay_alu instid0(VALU_DEP_2) | instskip(NEXT) | instid1(VALU_DEP_3)
	v_add_co_u32 v0, vcc_lo, s2, v0
	v_add_co_ci_u32_e32 v1, vcc_lo, s3, v1, vcc_lo
.LBB250_11:                             ; =>This Inner Loop Header: Depth=1
	global_load_b32 v3, v[0:1], off
	s_add_i32 s4, s4, -1
	s_delay_alu instid0(SALU_CYCLE_1)
	s_cmp_lg_u32 s4, 0
	s_waitcnt vmcnt(0)
	v_mul_f32_e32 v3, v2, v3
	global_store_b32 v[0:1], v3, off
	v_add_co_u32 v0, vcc_lo, v0, 4
	v_add_co_ci_u32_e32 v1, vcc_lo, 0, v1, vcc_lo
	s_cbranch_scc1 .LBB250_11
.LBB250_12:
	s_nop 0
	s_sendmsg sendmsg(MSG_DEALLOC_VGPRS)
	s_endpgm
	.section	.rodata,"a",@progbits
	.p2align	6, 0x0
	.amdhsa_kernel _ZN4vllm3moe17topkGatingSoftmaxItLi16ELi16ELi8ELi32ELb1ELi1ELNS0_23SharedExpertScoringFuncE1EEEvPKT_PKbPfiPiS9_iiiiii
		.amdhsa_group_segment_fixed_size 0
		.amdhsa_private_segment_fixed_size 0
		.amdhsa_kernarg_size 72
		.amdhsa_user_sgpr_count 15
		.amdhsa_user_sgpr_dispatch_ptr 0
		.amdhsa_user_sgpr_queue_ptr 0
		.amdhsa_user_sgpr_kernarg_segment_ptr 1
		.amdhsa_user_sgpr_dispatch_id 0
		.amdhsa_user_sgpr_private_segment_size 0
		.amdhsa_wavefront_size32 1
		.amdhsa_uses_dynamic_stack 0
		.amdhsa_enable_private_segment 0
		.amdhsa_system_sgpr_workgroup_id_x 1
		.amdhsa_system_sgpr_workgroup_id_y 0
		.amdhsa_system_sgpr_workgroup_id_z 0
		.amdhsa_system_sgpr_workgroup_info 0
		.amdhsa_system_vgpr_workitem_id 1
		.amdhsa_next_free_vgpr 35
		.amdhsa_next_free_sgpr 16
		.amdhsa_reserve_vcc 1
		.amdhsa_float_round_mode_32 0
		.amdhsa_float_round_mode_16_64 0
		.amdhsa_float_denorm_mode_32 3
		.amdhsa_float_denorm_mode_16_64 3
		.amdhsa_dx10_clamp 1
		.amdhsa_ieee_mode 1
		.amdhsa_fp16_overflow 0
		.amdhsa_workgroup_processor_mode 1
		.amdhsa_memory_ordered 1
		.amdhsa_forward_progress 0
		.amdhsa_shared_vgpr_count 0
		.amdhsa_exception_fp_ieee_invalid_op 0
		.amdhsa_exception_fp_denorm_src 0
		.amdhsa_exception_fp_ieee_div_zero 0
		.amdhsa_exception_fp_ieee_overflow 0
		.amdhsa_exception_fp_ieee_underflow 0
		.amdhsa_exception_fp_ieee_inexact 0
		.amdhsa_exception_int_div_zero 0
	.end_amdhsa_kernel
	.section	.text._ZN4vllm3moe17topkGatingSoftmaxItLi16ELi16ELi8ELi32ELb1ELi1ELNS0_23SharedExpertScoringFuncE1EEEvPKT_PKbPfiPiS9_iiiiii,"axG",@progbits,_ZN4vllm3moe17topkGatingSoftmaxItLi16ELi16ELi8ELi32ELb1ELi1ELNS0_23SharedExpertScoringFuncE1EEEvPKT_PKbPfiPiS9_iiiiii,comdat
.Lfunc_end250:
	.size	_ZN4vllm3moe17topkGatingSoftmaxItLi16ELi16ELi8ELi32ELb1ELi1ELNS0_23SharedExpertScoringFuncE1EEEvPKT_PKbPfiPiS9_iiiiii, .Lfunc_end250-_ZN4vllm3moe17topkGatingSoftmaxItLi16ELi16ELi8ELi32ELb1ELi1ELNS0_23SharedExpertScoringFuncE1EEEvPKT_PKbPfiPiS9_iiiiii
                                        ; -- End function
	.section	.AMDGPU.csdata,"",@progbits
; Kernel info:
; codeLenInByte = 2648
; NumSgprs: 18
; NumVgprs: 35
; ScratchSize: 0
; MemoryBound: 0
; FloatMode: 240
; IeeeMode: 1
; LDSByteSize: 0 bytes/workgroup (compile time only)
; SGPRBlocks: 2
; VGPRBlocks: 4
; NumSGPRsForWavesPerEU: 18
; NumVGPRsForWavesPerEU: 35
; Occupancy: 16
; WaveLimiterHint : 0
; COMPUTE_PGM_RSRC2:SCRATCH_EN: 0
; COMPUTE_PGM_RSRC2:USER_SGPR: 15
; COMPUTE_PGM_RSRC2:TRAP_HANDLER: 0
; COMPUTE_PGM_RSRC2:TGID_X_EN: 1
; COMPUTE_PGM_RSRC2:TGID_Y_EN: 0
; COMPUTE_PGM_RSRC2:TGID_Z_EN: 0
; COMPUTE_PGM_RSRC2:TIDIG_COMP_CNT: 1
	.section	.text._ZN4vllm3moe17topkGatingSoftmaxItLi16ELi16ELi8ELi32ELb0ELi1ELNS0_23SharedExpertScoringFuncE1EEEvPKT_PKbPfiPiS9_iiiiii,"axG",@progbits,_ZN4vllm3moe17topkGatingSoftmaxItLi16ELi16ELi8ELi32ELb0ELi1ELNS0_23SharedExpertScoringFuncE1EEEvPKT_PKbPfiPiS9_iiiiii,comdat
	.protected	_ZN4vllm3moe17topkGatingSoftmaxItLi16ELi16ELi8ELi32ELb0ELi1ELNS0_23SharedExpertScoringFuncE1EEEvPKT_PKbPfiPiS9_iiiiii ; -- Begin function _ZN4vllm3moe17topkGatingSoftmaxItLi16ELi16ELi8ELi32ELb0ELi1ELNS0_23SharedExpertScoringFuncE1EEEvPKT_PKbPfiPiS9_iiiiii
	.globl	_ZN4vllm3moe17topkGatingSoftmaxItLi16ELi16ELi8ELi32ELb0ELi1ELNS0_23SharedExpertScoringFuncE1EEEvPKT_PKbPfiPiS9_iiiiii
	.p2align	8
	.type	_ZN4vllm3moe17topkGatingSoftmaxItLi16ELi16ELi8ELi32ELb0ELi1ELNS0_23SharedExpertScoringFuncE1EEEvPKT_PKbPfiPiS9_iiiiii,@function
_ZN4vllm3moe17topkGatingSoftmaxItLi16ELi16ELi8ELi32ELb0ELi1ELNS0_23SharedExpertScoringFuncE1EEEvPKT_PKbPfiPiS9_iiiiii: ; @_ZN4vllm3moe17topkGatingSoftmaxItLi16ELi16ELi8ELi32ELb0ELi1ELNS0_23SharedExpertScoringFuncE1EEEvPKT_PKbPfiPiS9_iiiiii
; %bb.0:
	s_load_b32 s24, s[0:1], 0x18
	v_bfe_u32 v1, v0, 10, 10
	v_and_b32_e32 v26, 0x3ff, v0
	s_lshl_b32 s26, s15, 8
	s_mov_b32 s2, exec_lo
	s_delay_alu instid0(VALU_DEP_2) | instskip(NEXT) | instid1(VALU_DEP_1)
	v_lshlrev_b32_e32 v25, 5, v1
	v_add3_u32 v27, v25, v26, s26
	s_waitcnt lgkmcnt(0)
	s_delay_alu instid0(VALU_DEP_1)
	v_cmpx_gt_i32_e64 s24, v27
	s_cbranch_execz .LBB251_12
; %bb.1:
	s_clause 0x1
	s_load_b128 s[4:7], s[0:1], 0x0
	s_load_b64 s[20:21], s[0:1], 0x10
	s_waitcnt lgkmcnt(0)
	s_cmp_eq_u64 s[6:7], 0
	s_cbranch_scc1 .LBB251_3
; %bb.2:
	v_ashrrev_i32_e32 v1, 31, v27
	v_add_co_u32 v0, vcc_lo, s6, v27
	s_delay_alu instid0(VALU_DEP_2) | instskip(SKIP_3) | instid1(VALU_DEP_1)
	v_add_co_ci_u32_e32 v1, vcc_lo, s7, v1, vcc_lo
	global_load_u8 v0, v[0:1], off
	s_waitcnt vmcnt(0)
	v_and_b32_e32 v0, 1, v0
	v_cmp_eq_u32_e32 vcc_lo, 1, v0
	s_xor_b32 s2, vcc_lo, -1
	s_delay_alu instid0(SALU_CYCLE_1)
	s_or_not1_b32 s25, s2, exec_lo
	s_branch .LBB251_4
.LBB251_3:
	s_mov_b32 s25, -1
.LBB251_4:
	s_clause 0x1
	s_load_b64 s[22:23], s[0:1], 0x40
	s_load_b128 s[16:19], s[0:1], 0x30
	s_waitcnt lgkmcnt(0)
	v_mul_lo_u32 v0, v27, s23
	s_cmp_gt_i32 s16, 0
	s_delay_alu instid0(VALU_DEP_1) | instskip(NEXT) | instid1(VALU_DEP_1)
	v_ashrrev_i32_e32 v1, 31, v0
	v_lshlrev_b64 v[0:1], 1, v[0:1]
	s_delay_alu instid0(VALU_DEP_1) | instskip(NEXT) | instid1(VALU_DEP_2)
	v_add_co_u32 v4, vcc_lo, s4, v0
	v_add_co_ci_u32_e32 v5, vcc_lo, s5, v1, vcc_lo
	s_clause 0x2
	global_load_u16 v8, v[4:5], off offset:32
	global_load_b128 v[0:3], v[4:5], off
	global_load_b128 v[4:7], v[4:5], off offset:16
	s_waitcnt vmcnt(2)
	v_cvt_f32_u32_e32 v8, v8
	s_waitcnt vmcnt(1)
	v_lshrrev_b32_e32 v12, 16, v0
	s_delay_alu instid0(VALU_DEP_2) | instskip(NEXT) | instid1(VALU_DEP_2)
	v_mul_f32_e32 v9, 0xbfb8aa3b, v8
	v_cvt_f32_u32_e32 v22, v12
	v_cmp_nlt_f32_e32 vcc_lo, 0x42ce8ed0, v8
	s_delay_alu instid0(VALU_DEP_3) | instskip(SKIP_2) | instid1(VALU_DEP_3)
	v_rndne_f32_e32 v11, v9
	v_and_b32_e32 v0, 0xffff, v0
	v_fma_f32 v10, 0xbfb8aa3b, v8, -v9
	v_sub_f32_e32 v9, v9, v11
	s_delay_alu instid0(VALU_DEP_3) | instskip(NEXT) | instid1(VALU_DEP_3)
	v_cvt_f32_u32_e32 v24, v0
	v_fmamk_f32 v10, v8, 0xb2a5705f, v10
	v_and_b32_e32 v13, 0xffff, v1
	v_lshrrev_b32_e32 v1, 16, v1
	s_delay_alu instid0(VALU_DEP_4) | instskip(NEXT) | instid1(VALU_DEP_4)
	v_cmp_lt_f32_e64 s4, v24, v22
	v_add_f32_e32 v0, v9, v10
	s_delay_alu instid0(VALU_DEP_4) | instskip(NEXT) | instid1(VALU_DEP_4)
	v_cvt_f32_u32_e32 v20, v13
	v_cvt_f32_u32_e32 v23, v1
	v_and_b32_e32 v10, 0xffff, v2
	v_cndmask_b32_e64 v9, v24, v22, s4
	v_exp_f32_e32 v0, v0
	v_cvt_i32_f32_e32 v1, v11
	v_lshrrev_b32_e32 v2, 16, v2
	v_cvt_f32_u32_e32 v21, v10
	v_cmp_lt_f32_e64 s6, v9, v20
	s_delay_alu instid0(VALU_DEP_3) | instskip(SKIP_1) | instid1(VALU_DEP_3)
	v_cvt_f32_u32_e32 v19, v2
	v_lshrrev_b32_e32 v2, 16, v3
	v_cndmask_b32_e64 v9, v9, v20, s6
	s_delay_alu instid0(TRANS32_DEP_1) | instskip(NEXT) | instid1(VALU_DEP_3)
	v_ldexp_f32 v0, v0, v1
	v_cvt_f32_u32_e32 v17, v2
	s_delay_alu instid0(VALU_DEP_3) | instskip(NEXT) | instid1(VALU_DEP_3)
	v_cmp_lt_f32_e64 s7, v9, v23
	v_cndmask_b32_e32 v0, 0, v0, vcc_lo
	v_cmp_ngt_f32_e32 vcc_lo, 0xc2b17218, v8
	s_delay_alu instid0(VALU_DEP_3)
	v_cndmask_b32_e64 v1, v9, v23, s7
	v_and_b32_e32 v9, 0xffff, v3
	s_waitcnt vmcnt(0)
	v_and_b32_e32 v3, 0xffff, v4
	v_cndmask_b32_e32 v0, 0x7f800000, v0, vcc_lo
	v_cmp_lt_f32_e64 s10, v1, v21
	v_cvt_f32_u32_e32 v18, v9
	s_delay_alu instid0(VALU_DEP_4) | instskip(NEXT) | instid1(VALU_DEP_4)
	v_cvt_f32_u32_e32 v16, v3
	v_add_f32_e32 v12, 1.0, v0
	s_delay_alu instid0(VALU_DEP_4) | instskip(NEXT) | instid1(VALU_DEP_1)
	v_cndmask_b32_e64 v1, v1, v21, s10
	v_cmp_lt_f32_e64 s12, v1, v19
	s_delay_alu instid0(VALU_DEP_1) | instskip(NEXT) | instid1(VALU_DEP_1)
	v_cndmask_b32_e64 v1, v1, v19, s12
	v_cmp_lt_f32_e64 s15, v1, v18
	s_delay_alu instid0(VALU_DEP_1) | instskip(SKIP_2) | instid1(VALU_DEP_3)
	v_cndmask_b32_e64 v0, v1, v18, s15
	v_lshrrev_b32_e32 v1, 16, v4
	v_and_b32_e32 v4, 0xffff, v5
	v_cmp_lt_f32_e64 s9, v0, v17
	s_delay_alu instid0(VALU_DEP_3) | instskip(NEXT) | instid1(VALU_DEP_3)
	v_cvt_f32_u32_e32 v15, v1
	v_cvt_f32_u32_e32 v14, v4
	s_delay_alu instid0(VALU_DEP_3) | instskip(SKIP_3) | instid1(VALU_DEP_2)
	v_cndmask_b32_e64 v2, v0, v17, s9
	v_mul_lo_u32 v0, v27, s19
	s_cselect_b32 s19, -1, 0
	s_cmp_lt_i32 s16, 1
	v_cmp_lt_f32_e64 s11, v2, v16
	s_delay_alu instid0(VALU_DEP_1) | instskip(SKIP_3) | instid1(VALU_DEP_4)
	v_cndmask_b32_e64 v1, v2, v16, s11
	v_lshrrev_b32_e32 v2, 16, v5
	v_and_b32_e32 v5, 0xffff, v6
	v_div_scale_f32 v8, null, v12, v12, 1.0
	v_cmp_lt_f32_e64 s13, v1, v15
	s_delay_alu instid0(VALU_DEP_4) | instskip(NEXT) | instid1(VALU_DEP_4)
	v_cvt_f32_u32_e32 v13, v2
	v_cvt_f32_u32_e32 v11, v5
	s_delay_alu instid0(VALU_DEP_4) | instskip(SKIP_4) | instid1(VALU_DEP_4)
	v_rcp_f32_e32 v3, v8
	v_lshrrev_b32_e32 v2, 16, v6
	v_cndmask_b32_e64 v1, v1, v15, s13
	v_div_scale_f32 v28, vcc_lo, 1.0, v12, 1.0
	v_and_b32_e32 v6, 0xffff, v7
	v_cvt_f32_u32_e32 v10, v2
	s_delay_alu instid0(VALU_DEP_4) | instskip(SKIP_1) | instid1(TRANS32_DEP_1)
	v_cmp_lt_f32_e64 s14, v1, v14
	v_lshrrev_b32_e32 v7, 16, v7
	v_fma_f32 v4, -v8, v3, 1.0
	v_cvt_f32_u32_e32 v9, v6
	s_delay_alu instid0(VALU_DEP_4) | instskip(NEXT) | instid1(VALU_DEP_4)
	v_cndmask_b32_e64 v1, v1, v14, s14
	v_cvt_f32_u32_e32 v7, v7
	s_delay_alu instid0(VALU_DEP_4) | instskip(NEXT) | instid1(VALU_DEP_3)
	v_fmac_f32_e32 v3, v4, v3
	v_cmp_lt_f32_e64 s8, v1, v13
	s_delay_alu instid0(VALU_DEP_2) | instskip(NEXT) | instid1(VALU_DEP_2)
	v_mul_f32_e32 v4, v28, v3
	v_cndmask_b32_e64 v5, v1, v13, s8
	v_add_nc_u32_e32 v1, s16, v0
	s_delay_alu instid0(VALU_DEP_3) | instskip(NEXT) | instid1(VALU_DEP_3)
	v_fma_f32 v29, -v8, v4, v28
	v_cmp_lt_f32_e64 s5, v5, v11
	s_delay_alu instid0(VALU_DEP_3) | instskip(NEXT) | instid1(VALU_DEP_3)
	v_ashrrev_i32_e32 v2, 31, v1
	v_fmac_f32_e32 v4, v29, v3
	s_delay_alu instid0(VALU_DEP_3) | instskip(NEXT) | instid1(VALU_DEP_3)
	v_cndmask_b32_e64 v5, v5, v11, s5
	v_lshlrev_b64 v[1:2], 2, v[1:2]
	s_delay_alu instid0(VALU_DEP_3) | instskip(NEXT) | instid1(VALU_DEP_3)
	v_fma_f32 v6, -v8, v4, v28
	v_cmp_lt_f32_e64 s3, v5, v10
	s_delay_alu instid0(VALU_DEP_2) | instskip(NEXT) | instid1(VALU_DEP_4)
	v_div_fmas_f32 v3, v6, v3, v4
	v_add_co_u32 v1, vcc_lo, s20, v1
	s_delay_alu instid0(VALU_DEP_3) | instskip(SKIP_1) | instid1(VALU_DEP_4)
	v_cndmask_b32_e64 v5, v5, v10, s3
	v_add_co_ci_u32_e32 v2, vcc_lo, s21, v2, vcc_lo
	v_div_fixup_f32 v3, v3, v12, 1.0
	v_mov_b32_e32 v12, 0
	s_delay_alu instid0(VALU_DEP_4) | instskip(SKIP_2) | instid1(VALU_DEP_1)
	v_cmp_lt_f32_e64 s2, v5, v9
	global_store_b32 v[1:2], v3, off
	v_cndmask_b32_e64 v5, v5, v9, s2
	v_cmp_lt_f32_e32 vcc_lo, v5, v7
	v_cndmask_b32_e32 v8, v5, v7, vcc_lo
	s_cbranch_scc1 .LBB251_8
; %bb.5:
	v_cndmask_b32_e64 v1, 0, 1, s4
	s_delay_alu instid0(VALU_DEP_2) | instskip(SKIP_2) | instid1(VALU_DEP_4)
	v_sub_f32_e32 v12, v8, v8
	v_mul_lo_u32 v2, v27, s22
	v_mul_lo_u32 v28, v27, s16
	v_cndmask_b32_e64 v1, v1, 2, s6
	s_delay_alu instid0(VALU_DEP_4) | instskip(NEXT) | instid1(VALU_DEP_2)
	v_mul_f32_e32 v3, 0x3fb8aa3b, v12
	v_cndmask_b32_e64 v1, v1, 3, s7
	s_delay_alu instid0(VALU_DEP_2) | instskip(SKIP_1) | instid1(VALU_DEP_3)
	v_rndne_f32_e32 v4, v3
	v_fma_f32 v5, 0x3fb8aa3b, v12, -v3
	v_cndmask_b32_e64 v1, v1, 4, s10
	s_delay_alu instid0(VALU_DEP_3) | instskip(NEXT) | instid1(VALU_DEP_3)
	v_sub_f32_e32 v3, v3, v4
	v_fmac_f32_e32 v5, 0x32a5705f, v12
	v_cvt_i32_f32_e32 v32, v4
	s_delay_alu instid0(VALU_DEP_4) | instskip(NEXT) | instid1(VALU_DEP_3)
	v_cndmask_b32_e64 v1, v1, 5, s12
	v_add_f32_e32 v30, v3, v5
	v_ashrrev_i32_e32 v3, 31, v2
	s_delay_alu instid0(VALU_DEP_3) | instskip(NEXT) | instid1(VALU_DEP_3)
	v_cndmask_b32_e64 v1, v1, 6, s15
	v_exp_f32_e32 v30, v30
	s_delay_alu instid0(VALU_DEP_1) | instskip(NEXT) | instid1(VALU_DEP_1)
	v_cndmask_b32_e64 v1, v1, 7, s9
	v_cndmask_b32_e64 v1, v1, 8, s11
	s_waitcnt_depctr 0xfff
	v_ldexp_f32 v30, v30, v32
	v_cndmask_b32_e64 v1, v1, 9, s13
	s_delay_alu instid0(VALU_DEP_1) | instskip(SKIP_2) | instid1(VALU_DEP_2)
	v_cndmask_b32_e64 v6, v1, 10, s14
	s_load_b128 s[12:15], s[0:1], 0x20
	v_ashrrev_i32_e32 v1, 31, v0
	v_cndmask_b32_e64 v29, v6, 11, s8
	s_delay_alu instid0(VALU_DEP_2) | instskip(SKIP_1) | instid1(VALU_DEP_3)
	v_lshlrev_b64 v[5:6], 2, v[0:1]
	v_lshlrev_b64 v[1:2], 2, v[2:3]
	v_cndmask_b32_e64 v31, v29, 12, s5
	v_ashrrev_i32_e32 v29, 31, v28
	s_delay_alu instid0(VALU_DEP_4) | instskip(NEXT) | instid1(VALU_DEP_3)
	v_add_co_u32 v5, s0, s20, v5
	v_cndmask_b32_e64 v31, v31, 13, s3
	v_add_co_ci_u32_e64 v6, s0, s21, v6, s0
	s_delay_alu instid0(VALU_DEP_4) | instskip(NEXT) | instid1(VALU_DEP_3)
	v_lshlrev_b64 v[3:4], 2, v[28:29]
	v_cndmask_b32_e64 v31, v31, 14, s2
	s_waitcnt lgkmcnt(0)
	v_add_co_u32 v28, s0, s12, v1
	s_delay_alu instid0(VALU_DEP_1) | instskip(NEXT) | instid1(VALU_DEP_3)
	v_add_co_ci_u32_e64 v29, s0, s13, v2, s0
	v_cndmask_b32_e64 v33, v31, 15, vcc_lo
	v_cmp_ngt_f32_e64 s0, 0xc2ce8ed0, v12
	s_delay_alu instid0(VALU_DEP_2) | instskip(NEXT) | instid1(VALU_DEP_2)
	v_cmp_ne_u32_e64 s1, 15, v33
	v_cndmask_b32_e64 v32, 0, v30, s0
	v_add_co_u32 v30, vcc_lo, s14, v3
	v_add_co_ci_u32_e32 v31, vcc_lo, s15, v4, vcc_lo
	s_delay_alu instid0(VALU_DEP_4) | instskip(SKIP_3) | instid1(VALU_DEP_3)
	v_cndmask_b32_e64 v7, 0xff800000, v7, s1
	v_cmp_ne_u32_e64 s1, 14, v33
	v_cmp_nlt_f32_e32 vcc_lo, 0x42b17218, v12
	v_cmp_gt_i32_e64 s0, s18, v33
	v_cndmask_b32_e64 v9, 0xff800000, v9, s1
	v_cmp_ne_u32_e64 s1, 13, v33
	v_cndmask_b32_e32 v12, 0x7f800000, v32, vcc_lo
	v_cmp_le_i32_e32 vcc_lo, s17, v33
	v_subrev_nc_u32_e32 v32, s17, v33
	s_delay_alu instid0(VALU_DEP_4)
	v_cndmask_b32_e64 v10, 0xff800000, v10, s1
	v_cmp_ne_u32_e64 s1, 12, v33
	s_and_b32 s0, vcc_lo, s0
	v_cmp_ne_u32_e32 vcc_lo, 3, v33
	global_store_b32 v[5:6], v12, off
	v_cndmask_b32_e64 v11, 0xff800000, v11, s1
	v_cmp_ne_u32_e64 s1, 11, v33
	v_cndmask_b32_e32 v23, 0xff800000, v23, vcc_lo
	s_and_b32 vcc_lo, s25, s0
	s_cmp_eq_u32 s16, 1
	v_cndmask_b32_e32 v32, 16, v32, vcc_lo
	v_cndmask_b32_e64 v13, 0xff800000, v13, s1
	v_cmp_ne_u32_e64 s1, 10, v33
	v_cmp_ne_u32_e32 vcc_lo, 2, v33
	global_store_b32 v[28:29], v32, off
	global_store_b32 v[30:31], v27, off
	v_cndmask_b32_e64 v14, 0xff800000, v14, s1
	v_cmp_ne_u32_e64 s1, 9, v33
	v_cndmask_b32_e32 v20, 0xff800000, v20, vcc_lo
	v_cmp_ne_u32_e32 vcc_lo, 1, v33
	s_delay_alu instid0(VALU_DEP_3) | instskip(SKIP_3) | instid1(VALU_DEP_3)
	v_cndmask_b32_e64 v15, 0xff800000, v15, s1
	v_cmp_ne_u32_e64 s1, 8, v33
	v_cndmask_b32_e32 v22, 0xff800000, v22, vcc_lo
	v_cmp_ne_u32_e32 vcc_lo, 0, v33
	v_cndmask_b32_e64 v16, 0xff800000, v16, s1
	v_cmp_ne_u32_e64 s1, 7, v33
	v_cndmask_b32_e32 v24, 0xff800000, v24, vcc_lo
	s_delay_alu instid0(VALU_DEP_2) | instskip(SKIP_1) | instid1(VALU_DEP_1)
	v_cndmask_b32_e64 v17, 0xff800000, v17, s1
	v_cmp_ne_u32_e64 s1, 6, v33
	v_cndmask_b32_e64 v18, 0xff800000, v18, s1
	v_cmp_ne_u32_e64 s1, 5, v33
	s_delay_alu instid0(VALU_DEP_1) | instskip(SKIP_1) | instid1(VALU_DEP_1)
	v_cndmask_b32_e64 v19, 0xff800000, v19, s1
	v_cmp_ne_u32_e64 s1, 4, v33
	v_cndmask_b32_e64 v21, 0xff800000, v21, s1
	s_cbranch_scc1 .LBB251_8
; %bb.6:
	v_add_co_u32 v3, vcc_lo, v3, s14
	v_add_co_ci_u32_e32 v4, vcc_lo, s15, v4, vcc_lo
	v_add_co_u32 v27, vcc_lo, v1, s12
	v_add_co_ci_u32_e32 v28, vcc_lo, s13, v2, vcc_lo
	s_delay_alu instid0(VALU_DEP_4) | instskip(NEXT) | instid1(VALU_DEP_4)
	v_add_co_u32 v1, vcc_lo, v3, 4
	v_add_co_ci_u32_e32 v2, vcc_lo, 0, v4, vcc_lo
	s_delay_alu instid0(VALU_DEP_4) | instskip(NEXT) | instid1(VALU_DEP_4)
	v_add_co_u32 v3, vcc_lo, v27, 4
	v_add_co_ci_u32_e32 v4, vcc_lo, 0, v28, vcc_lo
	s_add_i32 s26, s26, s24
	v_add_co_u32 v5, vcc_lo, v5, 4
	v_add_co_ci_u32_e32 v6, vcc_lo, 0, v6, vcc_lo
	v_add3_u32 v25, s26, v26, v25
	s_add_i32 s2, s16, -1
.LBB251_7:                              ; =>This Inner Loop Header: Depth=1
	v_cmp_gt_f32_e32 vcc_lo, v22, v24
	s_add_i32 s2, s2, -1
	v_cndmask_b32_e32 v26, v24, v22, vcc_lo
	v_cndmask_b32_e64 v27, 0, 1, vcc_lo
	s_delay_alu instid0(VALU_DEP_2) | instskip(SKIP_1) | instid1(VALU_DEP_3)
	v_cmp_gt_f32_e32 vcc_lo, v20, v26
	v_cndmask_b32_e32 v26, v26, v20, vcc_lo
	v_cndmask_b32_e64 v27, v27, 2, vcc_lo
	s_delay_alu instid0(VALU_DEP_2) | instskip(SKIP_1) | instid1(VALU_DEP_3)
	v_cmp_gt_f32_e32 vcc_lo, v23, v26
	;; [unrolled: 4-line block ×13, first 2 shown]
	v_cndmask_b32_e32 v26, v26, v9, vcc_lo
	v_cndmask_b32_e64 v27, v27, 14, vcc_lo
	s_delay_alu instid0(VALU_DEP_2) | instskip(NEXT) | instid1(VALU_DEP_2)
	v_cmp_gt_f32_e32 vcc_lo, v7, v26
	v_cndmask_b32_e64 v27, v27, 15, vcc_lo
	v_cndmask_b32_e32 v26, v26, v7, vcc_lo
	s_delay_alu instid0(VALU_DEP_2) | instskip(NEXT) | instid1(VALU_DEP_2)
	v_cmp_ne_u32_e64 s1, 15, v27
	v_sub_f32_e32 v26, v26, v8
	v_cmp_le_i32_e32 vcc_lo, s17, v27
	v_cmp_gt_i32_e64 s0, s18, v27
	v_subrev_nc_u32_e32 v29, s17, v27
	v_cndmask_b32_e64 v7, 0xff800000, v7, s1
	v_cmp_ne_u32_e64 s1, 14, v27
	v_mul_f32_e32 v28, 0x3fb8aa3b, v26
	s_and_b32 s0, vcc_lo, s0
	s_delay_alu instid0(SALU_CYCLE_1) | instskip(NEXT) | instid1(VALU_DEP_2)
	s_and_b32 vcc_lo, s25, s0
	v_cndmask_b32_e64 v9, 0xff800000, v9, s1
	v_cmp_ne_u32_e64 s1, 13, v27
	v_rndne_f32_e32 v30, v28
	v_cndmask_b32_e32 v29, 16, v29, vcc_lo
	global_store_b32 v[3:4], v29, off
	global_store_b32 v[1:2], v25, off
	v_cndmask_b32_e64 v10, 0xff800000, v10, s1
	v_cmp_ne_u32_e64 s1, 12, v27
	v_add_co_u32 v1, vcc_lo, v1, 4
	v_add_co_ci_u32_e32 v2, vcc_lo, 0, v2, vcc_lo
	s_delay_alu instid0(VALU_DEP_3) | instskip(SKIP_3) | instid1(VALU_DEP_3)
	v_cndmask_b32_e64 v11, 0xff800000, v11, s1
	v_cmp_ne_u32_e64 s1, 11, v27
	v_add_co_u32 v3, vcc_lo, v3, 4
	v_add_co_ci_u32_e32 v4, vcc_lo, 0, v4, vcc_lo
	v_cndmask_b32_e64 v13, 0xff800000, v13, s1
	v_cmp_ne_u32_e64 s1, 10, v27
	v_cmp_ngt_f32_e32 vcc_lo, 0xc2ce8ed0, v26
	v_add_nc_u32_e32 v25, s24, v25
	s_cmp_eq_u32 s2, 0
	s_delay_alu instid0(VALU_DEP_3) | instskip(SKIP_1) | instid1(VALU_DEP_1)
	v_cndmask_b32_e64 v14, 0xff800000, v14, s1
	v_cmp_ne_u32_e64 s1, 9, v27
	v_cndmask_b32_e64 v15, 0xff800000, v15, s1
	v_cmp_ne_u32_e64 s1, 8, v27
	s_delay_alu instid0(VALU_DEP_1) | instskip(SKIP_1) | instid1(VALU_DEP_1)
	v_cndmask_b32_e64 v16, 0xff800000, v16, s1
	v_cmp_ne_u32_e64 s1, 7, v27
	v_cndmask_b32_e64 v17, 0xff800000, v17, s1
	v_cmp_ne_u32_e64 s1, 6, v27
	s_delay_alu instid0(VALU_DEP_1) | instskip(SKIP_1) | instid1(VALU_DEP_1)
	;; [unrolled: 5-line block ×4, first 2 shown]
	v_cndmask_b32_e64 v20, 0xff800000, v20, s1
	v_cmp_ne_u32_e64 s1, 1, v27
	v_cndmask_b32_e64 v22, 0xff800000, v22, s1
	v_cmp_ne_u32_e64 s1, 0, v27
	v_fma_f32 v27, 0x3fb8aa3b, v26, -v28
	v_sub_f32_e32 v28, v28, v30
	v_cvt_i32_f32_e32 v30, v30
	s_delay_alu instid0(VALU_DEP_4) | instskip(NEXT) | instid1(VALU_DEP_4)
	v_cndmask_b32_e64 v24, 0xff800000, v24, s1
	v_fmac_f32_e32 v27, 0x32a5705f, v26
	s_delay_alu instid0(VALU_DEP_1) | instskip(NEXT) | instid1(VALU_DEP_1)
	v_add_f32_e32 v27, v28, v27
	v_exp_f32_e32 v27, v27
	s_waitcnt_depctr 0xfff
	v_ldexp_f32 v27, v27, v30
	s_delay_alu instid0(VALU_DEP_1) | instskip(SKIP_1) | instid1(VALU_DEP_2)
	v_cndmask_b32_e32 v27, 0, v27, vcc_lo
	v_cmp_nlt_f32_e32 vcc_lo, 0x42b17218, v26
	v_cndmask_b32_e32 v26, 0x7f800000, v27, vcc_lo
	global_store_b32 v[5:6], v26, off
	v_add_co_u32 v5, vcc_lo, v5, 4
	v_add_f32_e32 v12, v12, v26
	v_add_co_ci_u32_e32 v6, vcc_lo, 0, v6, vcc_lo
	s_cbranch_scc0 .LBB251_7
.LBB251_8:
	s_delay_alu instid0(VALU_DEP_1) | instskip(SKIP_3) | instid1(VALU_DEP_4)
	v_sub_f32_e32 v6, v23, v8
	v_sub_f32_e32 v1, v24, v8
	;; [unrolled: 1-line block ×4, first 2 shown]
	v_dual_sub_f32 v7, v7, v8 :: v_dual_mul_f32 v26, 0x3fb8aa3b, v6
	s_delay_alu instid0(VALU_DEP_4) | instskip(SKIP_2) | instid1(VALU_DEP_4)
	v_dual_sub_f32 v2, v22, v8 :: v_dual_mul_f32 v3, 0x3fb8aa3b, v1
	v_sub_f32_e32 v4, v20, v8
	v_cmp_ngt_f32_e32 vcc_lo, 0xc2ce8ed0, v1
	v_rndne_f32_e32 v29, v26
	s_delay_alu instid0(VALU_DEP_4)
	v_mul_f32_e32 v5, 0x3fb8aa3b, v2
	v_rndne_f32_e32 v22, v3
	v_sub_f32_e32 v20, v21, v8
	v_fma_f32 v21, 0x3fb8aa3b, v1, -v3
	v_mul_f32_e32 v25, 0x3fb8aa3b, v4
	v_fma_f32 v23, 0x3fb8aa3b, v2, -v5
	v_sub_f32_e32 v3, v3, v22
	v_rndne_f32_e32 v24, v5
	v_fmac_f32_e32 v21, 0x32a5705f, v1
	v_fma_f32 v28, 0x3fb8aa3b, v6, -v26
	v_cvt_i32_f32_e32 v22, v22
	v_sub_f32_e32 v18, v18, v8
	v_sub_f32_e32 v5, v5, v24
	s_delay_alu instid0(VALU_DEP_4) | instskip(SKIP_3) | instid1(VALU_DEP_4)
	v_dual_add_f32 v3, v3, v21 :: v_dual_fmac_f32 v28, 0x32a5705f, v6
	v_cvt_i32_f32_e32 v24, v24
	v_sub_f32_e32 v14, v14, v8
	v_sub_f32_e32 v13, v13, v8
	v_exp_f32_e32 v3, v3
	v_sub_f32_e32 v10, v10, v8
	s_waitcnt_depctr 0xfff
	v_ldexp_f32 v3, v3, v22
	v_dual_sub_f32 v22, v26, v29 :: v_dual_fmac_f32 v23, 0x32a5705f, v2
	v_fma_f32 v21, 0x3fb8aa3b, v4, -v25
	s_delay_alu instid0(VALU_DEP_2) | instskip(NEXT) | instid1(VALU_DEP_3)
	v_dual_cndmask_b32 v3, 0, v3 :: v_dual_add_f32 v22, v22, v28
	v_add_f32_e32 v5, v5, v23
	v_cmp_ngt_f32_e32 vcc_lo, 0xc2ce8ed0, v2
	v_rndne_f32_e32 v23, v25
	v_fmac_f32_e32 v21, 0x32a5705f, v4
	v_exp_f32_e32 v22, v22
	v_exp_f32_e32 v5, v5
	s_waitcnt_depctr 0xfff
	v_ldexp_f32 v5, v5, v24
	s_delay_alu instid0(VALU_DEP_1)
	v_cndmask_b32_e32 v5, 0, v5, vcc_lo
	v_cmp_nlt_f32_e32 vcc_lo, 0x42b17218, v1
	v_cndmask_b32_e32 v1, 0x7f800000, v3, vcc_lo
	v_cmp_nlt_f32_e32 vcc_lo, 0x42b17218, v2
	v_sub_f32_e32 v25, v25, v23
	v_cvt_i32_f32_e32 v23, v23
	v_cndmask_b32_e32 v2, 0x7f800000, v5, vcc_lo
	s_delay_alu instid0(VALU_DEP_3) | instskip(SKIP_1) | instid1(VALU_DEP_3)
	v_add_f32_e32 v21, v25, v21
	v_cmp_ngt_f32_e32 vcc_lo, 0xc2ce8ed0, v4
	v_add_f32_e32 v1, v1, v2
	s_delay_alu instid0(VALU_DEP_3) | instskip(SKIP_2) | instid1(VALU_DEP_1)
	v_exp_f32_e32 v21, v21
	s_waitcnt_depctr 0xfff
	v_ldexp_f32 v5, v21, v23
	v_dual_mul_f32 v27, 0x3fb8aa3b, v20 :: v_dual_cndmask_b32 v2, 0, v5
	v_cvt_i32_f32_e32 v5, v29
	v_cmp_nlt_f32_e32 vcc_lo, 0x42b17218, v4
	s_delay_alu instid0(VALU_DEP_3) | instskip(SKIP_1) | instid1(VALU_DEP_4)
	v_fma_f32 v3, 0x3fb8aa3b, v20, -v27
	v_rndne_f32_e32 v21, v27
	v_ldexp_f32 v4, v22, v5
	v_cndmask_b32_e32 v2, 0x7f800000, v2, vcc_lo
	v_cmp_ngt_f32_e32 vcc_lo, 0xc2ce8ed0, v6
	v_fmac_f32_e32 v3, 0x32a5705f, v20
	s_delay_alu instid0(VALU_DEP_3) | instskip(SKIP_3) | instid1(VALU_DEP_2)
	v_dual_add_f32 v1, v1, v2 :: v_dual_cndmask_b32 v2, 0, v4
	v_cmp_nlt_f32_e32 vcc_lo, 0x42b17218, v6
	v_sub_f32_e32 v23, v27, v21
	v_cvt_i32_f32_e32 v6, v21
	v_dual_cndmask_b32 v2, 0x7f800000, v2 :: v_dual_add_f32 v3, v23, v3
	v_cmp_ngt_f32_e32 vcc_lo, 0xc2ce8ed0, v20
	s_delay_alu instid0(VALU_DEP_2) | instskip(NEXT) | instid1(VALU_DEP_3)
	v_add_f32_e32 v1, v1, v2
	v_exp_f32_e32 v3, v3
	s_waitcnt_depctr 0xfff
	v_ldexp_f32 v2, v3, v6
	s_delay_alu instid0(VALU_DEP_1) | instskip(SKIP_1) | instid1(VALU_DEP_2)
	v_cndmask_b32_e32 v2, 0, v2, vcc_lo
	v_cmp_nlt_f32_e32 vcc_lo, 0x42b17218, v20
	v_cndmask_b32_e32 v2, 0x7f800000, v2, vcc_lo
	v_mul_f32_e32 v5, 0x3fb8aa3b, v19
	v_cmp_ngt_f32_e32 vcc_lo, 0xc2ce8ed0, v19
	s_delay_alu instid0(VALU_DEP_3) | instskip(NEXT) | instid1(VALU_DEP_3)
	v_add_f32_e32 v1, v1, v2
	v_fma_f32 v4, 0x3fb8aa3b, v19, -v5
	v_rndne_f32_e32 v22, v5
	s_delay_alu instid0(VALU_DEP_1) | instskip(SKIP_1) | instid1(VALU_DEP_2)
	v_dual_fmac_f32 v4, 0x32a5705f, v19 :: v_dual_sub_f32 v5, v5, v22
	v_cvt_i32_f32_e32 v20, v22
	v_add_f32_e32 v3, v5, v4
	s_delay_alu instid0(VALU_DEP_1) | instskip(SKIP_2) | instid1(VALU_DEP_1)
	v_exp_f32_e32 v3, v3
	s_waitcnt_depctr 0xfff
	v_ldexp_f32 v2, v3, v20
	v_cndmask_b32_e32 v2, 0, v2, vcc_lo
	v_cmp_nlt_f32_e32 vcc_lo, 0x42b17218, v19
	s_delay_alu instid0(VALU_DEP_2) | instskip(SKIP_2) | instid1(VALU_DEP_3)
	v_cndmask_b32_e32 v2, 0x7f800000, v2, vcc_lo
	v_cmp_ngt_f32_e32 vcc_lo, 0xc2ce8ed0, v18
	v_mul_f32_e32 v21, 0x3fb8aa3b, v18
	v_add_f32_e32 v1, v1, v2
	s_delay_alu instid0(VALU_DEP_2) | instskip(SKIP_1) | instid1(VALU_DEP_2)
	v_fma_f32 v4, 0x3fb8aa3b, v18, -v21
	v_rndne_f32_e32 v5, v21
	v_fmac_f32_e32 v4, 0x32a5705f, v18
	s_delay_alu instid0(VALU_DEP_2) | instskip(SKIP_1) | instid1(VALU_DEP_2)
	v_sub_f32_e32 v6, v21, v5
	v_cvt_i32_f32_e32 v5, v5
	v_add_f32_e32 v4, v6, v4
	s_delay_alu instid0(VALU_DEP_1) | instskip(SKIP_2) | instid1(VALU_DEP_1)
	v_exp_f32_e32 v3, v4
	s_waitcnt_depctr 0xfff
	v_ldexp_f32 v3, v3, v5
	v_cndmask_b32_e32 v2, 0, v3, vcc_lo
	v_cmp_nlt_f32_e32 vcc_lo, 0x42b17218, v18
	s_delay_alu instid0(VALU_DEP_2) | instskip(SKIP_2) | instid1(VALU_DEP_2)
	v_cndmask_b32_e32 v2, 0x7f800000, v2, vcc_lo
	v_mul_f32_e32 v6, 0x3fb8aa3b, v17
	v_cmp_ngt_f32_e32 vcc_lo, 0xc2ce8ed0, v17
	v_fma_f32 v4, 0x3fb8aa3b, v17, -v6
	v_rndne_f32_e32 v20, v6
	s_delay_alu instid0(VALU_DEP_2) | instskip(NEXT) | instid1(VALU_DEP_2)
	v_fmac_f32_e32 v4, 0x32a5705f, v17
	v_sub_f32_e32 v6, v6, v20
	s_delay_alu instid0(VALU_DEP_1) | instskip(SKIP_3) | instid1(VALU_DEP_4)
	v_add_f32_e32 v4, v6, v4
	v_sub_f32_e32 v6, v15, v8
	v_cvt_i32_f32_e32 v15, v20
	v_mul_f32_e32 v20, 0x3fb8aa3b, v13
	v_exp_f32_e32 v3, v4
	s_delay_alu instid0(VALU_DEP_3)
	v_mul_f32_e32 v19, 0x3fb8aa3b, v6
	v_add_f32_e32 v1, v1, v2
	s_waitcnt_depctr 0xfff
	v_ldexp_f32 v2, v3, v15
	v_sub_f32_e32 v5, v16, v8
	v_rndne_f32_e32 v15, v19
	s_delay_alu instid0(VALU_DEP_3) | instskip(NEXT) | instid1(VALU_DEP_3)
	v_cndmask_b32_e32 v2, 0, v2, vcc_lo
	v_mul_f32_e32 v4, 0x3fb8aa3b, v5
	v_cmp_nlt_f32_e32 vcc_lo, 0x42b17218, v17
	s_delay_alu instid0(VALU_DEP_2) | instskip(SKIP_3) | instid1(VALU_DEP_3)
	v_fma_f32 v16, 0x3fb8aa3b, v5, -v4
	v_rndne_f32_e32 v18, v4
	v_cndmask_b32_e32 v2, 0x7f800000, v2, vcc_lo
	v_cmp_ngt_f32_e32 vcc_lo, 0xc2ce8ed0, v5
	v_dual_fmac_f32 v16, 0x32a5705f, v5 :: v_dual_sub_f32 v3, v4, v18
	v_fma_f32 v4, 0x3fb8aa3b, v6, -v19
	v_cvt_i32_f32_e32 v18, v18
	s_delay_alu instid0(VALU_DEP_2) | instskip(SKIP_2) | instid1(VALU_DEP_3)
	v_dual_add_f32 v3, v3, v16 :: v_dual_fmac_f32 v4, 0x32a5705f, v6
	v_dual_sub_f32 v16, v19, v15 :: v_dual_mul_f32 v19, 0x3fb8aa3b, v14
	v_add_f32_e32 v1, v1, v2
	v_exp_f32_e32 v3, v3
	s_delay_alu instid0(VALU_DEP_2) | instskip(NEXT) | instid1(VALU_DEP_3)
	v_add_f32_e32 v4, v16, v4
	v_fma_f32 v16, 0x3fb8aa3b, v14, -v19
	v_rndne_f32_e32 v17, v19
	s_delay_alu instid0(VALU_DEP_3) | instskip(NEXT) | instid1(VALU_DEP_1)
	v_exp_f32_e32 v4, v4
	v_dual_fmac_f32 v16, 0x32a5705f, v14 :: v_dual_sub_f32 v19, v19, v17
	s_waitcnt_depctr 0xfff
	v_ldexp_f32 v2, v3, v18
	v_cvt_i32_f32_e32 v3, v15
	v_rndne_f32_e32 v18, v20
	s_delay_alu instid0(VALU_DEP_3) | instskip(SKIP_1) | instid1(VALU_DEP_4)
	v_dual_add_f32 v15, v19, v16 :: v_dual_cndmask_b32 v2, 0, v2
	v_fma_f32 v16, 0x3fb8aa3b, v13, -v20
	v_ldexp_f32 v3, v4, v3
	v_cmp_nlt_f32_e32 vcc_lo, 0x42b17218, v5
	s_delay_alu instid0(VALU_DEP_4) | instskip(SKIP_4) | instid1(VALU_DEP_2)
	v_exp_f32_e32 v4, v15
	v_cvt_i32_f32_e32 v5, v17
	v_fmac_f32_e32 v16, 0x32a5705f, v13
	v_cndmask_b32_e32 v2, 0x7f800000, v2, vcc_lo
	v_cmp_ngt_f32_e32 vcc_lo, 0xc2ce8ed0, v6
	v_add_f32_e32 v1, v1, v2
	s_waitcnt_depctr 0xfff
	v_ldexp_f32 v2, v4, v5
	v_cndmask_b32_e32 v3, 0, v3, vcc_lo
	v_cmp_nlt_f32_e32 vcc_lo, 0x42b17218, v6
	v_sub_f32_e32 v5, v11, v8
	s_delay_alu instid0(VALU_DEP_1) | instskip(NEXT) | instid1(VALU_DEP_1)
	v_dual_sub_f32 v15, v20, v18 :: v_dual_mul_f32 v6, 0x3fb8aa3b, v5
	v_add_f32_e32 v15, v15, v16
	v_cndmask_b32_e32 v3, 0x7f800000, v3, vcc_lo
	v_cmp_ngt_f32_e32 vcc_lo, 0xc2ce8ed0, v14
	s_delay_alu instid0(VALU_DEP_3) | instskip(SKIP_2) | instid1(VALU_DEP_2)
	v_exp_f32_e32 v4, v15
	v_dual_mul_f32 v15, 0x3fb8aa3b, v7 :: v_dual_cndmask_b32 v2, 0, v2
	v_cmp_nlt_f32_e32 vcc_lo, 0x42b17218, v14
	v_rndne_f32_e32 v16, v15
	v_mul_f32_e32 v11, 0x3fb8aa3b, v10
	s_delay_alu instid0(VALU_DEP_4) | instskip(SKIP_2) | instid1(VALU_DEP_3)
	v_dual_cndmask_b32 v2, 0x7f800000, v2 :: v_dual_add_f32 v1, v1, v3
	v_cvt_i32_f32_e32 v3, v18
	v_cmp_ngt_f32_e32 vcc_lo, 0xc2ce8ed0, v13
	v_add_f32_e32 v1, v1, v2
	s_delay_alu instid0(TRANS32_DEP_1) | instid1(VALU_DEP_3)
	v_ldexp_f32 v3, v4, v3
	v_fma_f32 v2, 0x3fb8aa3b, v5, -v6
	v_rndne_f32_e32 v4, v6
	s_delay_alu instid0(VALU_DEP_2) | instskip(NEXT) | instid1(VALU_DEP_2)
	v_fmac_f32_e32 v2, 0x32a5705f, v5
	v_dual_sub_f32 v6, v6, v4 :: v_dual_cndmask_b32 v3, 0, v3
	v_cmp_nlt_f32_e32 vcc_lo, 0x42b17218, v13
	v_cvt_i32_f32_e32 v4, v4
	s_delay_alu instid0(VALU_DEP_3) | instskip(SKIP_3) | instid1(VALU_DEP_4)
	v_add_f32_e32 v2, v6, v2
	v_rndne_f32_e32 v6, v11
	v_cndmask_b32_e32 v3, 0x7f800000, v3, vcc_lo
	v_cmp_ngt_f32_e32 vcc_lo, 0xc2ce8ed0, v5
	v_exp_f32_e32 v2, v2
	s_waitcnt_depctr 0xfff
	v_ldexp_f32 v2, v2, v4
	v_dual_sub_f32 v9, v9, v8 :: v_dual_sub_f32 v8, v11, v6
	v_add_f32_e32 v1, v1, v3
	v_fma_f32 v3, 0x3fb8aa3b, v10, -v11
	s_delay_alu instid0(VALU_DEP_4) | instskip(SKIP_2) | instid1(VALU_DEP_4)
	v_cndmask_b32_e32 v2, 0, v2, vcc_lo
	v_cmp_nlt_f32_e32 vcc_lo, 0x42b17218, v5
	v_cvt_i32_f32_e32 v6, v6
	v_fmac_f32_e32 v3, 0x32a5705f, v10
	s_delay_alu instid0(VALU_DEP_4) | instskip(SKIP_1) | instid1(VALU_DEP_3)
	v_cndmask_b32_e32 v2, 0x7f800000, v2, vcc_lo
	v_cmp_ngt_f32_e32 vcc_lo, 0xc2ce8ed0, v10
	v_add_f32_e32 v3, v8, v3
	s_delay_alu instid0(VALU_DEP_1) | instskip(SKIP_2) | instid1(VALU_DEP_1)
	v_exp_f32_e32 v3, v3
	s_waitcnt_depctr 0xfff
	v_ldexp_f32 v3, v3, v6
	v_cndmask_b32_e32 v3, 0, v3, vcc_lo
	v_cmp_nlt_f32_e32 vcc_lo, 0x42b17218, v10
	s_delay_alu instid0(VALU_DEP_2) | instskip(SKIP_2) | instid1(VALU_DEP_1)
	v_cndmask_b32_e32 v3, 0x7f800000, v3, vcc_lo
	v_cmp_ngt_f32_e32 vcc_lo, 0xc2ce8ed0, v9
	v_mul_f32_e32 v13, 0x3fb8aa3b, v9
	v_fma_f32 v11, 0x3fb8aa3b, v9, -v13
	v_rndne_f32_e32 v14, v13
	s_delay_alu instid0(VALU_DEP_1) | instskip(SKIP_2) | instid1(VALU_DEP_3)
	v_dual_fmac_f32 v11, 0x32a5705f, v9 :: v_dual_sub_f32 v8, v13, v14
	v_fma_f32 v13, 0x3fb8aa3b, v7, -v15
	v_cvt_i32_f32_e32 v5, v14
	v_add_f32_e32 v4, v8, v11
	s_delay_alu instid0(VALU_DEP_3) | instskip(NEXT) | instid1(VALU_DEP_2)
	v_dual_fmac_f32 v13, 0x32a5705f, v7 :: v_dual_sub_f32 v8, v15, v16
	v_exp_f32_e32 v4, v4
	s_delay_alu instid0(VALU_DEP_1) | instskip(NEXT) | instid1(VALU_DEP_1)
	v_dual_add_f32 v8, v8, v13 :: v_dual_add_f32 v1, v1, v2
	v_exp_f32_e32 v6, v8
	s_waitcnt_depctr 0xfff
	v_ldexp_f32 v2, v4, v5
	v_cvt_i32_f32_e32 v4, v16
	s_delay_alu instid0(VALU_DEP_2) | instskip(SKIP_1) | instid1(VALU_DEP_3)
	v_cndmask_b32_e32 v2, 0, v2, vcc_lo
	v_cmp_nlt_f32_e32 vcc_lo, 0x42b17218, v9
	v_ldexp_f32 v4, v6, v4
	s_delay_alu instid0(VALU_DEP_3) | instskip(SKIP_1) | instid1(VALU_DEP_2)
	v_dual_add_f32 v1, v1, v3 :: v_dual_cndmask_b32 v2, 0x7f800000, v2
	v_cmp_ngt_f32_e32 vcc_lo, 0xc2ce8ed0, v7
	v_add_f32_e32 v1, v1, v2
	s_delay_alu instid0(VALU_DEP_4) | instskip(SKIP_1) | instid1(VALU_DEP_2)
	v_cndmask_b32_e32 v3, 0, v4, vcc_lo
	v_cmp_nlt_f32_e32 vcc_lo, 0x42b17218, v7
	v_cndmask_b32_e32 v2, 0x7f800000, v3, vcc_lo
	s_delay_alu instid0(VALU_DEP_1) | instskip(NEXT) | instid1(VALU_DEP_1)
	v_add_f32_e32 v1, v1, v2
	v_add_f32_e32 v2, v12, v1
	s_delay_alu instid0(VALU_DEP_1)
	v_cmp_neq_f32_e32 vcc_lo, 0, v2
	s_and_b32 exec_lo, exec_lo, vcc_lo
	s_cbranch_execz .LBB251_12
; %bb.9:
	s_and_not1_b32 vcc_lo, exec_lo, s19
	s_cbranch_vccnz .LBB251_12
; %bb.10:
	v_div_scale_f32 v1, null, v2, v2, 1.0
	v_div_scale_f32 v5, vcc_lo, 1.0, v2, 1.0
	s_delay_alu instid0(VALU_DEP_2) | instskip(SKIP_2) | instid1(VALU_DEP_1)
	v_rcp_f32_e32 v3, v1
	s_waitcnt_depctr 0xfff
	v_fma_f32 v4, -v1, v3, 1.0
	v_fmac_f32_e32 v3, v4, v3
	s_delay_alu instid0(VALU_DEP_1) | instskip(NEXT) | instid1(VALU_DEP_1)
	v_mul_f32_e32 v4, v5, v3
	v_fma_f32 v6, -v1, v4, v5
	s_delay_alu instid0(VALU_DEP_1) | instskip(NEXT) | instid1(VALU_DEP_1)
	v_fmac_f32_e32 v4, v6, v3
	v_fma_f32 v5, -v1, v4, v5
	v_ashrrev_i32_e32 v1, 31, v0
	s_delay_alu instid0(VALU_DEP_2) | instskip(NEXT) | instid1(VALU_DEP_2)
	v_div_fmas_f32 v3, v5, v3, v4
	v_lshlrev_b64 v[0:1], 2, v[0:1]
	s_delay_alu instid0(VALU_DEP_2) | instskip(NEXT) | instid1(VALU_DEP_2)
	v_div_fixup_f32 v2, v3, v2, 1.0
	v_add_co_u32 v0, vcc_lo, s20, v0
	s_delay_alu instid0(VALU_DEP_3)
	v_add_co_ci_u32_e32 v1, vcc_lo, s21, v1, vcc_lo
.LBB251_11:                             ; =>This Inner Loop Header: Depth=1
	global_load_b32 v3, v[0:1], off
	s_add_i32 s16, s16, -1
	s_delay_alu instid0(SALU_CYCLE_1)
	s_cmp_lg_u32 s16, 0
	s_waitcnt vmcnt(0)
	v_mul_f32_e32 v3, v2, v3
	global_store_b32 v[0:1], v3, off
	v_add_co_u32 v0, vcc_lo, v0, 4
	v_add_co_ci_u32_e32 v1, vcc_lo, 0, v1, vcc_lo
	s_cbranch_scc1 .LBB251_11
.LBB251_12:
	s_nop 0
	s_sendmsg sendmsg(MSG_DEALLOC_VGPRS)
	s_endpgm
	.section	.rodata,"a",@progbits
	.p2align	6, 0x0
	.amdhsa_kernel _ZN4vllm3moe17topkGatingSoftmaxItLi16ELi16ELi8ELi32ELb0ELi1ELNS0_23SharedExpertScoringFuncE1EEEvPKT_PKbPfiPiS9_iiiiii
		.amdhsa_group_segment_fixed_size 0
		.amdhsa_private_segment_fixed_size 0
		.amdhsa_kernarg_size 72
		.amdhsa_user_sgpr_count 15
		.amdhsa_user_sgpr_dispatch_ptr 0
		.amdhsa_user_sgpr_queue_ptr 0
		.amdhsa_user_sgpr_kernarg_segment_ptr 1
		.amdhsa_user_sgpr_dispatch_id 0
		.amdhsa_user_sgpr_private_segment_size 0
		.amdhsa_wavefront_size32 1
		.amdhsa_uses_dynamic_stack 0
		.amdhsa_enable_private_segment 0
		.amdhsa_system_sgpr_workgroup_id_x 1
		.amdhsa_system_sgpr_workgroup_id_y 0
		.amdhsa_system_sgpr_workgroup_id_z 0
		.amdhsa_system_sgpr_workgroup_info 0
		.amdhsa_system_vgpr_workitem_id 1
		.amdhsa_next_free_vgpr 34
		.amdhsa_next_free_sgpr 27
		.amdhsa_reserve_vcc 1
		.amdhsa_float_round_mode_32 0
		.amdhsa_float_round_mode_16_64 0
		.amdhsa_float_denorm_mode_32 3
		.amdhsa_float_denorm_mode_16_64 3
		.amdhsa_dx10_clamp 1
		.amdhsa_ieee_mode 1
		.amdhsa_fp16_overflow 0
		.amdhsa_workgroup_processor_mode 1
		.amdhsa_memory_ordered 1
		.amdhsa_forward_progress 0
		.amdhsa_shared_vgpr_count 0
		.amdhsa_exception_fp_ieee_invalid_op 0
		.amdhsa_exception_fp_denorm_src 0
		.amdhsa_exception_fp_ieee_div_zero 0
		.amdhsa_exception_fp_ieee_overflow 0
		.amdhsa_exception_fp_ieee_underflow 0
		.amdhsa_exception_fp_ieee_inexact 0
		.amdhsa_exception_int_div_zero 0
	.end_amdhsa_kernel
	.section	.text._ZN4vllm3moe17topkGatingSoftmaxItLi16ELi16ELi8ELi32ELb0ELi1ELNS0_23SharedExpertScoringFuncE1EEEvPKT_PKbPfiPiS9_iiiiii,"axG",@progbits,_ZN4vllm3moe17topkGatingSoftmaxItLi16ELi16ELi8ELi32ELb0ELi1ELNS0_23SharedExpertScoringFuncE1EEEvPKT_PKbPfiPiS9_iiiiii,comdat
.Lfunc_end251:
	.size	_ZN4vllm3moe17topkGatingSoftmaxItLi16ELi16ELi8ELi32ELb0ELi1ELNS0_23SharedExpertScoringFuncE1EEEvPKT_PKbPfiPiS9_iiiiii, .Lfunc_end251-_ZN4vllm3moe17topkGatingSoftmaxItLi16ELi16ELi8ELi32ELb0ELi1ELNS0_23SharedExpertScoringFuncE1EEEvPKT_PKbPfiPiS9_iiiiii
                                        ; -- End function
	.section	.AMDGPU.csdata,"",@progbits
; Kernel info:
; codeLenInByte = 4612
; NumSgprs: 29
; NumVgprs: 34
; ScratchSize: 0
; MemoryBound: 0
; FloatMode: 240
; IeeeMode: 1
; LDSByteSize: 0 bytes/workgroup (compile time only)
; SGPRBlocks: 3
; VGPRBlocks: 4
; NumSGPRsForWavesPerEU: 29
; NumVGPRsForWavesPerEU: 34
; Occupancy: 16
; WaveLimiterHint : 0
; COMPUTE_PGM_RSRC2:SCRATCH_EN: 0
; COMPUTE_PGM_RSRC2:USER_SGPR: 15
; COMPUTE_PGM_RSRC2:TRAP_HANDLER: 0
; COMPUTE_PGM_RSRC2:TGID_X_EN: 1
; COMPUTE_PGM_RSRC2:TGID_Y_EN: 0
; COMPUTE_PGM_RSRC2:TGID_Z_EN: 0
; COMPUTE_PGM_RSRC2:TIDIG_COMP_CNT: 1
	.section	.text._ZN4vllm3moe17topkGatingSoftmaxItLi16ELi16ELi8ELi32ELb1ELi2ELNS0_23SharedExpertScoringFuncE1EEEvPKT_PKbPfiPiS9_iiiiii,"axG",@progbits,_ZN4vllm3moe17topkGatingSoftmaxItLi16ELi16ELi8ELi32ELb1ELi2ELNS0_23SharedExpertScoringFuncE1EEEvPKT_PKbPfiPiS9_iiiiii,comdat
	.protected	_ZN4vllm3moe17topkGatingSoftmaxItLi16ELi16ELi8ELi32ELb1ELi2ELNS0_23SharedExpertScoringFuncE1EEEvPKT_PKbPfiPiS9_iiiiii ; -- Begin function _ZN4vllm3moe17topkGatingSoftmaxItLi16ELi16ELi8ELi32ELb1ELi2ELNS0_23SharedExpertScoringFuncE1EEEvPKT_PKbPfiPiS9_iiiiii
	.globl	_ZN4vllm3moe17topkGatingSoftmaxItLi16ELi16ELi8ELi32ELb1ELi2ELNS0_23SharedExpertScoringFuncE1EEEvPKT_PKbPfiPiS9_iiiiii
	.p2align	8
	.type	_ZN4vllm3moe17topkGatingSoftmaxItLi16ELi16ELi8ELi32ELb1ELi2ELNS0_23SharedExpertScoringFuncE1EEEvPKT_PKbPfiPiS9_iiiiii,@function
_ZN4vllm3moe17topkGatingSoftmaxItLi16ELi16ELi8ELi32ELb1ELi2ELNS0_23SharedExpertScoringFuncE1EEEvPKT_PKbPfiPiS9_iiiiii: ; @_ZN4vllm3moe17topkGatingSoftmaxItLi16ELi16ELi8ELi32ELb1ELi2ELNS0_23SharedExpertScoringFuncE1EEEvPKT_PKbPfiPiS9_iiiiii
; %bb.0:
	s_load_b32 s3, s[0:1], 0x18
	v_bfe_u32 v1, v0, 10, 10
	v_and_b32_e32 v11, 0x3ff, v0
	s_lshl_b32 s15, s15, 8
	s_mov_b32 s2, exec_lo
	s_delay_alu instid0(VALU_DEP_2) | instskip(NEXT) | instid1(VALU_DEP_1)
	v_lshlrev_b32_e32 v10, 5, v1
	v_add3_u32 v13, v10, v11, s15
	s_waitcnt lgkmcnt(0)
	s_delay_alu instid0(VALU_DEP_1)
	v_cmpx_gt_i32_e64 s3, v13
	s_cbranch_execz .LBB252_12
; %bb.1:
	s_clause 0x1
	s_load_b128 s[4:7], s[0:1], 0x0
	s_load_b64 s[12:13], s[0:1], 0x10
	s_waitcnt lgkmcnt(0)
	s_cmp_eq_u64 s[6:7], 0
	s_cbranch_scc1 .LBB252_3
; %bb.2:
	v_ashrrev_i32_e32 v1, 31, v13
	v_add_co_u32 v0, vcc_lo, s6, v13
	s_delay_alu instid0(VALU_DEP_2) | instskip(SKIP_3) | instid1(VALU_DEP_1)
	v_add_co_ci_u32_e32 v1, vcc_lo, s7, v1, vcc_lo
	global_load_u8 v0, v[0:1], off
	s_waitcnt vmcnt(0)
	v_and_b32_e32 v0, 1, v0
	v_cmp_eq_u32_e32 vcc_lo, 1, v0
	s_xor_b32 s2, vcc_lo, -1
	s_delay_alu instid0(SALU_CYCLE_1)
	s_or_not1_b32 s14, s2, exec_lo
	s_branch .LBB252_4
.LBB252_3:
	s_mov_b32 s14, -1
.LBB252_4:
	s_load_b64 s[8:9], s[0:1], 0x40
	s_waitcnt lgkmcnt(0)
	v_mul_lo_u32 v0, v13, s9
	s_delay_alu instid0(VALU_DEP_1) | instskip(NEXT) | instid1(VALU_DEP_1)
	v_ashrrev_i32_e32 v1, 31, v0
	v_lshlrev_b64 v[0:1], 1, v[0:1]
	s_delay_alu instid0(VALU_DEP_1) | instskip(NEXT) | instid1(VALU_DEP_2)
	v_add_co_u32 v4, vcc_lo, s4, v0
	v_add_co_ci_u32_e32 v5, vcc_lo, s5, v1, vcc_lo
	s_load_b128 s[4:7], s[0:1], 0x30
	s_clause 0x2
	global_load_b32 v8, v[4:5], off offset:32
	global_load_b128 v[0:3], v[4:5], off offset:16
	global_load_b128 v[4:7], v[4:5], off
	s_waitcnt lgkmcnt(0)
	s_cmp_gt_i32 s4, 0
	s_waitcnt vmcnt(2)
	v_and_b32_e32 v9, 0xffff, v8
	v_lshrrev_b32_e32 v8, 16, v8
	s_delay_alu instid0(VALU_DEP_1) | instskip(NEXT) | instid1(VALU_DEP_1)
	v_cvt_f32_u32_e32 v8, v8
	v_mul_f32_e32 v14, 0xbfb8aa3b, v8
	s_delay_alu instid0(VALU_DEP_1) | instskip(SKIP_1) | instid1(VALU_DEP_2)
	v_rndne_f32_e32 v18, v14
	v_fma_f32 v17, 0xbfb8aa3b, v8, -v14
	v_sub_f32_e32 v14, v14, v18
	v_cvt_f32_u32_e32 v9, v9
	s_delay_alu instid0(VALU_DEP_1) | instskip(SKIP_1) | instid1(VALU_DEP_2)
	v_mul_f32_e32 v12, 0xbfb8aa3b, v9
	v_cmp_nlt_f32_e32 vcc_lo, 0x42ce8ed0, v9
	v_fma_f32 v15, 0xbfb8aa3b, v9, -v12
	v_rndne_f32_e32 v16, v12
	s_delay_alu instid0(VALU_DEP_1) | instskip(NEXT) | instid1(VALU_DEP_1)
	v_dual_fmac_f32 v15, 0xb2a5705f, v9 :: v_dual_sub_f32 v12, v12, v16
	v_dual_fmac_f32 v17, 0xb2a5705f, v8 :: v_dual_add_f32 v12, v12, v15
	v_cvt_i32_f32_e32 v15, v16
	v_cvt_i32_f32_e32 v16, v18
	s_delay_alu instid0(VALU_DEP_3) | instskip(SKIP_2) | instid1(VALU_DEP_1)
	v_exp_f32_e32 v12, v12
	s_waitcnt_depctr 0xfff
	v_ldexp_f32 v12, v12, v15
	v_cndmask_b32_e32 v12, 0, v12, vcc_lo
	v_add_f32_e32 v14, v14, v17
	v_cmp_nlt_f32_e32 vcc_lo, 0x42ce8ed0, v8
	s_delay_alu instid0(VALU_DEP_2) | instskip(SKIP_2) | instid1(VALU_DEP_1)
	v_exp_f32_e32 v14, v14
	s_waitcnt_depctr 0xfff
	v_ldexp_f32 v14, v14, v16
	v_cndmask_b32_e32 v14, 0, v14, vcc_lo
	v_cmp_ngt_f32_e32 vcc_lo, 0xc2b17218, v9
	v_cndmask_b32_e32 v9, 0x7f800000, v12, vcc_lo
	v_cmp_ngt_f32_e32 vcc_lo, 0xc2b17218, v8
	s_delay_alu instid0(VALU_DEP_2) | instskip(NEXT) | instid1(VALU_DEP_1)
	v_dual_add_f32 v9, 1.0, v9 :: v_dual_cndmask_b32 v8, 0x7f800000, v14
	v_div_scale_f32 v16, null, v9, v9, 1.0
	s_delay_alu instid0(VALU_DEP_2) | instskip(SKIP_1) | instid1(VALU_DEP_3)
	v_add_f32_e32 v12, 1.0, v8
	v_div_scale_f32 v20, vcc_lo, 1.0, v9, 1.0
	v_rcp_f32_e32 v18, v16
	s_delay_alu instid0(VALU_DEP_2) | instskip(SKIP_1) | instid1(VALU_DEP_2)
	v_div_scale_f32 v17, null, v12, v12, 1.0
	v_div_scale_f32 v21, s2, 1.0, v12, 1.0
	v_rcp_f32_e32 v19, v17
	s_waitcnt_depctr 0xfff
	v_fma_f32 v8, -v16, v18, 1.0
	s_delay_alu instid0(VALU_DEP_1) | instskip(SKIP_2) | instid1(VALU_DEP_1)
	v_fmac_f32_e32 v18, v8, v18
	v_mul_lo_u32 v8, v13, s7
	v_fma_f32 v14, -v17, v19, 1.0
	v_dual_mul_f32 v22, v20, v18 :: v_dual_fmac_f32 v19, v14, v19
	s_delay_alu instid0(VALU_DEP_3) | instskip(NEXT) | instid1(VALU_DEP_2)
	v_add_nc_u32_e32 v14, s4, v8
	v_fma_f32 v15, -v16, v22, v20
	s_delay_alu instid0(VALU_DEP_1) | instskip(NEXT) | instid1(VALU_DEP_3)
	v_dual_mul_f32 v23, v21, v19 :: v_dual_fmac_f32 v22, v15, v18
	v_ashrrev_i32_e32 v15, 31, v14
	s_delay_alu instid0(VALU_DEP_2) | instskip(NEXT) | instid1(VALU_DEP_3)
	v_fma_f32 v24, -v17, v23, v21
	v_fma_f32 v16, -v16, v22, v20
	s_delay_alu instid0(VALU_DEP_3) | instskip(NEXT) | instid1(VALU_DEP_3)
	v_lshlrev_b64 v[14:15], 2, v[14:15]
	v_fmac_f32_e32 v23, v24, v19
	s_delay_alu instid0(VALU_DEP_3) | instskip(SKIP_1) | instid1(VALU_DEP_2)
	v_div_fmas_f32 v16, v16, v18, v22
	s_mov_b32 vcc_lo, s2
	v_fma_f32 v17, -v17, v23, v21
	s_cselect_b32 s2, -1, 0
	s_cmp_lt_i32 s4, 1
	v_div_fixup_f32 v16, v16, v9, 1.0
	s_delay_alu instid0(VALU_DEP_2) | instskip(SKIP_2) | instid1(VALU_DEP_3)
	v_div_fmas_f32 v17, v17, v19, v23
	v_add_co_u32 v14, vcc_lo, s12, v14
	v_add_co_ci_u32_e32 v15, vcc_lo, s13, v15, vcc_lo
	v_div_fixup_f32 v17, v17, v12, 1.0
	v_mov_b32_e32 v12, 0
	global_store_b64 v[14:15], v[16:17], off
	s_cbranch_scc1 .LBB252_8
; %bb.5:
	s_waitcnt vmcnt(0)
	v_lshrrev_b32_e32 v9, 16, v4
	s_delay_alu instid0(VALU_DEP_1) | instskip(SKIP_1) | instid1(VALU_DEP_1)
	v_cvt_f32_u32_e32 v25, v9
	v_and_b32_e32 v4, 0xffff, v4
	v_cvt_f32_u32_e32 v26, v4
	s_delay_alu instid0(VALU_DEP_1) | instskip(SKIP_3) | instid1(VALU_DEP_2)
	v_cmp_lt_f32_e32 vcc_lo, v26, v25
	v_cndmask_b32_e32 v9, v26, v25, vcc_lo
	v_and_b32_e32 v4, 0xffff, v5
	v_lshrrev_b32_e32 v5, 16, v5
	v_cvt_f32_u32_e32 v24, v4
	v_cndmask_b32_e64 v4, 0, 1, vcc_lo
	s_delay_alu instid0(VALU_DEP_3) | instskip(NEXT) | instid1(VALU_DEP_3)
	v_cvt_f32_u32_e32 v23, v5
	v_cmp_lt_f32_e32 vcc_lo, v9, v24
	v_cndmask_b32_e32 v5, v9, v24, vcc_lo
	v_and_b32_e32 v9, 0xffff, v6
	v_lshrrev_b32_e32 v6, 16, v6
	v_cndmask_b32_e64 v4, v4, 2, vcc_lo
	s_delay_alu instid0(VALU_DEP_4) | instskip(NEXT) | instid1(VALU_DEP_4)
	v_cmp_lt_f32_e32 vcc_lo, v5, v23
	v_cvt_f32_u32_e32 v22, v9
	s_delay_alu instid0(VALU_DEP_4) | instskip(SKIP_4) | instid1(VALU_DEP_4)
	v_cvt_f32_u32_e32 v21, v6
	v_and_b32_e32 v6, 0xffff, v7
	v_ashrrev_i32_e32 v9, 31, v8
	v_cndmask_b32_e32 v5, v5, v23, vcc_lo
	v_cndmask_b32_e64 v4, v4, 3, vcc_lo
	v_cvt_f32_u32_e32 v20, v6
	v_lshrrev_b32_e32 v6, 16, v7
	s_delay_alu instid0(VALU_DEP_1) | instskip(SKIP_3) | instid1(VALU_DEP_3)
	v_cvt_f32_u32_e32 v19, v6
	v_and_b32_e32 v6, 0xffff, v0
	v_cmp_lt_f32_e32 vcc_lo, v5, v22
	v_lshrrev_b32_e32 v0, 16, v0
	v_cvt_f32_u32_e32 v18, v6
	v_cndmask_b32_e32 v5, v5, v22, vcc_lo
	v_cndmask_b32_e64 v4, v4, 4, vcc_lo
	s_delay_alu instid0(VALU_DEP_4) | instskip(NEXT) | instid1(VALU_DEP_3)
	v_cvt_f32_u32_e32 v17, v0
	v_cmp_lt_f32_e32 vcc_lo, v5, v21
	v_cndmask_b32_e32 v5, v5, v21, vcc_lo
	s_delay_alu instid0(VALU_DEP_4) | instskip(NEXT) | instid1(VALU_DEP_2)
	v_cndmask_b32_e64 v4, v4, 5, vcc_lo
	v_cmp_lt_f32_e32 vcc_lo, v5, v20
	v_cndmask_b32_e32 v5, v5, v20, vcc_lo
	s_delay_alu instid0(VALU_DEP_3) | instskip(NEXT) | instid1(VALU_DEP_2)
	v_cndmask_b32_e64 v4, v4, 6, vcc_lo
	v_cmp_lt_f32_e32 vcc_lo, v5, v19
	v_cndmask_b32_e32 v5, v5, v19, vcc_lo
	s_delay_alu instid0(VALU_DEP_3) | instskip(NEXT) | instid1(VALU_DEP_2)
	v_cndmask_b32_e64 v4, v4, 7, vcc_lo
	v_cmp_lt_f32_e32 vcc_lo, v5, v18
	s_delay_alu instid0(VALU_DEP_2) | instskip(SKIP_2) | instid1(VALU_DEP_2)
	v_cndmask_b32_e64 v0, v4, 8, vcc_lo
	v_dual_cndmask_b32 v4, v5, v18 :: v_dual_and_b32 v5, 0xffff, v1
	v_lshrrev_b32_e32 v1, 16, v1
	v_cmp_lt_f32_e32 vcc_lo, v4, v17
	s_delay_alu instid0(VALU_DEP_3) | instskip(NEXT) | instid1(VALU_DEP_3)
	v_cvt_f32_u32_e32 v16, v5
	v_cvt_f32_u32_e32 v15, v1
	v_cndmask_b32_e32 v4, v4, v17, vcc_lo
	v_cndmask_b32_e64 v0, v0, 9, vcc_lo
	s_delay_alu instid0(VALU_DEP_2) | instskip(SKIP_1) | instid1(VALU_DEP_3)
	v_cmp_lt_f32_e32 vcc_lo, v4, v16
	v_cndmask_b32_e32 v1, v4, v16, vcc_lo
	v_cndmask_b32_e64 v0, v0, 10, vcc_lo
	v_and_b32_e32 v4, 0xffff, v2
	v_lshrrev_b32_e32 v2, 16, v2
	s_delay_alu instid0(VALU_DEP_4) | instskip(NEXT) | instid1(VALU_DEP_3)
	v_cmp_lt_f32_e32 vcc_lo, v1, v15
	v_cvt_f32_u32_e32 v14, v4
	s_delay_alu instid0(VALU_DEP_3) | instskip(SKIP_4) | instid1(VALU_DEP_4)
	v_cvt_f32_u32_e32 v28, v2
	v_and_b32_e32 v2, 0xffff, v3
	v_cndmask_b32_e32 v1, v1, v15, vcc_lo
	v_cndmask_b32_e64 v0, v0, 11, vcc_lo
	v_lshlrev_b64 v[4:5], 2, v[8:9]
	v_cvt_f32_u32_e32 v29, v2
	s_delay_alu instid0(VALU_DEP_4) | instskip(SKIP_3) | instid1(VALU_DEP_3)
	v_cmp_lt_f32_e32 vcc_lo, v1, v14
	v_lshrrev_b32_e32 v2, 16, v3
	v_cndmask_b32_e32 v1, v1, v14, vcc_lo
	v_cndmask_b32_e64 v0, v0, 12, vcc_lo
	v_cvt_f32_u32_e32 v7, v2
	v_mul_lo_u32 v2, v13, s4
	s_delay_alu instid0(VALU_DEP_4) | instskip(SKIP_2) | instid1(VALU_DEP_2)
	v_cmp_lt_f32_e32 vcc_lo, v1, v28
	v_cndmask_b32_e32 v1, v1, v28, vcc_lo
	v_cndmask_b32_e64 v0, v0, 13, vcc_lo
	v_cmp_lt_f32_e32 vcc_lo, v1, v29
	v_cndmask_b32_e32 v1, v1, v29, vcc_lo
	s_delay_alu instid0(VALU_DEP_3) | instskip(NEXT) | instid1(VALU_DEP_2)
	v_cndmask_b32_e64 v0, v0, 14, vcc_lo
	v_cmp_lt_f32_e32 vcc_lo, v1, v7
	v_cndmask_b32_e32 v6, v1, v7, vcc_lo
	s_delay_alu instid0(VALU_DEP_3) | instskip(SKIP_2) | instid1(VALU_DEP_4)
	v_cndmask_b32_e64 v27, v0, 15, vcc_lo
	v_add_co_u32 v4, vcc_lo, s12, v4
	v_add_co_ci_u32_e32 v5, vcc_lo, s13, v5, vcc_lo
	v_sub_f32_e32 v12, v6, v6
	s_delay_alu instid0(VALU_DEP_4) | instskip(SKIP_1) | instid1(VALU_DEP_3)
	v_cmp_le_i32_e32 vcc_lo, s5, v27
	v_subrev_nc_u32_e32 v32, s5, v27
	v_mul_f32_e32 v0, 0x3fb8aa3b, v12
	s_delay_alu instid0(VALU_DEP_1) | instskip(SKIP_1) | instid1(VALU_DEP_2)
	v_fma_f32 v1, 0x3fb8aa3b, v12, -v0
	v_rndne_f32_e32 v30, v0
	v_fmac_f32_e32 v1, 0x32a5705f, v12
	s_delay_alu instid0(VALU_DEP_2)
	v_sub_f32_e32 v3, v0, v30
	v_mul_lo_u32 v0, v13, s8
	s_load_b128 s[8:11], s[0:1], 0x20
	v_cvt_i32_f32_e32 v30, v30
	v_cmp_gt_i32_e64 s0, s6, v27
	v_add_f32_e32 v3, v3, v1
	s_delay_alu instid0(VALU_DEP_4) | instskip(NEXT) | instid1(VALU_DEP_2)
	v_ashrrev_i32_e32 v1, 31, v0
	v_exp_f32_e32 v9, v3
	s_delay_alu instid0(VALU_DEP_3) | instskip(SKIP_3) | instid1(VALU_DEP_2)
	s_and_b32 s0, vcc_lo, s0
	v_cmp_ngt_f32_e32 vcc_lo, 0xc2ce8ed0, v12
	v_ashrrev_i32_e32 v3, 31, v2
	v_lshlrev_b64 v[0:1], 2, v[0:1]
	v_lshlrev_b64 v[2:3], 2, v[2:3]
	s_waitcnt_depctr 0xfff
	v_ldexp_f32 v9, v9, v30
	s_delay_alu instid0(VALU_DEP_1)
	v_cndmask_b32_e32 v9, 0, v9, vcc_lo
	s_waitcnt lgkmcnt(0)
	v_add_co_u32 v30, vcc_lo, s8, v0
	v_add_co_ci_u32_e32 v31, vcc_lo, s9, v1, vcc_lo
	s_and_b32 vcc_lo, s14, s0
	s_cmp_eq_u32 s4, 1
	v_cndmask_b32_e32 v34, 16, v32, vcc_lo
	v_cmp_nlt_f32_e32 vcc_lo, 0x42b17218, v12
	v_cndmask_b32_e32 v12, 0x7f800000, v9, vcc_lo
	v_add_co_u32 v32, vcc_lo, s10, v2
	v_add_co_ci_u32_e32 v33, vcc_lo, s11, v3, vcc_lo
	global_store_b32 v[30:31], v34, off
	global_store_b32 v[4:5], v12, off
	;; [unrolled: 1-line block ×3, first 2 shown]
	s_cbranch_scc1 .LBB252_8
; %bb.6:
	v_cmp_ne_u32_e32 vcc_lo, 15, v27
	s_add_i32 s15, s15, s3
	s_add_i32 s7, s4, -1
	v_add3_u32 v10, s15, v11, v10
	v_cndmask_b32_e32 v7, 0xff800000, v7, vcc_lo
	v_cmp_ne_u32_e32 vcc_lo, 14, v27
	v_cndmask_b32_e32 v9, 0xff800000, v29, vcc_lo
	v_cmp_ne_u32_e32 vcc_lo, 13, v27
	;; [unrolled: 2-line block ×15, first 2 shown]
	v_cndmask_b32_e32 v26, 0xff800000, v26, vcc_lo
	v_add_co_u32 v2, vcc_lo, v2, s10
	v_add_co_ci_u32_e32 v3, vcc_lo, s11, v3, vcc_lo
	v_add_co_u32 v27, vcc_lo, v0, s8
	v_add_co_ci_u32_e32 v28, vcc_lo, s9, v1, vcc_lo
	s_delay_alu instid0(VALU_DEP_4) | instskip(NEXT) | instid1(VALU_DEP_4)
	v_add_co_u32 v0, vcc_lo, v2, 4
	v_add_co_ci_u32_e32 v1, vcc_lo, 0, v3, vcc_lo
	s_delay_alu instid0(VALU_DEP_4) | instskip(NEXT) | instid1(VALU_DEP_4)
	v_add_co_u32 v2, vcc_lo, v27, 4
	v_add_co_ci_u32_e32 v3, vcc_lo, 0, v28, vcc_lo
	v_add_co_u32 v4, vcc_lo, v4, 4
	v_add_co_ci_u32_e32 v5, vcc_lo, 0, v5, vcc_lo
.LBB252_7:                              ; =>This Inner Loop Header: Depth=1
	v_cmp_gt_f32_e32 vcc_lo, v25, v26
	s_add_i32 s7, s7, -1
	v_cndmask_b32_e32 v11, v26, v25, vcc_lo
	v_cndmask_b32_e64 v27, 0, 1, vcc_lo
	s_delay_alu instid0(VALU_DEP_2) | instskip(SKIP_1) | instid1(VALU_DEP_3)
	v_cmp_gt_f32_e32 vcc_lo, v24, v11
	v_cndmask_b32_e32 v11, v11, v24, vcc_lo
	v_cndmask_b32_e64 v27, v27, 2, vcc_lo
	s_delay_alu instid0(VALU_DEP_2) | instskip(SKIP_1) | instid1(VALU_DEP_3)
	v_cmp_gt_f32_e32 vcc_lo, v23, v11
	v_cndmask_b32_e32 v11, v11, v23, vcc_lo
	v_cndmask_b32_e64 v27, v27, 3, vcc_lo
	s_delay_alu instid0(VALU_DEP_2) | instskip(SKIP_1) | instid1(VALU_DEP_3)
	v_cmp_gt_f32_e32 vcc_lo, v22, v11
	v_cndmask_b32_e32 v11, v11, v22, vcc_lo
	v_cndmask_b32_e64 v27, v27, 4, vcc_lo
	s_delay_alu instid0(VALU_DEP_2) | instskip(SKIP_1) | instid1(VALU_DEP_3)
	v_cmp_gt_f32_e32 vcc_lo, v21, v11
	v_cndmask_b32_e32 v11, v11, v21, vcc_lo
	v_cndmask_b32_e64 v27, v27, 5, vcc_lo
	s_delay_alu instid0(VALU_DEP_2) | instskip(SKIP_1) | instid1(VALU_DEP_3)
	v_cmp_gt_f32_e32 vcc_lo, v20, v11
	v_cndmask_b32_e32 v11, v11, v20, vcc_lo
	v_cndmask_b32_e64 v27, v27, 6, vcc_lo
	s_delay_alu instid0(VALU_DEP_2) | instskip(SKIP_1) | instid1(VALU_DEP_3)
	v_cmp_gt_f32_e32 vcc_lo, v19, v11
	v_cndmask_b32_e32 v11, v11, v19, vcc_lo
	v_cndmask_b32_e64 v27, v27, 7, vcc_lo
	s_delay_alu instid0(VALU_DEP_2) | instskip(SKIP_1) | instid1(VALU_DEP_3)
	v_cmp_gt_f32_e32 vcc_lo, v18, v11
	v_cndmask_b32_e32 v11, v11, v18, vcc_lo
	v_cndmask_b32_e64 v27, v27, 8, vcc_lo
	s_delay_alu instid0(VALU_DEP_2) | instskip(SKIP_1) | instid1(VALU_DEP_3)
	v_cmp_gt_f32_e32 vcc_lo, v17, v11
	v_cndmask_b32_e32 v11, v11, v17, vcc_lo
	v_cndmask_b32_e64 v27, v27, 9, vcc_lo
	s_delay_alu instid0(VALU_DEP_2) | instskip(SKIP_1) | instid1(VALU_DEP_3)
	v_cmp_gt_f32_e32 vcc_lo, v16, v11
	v_cndmask_b32_e32 v11, v11, v16, vcc_lo
	v_cndmask_b32_e64 v27, v27, 10, vcc_lo
	s_delay_alu instid0(VALU_DEP_2) | instskip(SKIP_1) | instid1(VALU_DEP_3)
	v_cmp_gt_f32_e32 vcc_lo, v15, v11
	v_cndmask_b32_e32 v11, v11, v15, vcc_lo
	v_cndmask_b32_e64 v27, v27, 11, vcc_lo
	s_delay_alu instid0(VALU_DEP_2) | instskip(SKIP_1) | instid1(VALU_DEP_3)
	v_cmp_gt_f32_e32 vcc_lo, v14, v11
	v_cndmask_b32_e32 v11, v11, v14, vcc_lo
	v_cndmask_b32_e64 v27, v27, 12, vcc_lo
	s_delay_alu instid0(VALU_DEP_2) | instskip(SKIP_1) | instid1(VALU_DEP_3)
	v_cmp_gt_f32_e32 vcc_lo, v13, v11
	v_cndmask_b32_e32 v11, v11, v13, vcc_lo
	v_cndmask_b32_e64 v27, v27, 13, vcc_lo
	s_delay_alu instid0(VALU_DEP_2) | instskip(SKIP_1) | instid1(VALU_DEP_3)
	v_cmp_gt_f32_e32 vcc_lo, v9, v11
	v_cndmask_b32_e32 v11, v11, v9, vcc_lo
	v_cndmask_b32_e64 v27, v27, 14, vcc_lo
	s_delay_alu instid0(VALU_DEP_2) | instskip(NEXT) | instid1(VALU_DEP_2)
	v_cmp_gt_f32_e32 vcc_lo, v7, v11
	v_cndmask_b32_e64 v27, v27, 15, vcc_lo
	v_cndmask_b32_e32 v11, v11, v7, vcc_lo
	s_delay_alu instid0(VALU_DEP_2) | instskip(SKIP_2) | instid1(VALU_DEP_4)
	v_cmp_ne_u32_e64 s1, 15, v27
	v_cmp_le_i32_e32 vcc_lo, s5, v27
	v_cmp_gt_i32_e64 s0, s6, v27
	v_sub_f32_e32 v11, v11, v6
	v_subrev_nc_u32_e32 v29, s5, v27
	v_cndmask_b32_e64 v7, 0xff800000, v7, s1
	v_cmp_ne_u32_e64 s1, 14, v27
	s_and_b32 s0, vcc_lo, s0
	s_delay_alu instid0(SALU_CYCLE_1) | instskip(SKIP_1) | instid1(VALU_DEP_2)
	s_and_b32 vcc_lo, s14, s0
	v_dual_mul_f32 v28, 0x3fb8aa3b, v11 :: v_dual_cndmask_b32 v29, 16, v29
	v_cndmask_b32_e64 v9, 0xff800000, v9, s1
	v_cmp_ne_u32_e64 s1, 13, v27
	global_store_b32 v[2:3], v29, off
	global_store_b32 v[0:1], v10, off
	v_rndne_f32_e32 v30, v28
	v_cndmask_b32_e64 v13, 0xff800000, v13, s1
	v_cmp_ne_u32_e64 s1, 12, v27
	v_add_co_u32 v0, vcc_lo, v0, 4
	v_add_co_ci_u32_e32 v1, vcc_lo, 0, v1, vcc_lo
	s_delay_alu instid0(VALU_DEP_3) | instskip(SKIP_3) | instid1(VALU_DEP_3)
	v_cndmask_b32_e64 v14, 0xff800000, v14, s1
	v_cmp_ne_u32_e64 s1, 11, v27
	v_add_co_u32 v2, vcc_lo, v2, 4
	v_add_co_ci_u32_e32 v3, vcc_lo, 0, v3, vcc_lo
	v_cndmask_b32_e64 v15, 0xff800000, v15, s1
	v_cmp_ne_u32_e64 s1, 10, v27
	v_cmp_ngt_f32_e32 vcc_lo, 0xc2ce8ed0, v11
	v_add_nc_u32_e32 v10, s3, v10
	s_cmp_eq_u32 s7, 0
	s_delay_alu instid0(VALU_DEP_3) | instskip(SKIP_1) | instid1(VALU_DEP_1)
	v_cndmask_b32_e64 v16, 0xff800000, v16, s1
	v_cmp_ne_u32_e64 s1, 9, v27
	v_cndmask_b32_e64 v17, 0xff800000, v17, s1
	v_cmp_ne_u32_e64 s1, 8, v27
	s_delay_alu instid0(VALU_DEP_1) | instskip(SKIP_1) | instid1(VALU_DEP_1)
	v_cndmask_b32_e64 v18, 0xff800000, v18, s1
	v_cmp_ne_u32_e64 s1, 7, v27
	v_cndmask_b32_e64 v19, 0xff800000, v19, s1
	v_cmp_ne_u32_e64 s1, 6, v27
	s_delay_alu instid0(VALU_DEP_1) | instskip(SKIP_1) | instid1(VALU_DEP_1)
	;; [unrolled: 5-line block ×4, first 2 shown]
	v_cndmask_b32_e64 v24, 0xff800000, v24, s1
	v_cmp_ne_u32_e64 s1, 1, v27
	v_cndmask_b32_e64 v25, 0xff800000, v25, s1
	v_cmp_ne_u32_e64 s1, 0, v27
	v_fma_f32 v27, 0x3fb8aa3b, v11, -v28
	v_sub_f32_e32 v28, v28, v30
	v_cvt_i32_f32_e32 v30, v30
	s_delay_alu instid0(VALU_DEP_4) | instskip(NEXT) | instid1(VALU_DEP_4)
	v_cndmask_b32_e64 v26, 0xff800000, v26, s1
	v_fmac_f32_e32 v27, 0x32a5705f, v11
	s_delay_alu instid0(VALU_DEP_1) | instskip(NEXT) | instid1(VALU_DEP_1)
	v_add_f32_e32 v27, v28, v27
	v_exp_f32_e32 v27, v27
	s_waitcnt_depctr 0xfff
	v_ldexp_f32 v27, v27, v30
	s_delay_alu instid0(VALU_DEP_1) | instskip(SKIP_1) | instid1(VALU_DEP_2)
	v_cndmask_b32_e32 v27, 0, v27, vcc_lo
	v_cmp_nlt_f32_e32 vcc_lo, 0x42b17218, v11
	v_cndmask_b32_e32 v11, 0x7f800000, v27, vcc_lo
	global_store_b32 v[4:5], v11, off
	v_add_co_u32 v4, vcc_lo, v4, 4
	v_add_f32_e32 v12, v12, v11
	v_add_co_ci_u32_e32 v5, vcc_lo, 0, v5, vcc_lo
	s_cbranch_scc0 .LBB252_7
.LBB252_8:
	s_delay_alu instid0(VALU_DEP_2)
	v_cmp_neq_f32_e32 vcc_lo, 0, v12
	s_and_b32 exec_lo, exec_lo, vcc_lo
	s_cbranch_execz .LBB252_12
; %bb.9:
	s_and_not1_b32 vcc_lo, exec_lo, s2
	s_cbranch_vccnz .LBB252_12
; %bb.10:
	s_waitcnt vmcnt(1)
	v_div_scale_f32 v0, null, v12, v12, 1.0
	v_div_scale_f32 v3, vcc_lo, 1.0, v12, 1.0
	v_ashrrev_i32_e32 v9, 31, v8
	s_delay_alu instid0(VALU_DEP_3) | instskip(SKIP_2) | instid1(VALU_DEP_1)
	v_rcp_f32_e32 v1, v0
	s_waitcnt_depctr 0xfff
	v_fma_f32 v2, -v0, v1, 1.0
	v_fmac_f32_e32 v1, v2, v1
	s_delay_alu instid0(VALU_DEP_1) | instskip(SKIP_1) | instid1(VALU_DEP_1)
	v_mul_f32_e32 v2, v3, v1
	s_waitcnt vmcnt(0)
	v_fma_f32 v4, -v0, v2, v3
	s_delay_alu instid0(VALU_DEP_1) | instskip(NEXT) | instid1(VALU_DEP_1)
	v_fmac_f32_e32 v2, v4, v1
	v_fma_f32 v0, -v0, v2, v3
	s_delay_alu instid0(VALU_DEP_1) | instskip(SKIP_1) | instid1(VALU_DEP_2)
	v_div_fmas_f32 v2, v0, v1, v2
	v_lshlrev_b64 v[0:1], 2, v[8:9]
	v_div_fixup_f32 v2, v2, v12, 1.0
	s_delay_alu instid0(VALU_DEP_2) | instskip(NEXT) | instid1(VALU_DEP_3)
	v_add_co_u32 v0, vcc_lo, s12, v0
	v_add_co_ci_u32_e32 v1, vcc_lo, s13, v1, vcc_lo
.LBB252_11:                             ; =>This Inner Loop Header: Depth=1
	global_load_b32 v3, v[0:1], off
	s_add_i32 s4, s4, -1
	s_delay_alu instid0(SALU_CYCLE_1)
	s_cmp_lg_u32 s4, 0
	s_waitcnt vmcnt(0)
	v_mul_f32_e32 v3, v2, v3
	global_store_b32 v[0:1], v3, off
	v_add_co_u32 v0, vcc_lo, v0, 4
	v_add_co_ci_u32_e32 v1, vcc_lo, 0, v1, vcc_lo
	s_cbranch_scc1 .LBB252_11
.LBB252_12:
	s_nop 0
	s_sendmsg sendmsg(MSG_DEALLOC_VGPRS)
	s_endpgm
	.section	.rodata,"a",@progbits
	.p2align	6, 0x0
	.amdhsa_kernel _ZN4vllm3moe17topkGatingSoftmaxItLi16ELi16ELi8ELi32ELb1ELi2ELNS0_23SharedExpertScoringFuncE1EEEvPKT_PKbPfiPiS9_iiiiii
		.amdhsa_group_segment_fixed_size 0
		.amdhsa_private_segment_fixed_size 0
		.amdhsa_kernarg_size 72
		.amdhsa_user_sgpr_count 15
		.amdhsa_user_sgpr_dispatch_ptr 0
		.amdhsa_user_sgpr_queue_ptr 0
		.amdhsa_user_sgpr_kernarg_segment_ptr 1
		.amdhsa_user_sgpr_dispatch_id 0
		.amdhsa_user_sgpr_private_segment_size 0
		.amdhsa_wavefront_size32 1
		.amdhsa_uses_dynamic_stack 0
		.amdhsa_enable_private_segment 0
		.amdhsa_system_sgpr_workgroup_id_x 1
		.amdhsa_system_sgpr_workgroup_id_y 0
		.amdhsa_system_sgpr_workgroup_id_z 0
		.amdhsa_system_sgpr_workgroup_info 0
		.amdhsa_system_vgpr_workitem_id 1
		.amdhsa_next_free_vgpr 35
		.amdhsa_next_free_sgpr 16
		.amdhsa_reserve_vcc 1
		.amdhsa_float_round_mode_32 0
		.amdhsa_float_round_mode_16_64 0
		.amdhsa_float_denorm_mode_32 3
		.amdhsa_float_denorm_mode_16_64 3
		.amdhsa_dx10_clamp 1
		.amdhsa_ieee_mode 1
		.amdhsa_fp16_overflow 0
		.amdhsa_workgroup_processor_mode 1
		.amdhsa_memory_ordered 1
		.amdhsa_forward_progress 0
		.amdhsa_shared_vgpr_count 0
		.amdhsa_exception_fp_ieee_invalid_op 0
		.amdhsa_exception_fp_denorm_src 0
		.amdhsa_exception_fp_ieee_div_zero 0
		.amdhsa_exception_fp_ieee_overflow 0
		.amdhsa_exception_fp_ieee_underflow 0
		.amdhsa_exception_fp_ieee_inexact 0
		.amdhsa_exception_int_div_zero 0
	.end_amdhsa_kernel
	.section	.text._ZN4vllm3moe17topkGatingSoftmaxItLi16ELi16ELi8ELi32ELb1ELi2ELNS0_23SharedExpertScoringFuncE1EEEvPKT_PKbPfiPiS9_iiiiii,"axG",@progbits,_ZN4vllm3moe17topkGatingSoftmaxItLi16ELi16ELi8ELi32ELb1ELi2ELNS0_23SharedExpertScoringFuncE1EEEvPKT_PKbPfiPiS9_iiiiii,comdat
.Lfunc_end252:
	.size	_ZN4vllm3moe17topkGatingSoftmaxItLi16ELi16ELi8ELi32ELb1ELi2ELNS0_23SharedExpertScoringFuncE1EEEvPKT_PKbPfiPiS9_iiiiii, .Lfunc_end252-_ZN4vllm3moe17topkGatingSoftmaxItLi16ELi16ELi8ELi32ELb1ELi2ELNS0_23SharedExpertScoringFuncE1EEEvPKT_PKbPfiPiS9_iiiiii
                                        ; -- End function
	.section	.AMDGPU.csdata,"",@progbits
; Kernel info:
; codeLenInByte = 2848
; NumSgprs: 18
; NumVgprs: 35
; ScratchSize: 0
; MemoryBound: 0
; FloatMode: 240
; IeeeMode: 1
; LDSByteSize: 0 bytes/workgroup (compile time only)
; SGPRBlocks: 2
; VGPRBlocks: 4
; NumSGPRsForWavesPerEU: 18
; NumVGPRsForWavesPerEU: 35
; Occupancy: 16
; WaveLimiterHint : 0
; COMPUTE_PGM_RSRC2:SCRATCH_EN: 0
; COMPUTE_PGM_RSRC2:USER_SGPR: 15
; COMPUTE_PGM_RSRC2:TRAP_HANDLER: 0
; COMPUTE_PGM_RSRC2:TGID_X_EN: 1
; COMPUTE_PGM_RSRC2:TGID_Y_EN: 0
; COMPUTE_PGM_RSRC2:TGID_Z_EN: 0
; COMPUTE_PGM_RSRC2:TIDIG_COMP_CNT: 1
	.section	.text._ZN4vllm3moe17topkGatingSoftmaxItLi16ELi16ELi8ELi32ELb0ELi2ELNS0_23SharedExpertScoringFuncE1EEEvPKT_PKbPfiPiS9_iiiiii,"axG",@progbits,_ZN4vllm3moe17topkGatingSoftmaxItLi16ELi16ELi8ELi32ELb0ELi2ELNS0_23SharedExpertScoringFuncE1EEEvPKT_PKbPfiPiS9_iiiiii,comdat
	.protected	_ZN4vllm3moe17topkGatingSoftmaxItLi16ELi16ELi8ELi32ELb0ELi2ELNS0_23SharedExpertScoringFuncE1EEEvPKT_PKbPfiPiS9_iiiiii ; -- Begin function _ZN4vllm3moe17topkGatingSoftmaxItLi16ELi16ELi8ELi32ELb0ELi2ELNS0_23SharedExpertScoringFuncE1EEEvPKT_PKbPfiPiS9_iiiiii
	.globl	_ZN4vllm3moe17topkGatingSoftmaxItLi16ELi16ELi8ELi32ELb0ELi2ELNS0_23SharedExpertScoringFuncE1EEEvPKT_PKbPfiPiS9_iiiiii
	.p2align	8
	.type	_ZN4vllm3moe17topkGatingSoftmaxItLi16ELi16ELi8ELi32ELb0ELi2ELNS0_23SharedExpertScoringFuncE1EEEvPKT_PKbPfiPiS9_iiiiii,@function
_ZN4vllm3moe17topkGatingSoftmaxItLi16ELi16ELi8ELi32ELb0ELi2ELNS0_23SharedExpertScoringFuncE1EEEvPKT_PKbPfiPiS9_iiiiii: ; @_ZN4vllm3moe17topkGatingSoftmaxItLi16ELi16ELi8ELi32ELb0ELi2ELNS0_23SharedExpertScoringFuncE1EEEvPKT_PKbPfiPiS9_iiiiii
; %bb.0:
	s_load_b32 s17, s[0:1], 0x18
	v_bfe_u32 v1, v0, 10, 10
	v_and_b32_e32 v26, 0x3ff, v0
	s_lshl_b32 s27, s15, 8
	s_mov_b32 s2, exec_lo
	s_delay_alu instid0(VALU_DEP_2) | instskip(NEXT) | instid1(VALU_DEP_1)
	v_lshlrev_b32_e32 v25, 5, v1
	v_add3_u32 v27, v25, v26, s27
	s_waitcnt lgkmcnt(0)
	s_delay_alu instid0(VALU_DEP_1)
	v_cmpx_gt_i32_e64 s17, v27
	s_cbranch_execz .LBB253_12
; %bb.1:
	s_clause 0x1
	s_load_b128 s[4:7], s[0:1], 0x0
	s_load_b64 s[18:19], s[0:1], 0x10
	s_waitcnt lgkmcnt(0)
	s_cmp_eq_u64 s[6:7], 0
	s_cbranch_scc1 .LBB253_3
; %bb.2:
	v_ashrrev_i32_e32 v1, 31, v27
	v_add_co_u32 v0, vcc_lo, s6, v27
	s_delay_alu instid0(VALU_DEP_2) | instskip(SKIP_3) | instid1(VALU_DEP_1)
	v_add_co_ci_u32_e32 v1, vcc_lo, s7, v1, vcc_lo
	global_load_u8 v0, v[0:1], off
	s_waitcnt vmcnt(0)
	v_and_b32_e32 v0, 1, v0
	v_cmp_eq_u32_e32 vcc_lo, 1, v0
	s_xor_b32 s2, vcc_lo, -1
	s_delay_alu instid0(SALU_CYCLE_1)
	s_or_not1_b32 s26, s2, exec_lo
	s_branch .LBB253_4
.LBB253_3:
	s_mov_b32 s26, -1
.LBB253_4:
	s_clause 0x1
	s_load_b64 s[24:25], s[0:1], 0x40
	s_load_b128 s[20:23], s[0:1], 0x30
	s_waitcnt lgkmcnt(0)
	v_mul_lo_u32 v0, v27, s25
	s_cmp_gt_i32 s20, 0
	s_delay_alu instid0(VALU_DEP_1) | instskip(NEXT) | instid1(VALU_DEP_1)
	v_ashrrev_i32_e32 v1, 31, v0
	v_lshlrev_b64 v[0:1], 1, v[0:1]
	s_delay_alu instid0(VALU_DEP_1) | instskip(NEXT) | instid1(VALU_DEP_2)
	v_add_co_u32 v5, vcc_lo, s4, v0
	v_add_co_ci_u32_e32 v6, vcc_lo, s5, v1, vcc_lo
	v_mul_lo_u32 v0, v27, s23
	s_clause 0x2
	global_load_b128 v[1:4], v[5:6], off
	global_load_b32 v9, v[5:6], off offset:32
	global_load_b128 v[5:8], v[5:6], off offset:16
	s_waitcnt vmcnt(2)
	v_lshrrev_b32_e32 v10, 16, v1
	s_waitcnt vmcnt(1)
	v_and_b32_e32 v11, 0xffff, v9
	v_lshrrev_b32_e32 v9, 16, v9
	v_and_b32_e32 v1, 0xffff, v1
	v_lshrrev_b32_e32 v12, 16, v2
	v_cvt_f32_u32_e32 v22, v10
	v_cvt_f32_u32_e32 v11, v11
	;; [unrolled: 1-line block ×3, first 2 shown]
	v_add_nc_u32_e32 v28, s20, v0
	v_cvt_f32_u32_e32 v24, v1
	v_lshrrev_b32_e32 v14, 16, v4
	s_delay_alu instid0(VALU_DEP_4) | instskip(SKIP_1) | instid1(VALU_DEP_4)
	v_dual_mul_f32 v15, 0xbfb8aa3b, v11 :: v_dual_mul_f32 v16, 0xbfb8aa3b, v9
	v_lshrrev_b32_e32 v13, 16, v3
	v_cmp_lt_f32_e64 s2, v24, v22
	v_cvt_f32_u32_e32 v23, v12
	s_delay_alu instid0(VALU_DEP_4)
	v_fma_f32 v17, 0xbfb8aa3b, v11, -v15
	v_rndne_f32_e32 v18, v15
	v_rndne_f32_e32 v32, v16
	v_and_b32_e32 v2, 0xffff, v2
	v_and_b32_e32 v4, 0xffff, v4
	v_fma_f32 v19, 0xbfb8aa3b, v9, -v16
	v_sub_f32_e32 v15, v15, v18
	v_fmac_f32_e32 v17, 0xb2a5705f, v11
	v_sub_f32_e32 v1, v16, v32
	v_cvt_f32_u32_e32 v20, v2
	v_cndmask_b32_e64 v2, v24, v22, s2
	s_delay_alu instid0(VALU_DEP_4) | instskip(SKIP_2) | instid1(VALU_DEP_4)
	v_dual_add_f32 v10, v15, v17 :: v_dual_and_b32 v3, 0xffff, v3
	v_fmac_f32_e32 v19, 0xb2a5705f, v9
	v_cvt_i32_f32_e32 v12, v18
	v_cmp_lt_f32_e64 s5, v2, v20
	s_delay_alu instid0(VALU_DEP_4)
	v_cvt_f32_u32_e32 v21, v3
	v_exp_f32_e32 v10, v10
	v_add_f32_e32 v1, v1, v19
	v_cvt_i32_f32_e32 v3, v32
	v_cndmask_b32_e64 v2, v2, v20, s5
	v_cmp_nlt_f32_e32 vcc_lo, 0x42ce8ed0, v11
	s_waitcnt vmcnt(0)
	v_lshrrev_b32_e32 v31, 16, v6
	v_exp_f32_e32 v1, v1
	v_cvt_f32_u32_e32 v19, v13
	v_cmp_lt_f32_e64 s7, v2, v23
	v_cvt_f32_u32_e32 v18, v4
	v_ldexp_f32 v10, v10, v12
	v_lshrrev_b32_e32 v30, 16, v5
	v_cvt_f32_u32_e32 v17, v14
	v_cndmask_b32_e64 v2, v2, v23, s7
	v_cvt_f32_u32_e32 v13, v31
	v_ashrrev_i32_e32 v29, 31, v28
	v_ldexp_f32 v1, v1, v3
	v_cndmask_b32_e32 v3, 0, v10, vcc_lo
	v_cmp_lt_f32_e64 s10, v2, v21
	v_cmp_nlt_f32_e32 vcc_lo, 0x42ce8ed0, v9
	v_and_b32_e32 v6, 0xffff, v6
	v_cvt_f32_u32_e32 v15, v30
	s_delay_alu instid0(VALU_DEP_4) | instskip(SKIP_3) | instid1(VALU_DEP_4)
	v_cndmask_b32_e64 v2, v2, v21, s10
	v_cndmask_b32_e32 v1, 0, v1, vcc_lo
	v_cmp_ngt_f32_e32 vcc_lo, 0xc2b17218, v11
	v_cvt_f32_u32_e32 v14, v6
	v_cmp_lt_f32_e64 s12, v2, v19
	v_cndmask_b32_e32 v3, 0x7f800000, v3, vcc_lo
	v_cmp_ngt_f32_e32 vcc_lo, 0xc2b17218, v9
	s_delay_alu instid0(VALU_DEP_3) | instskip(NEXT) | instid1(VALU_DEP_3)
	v_cndmask_b32_e64 v2, v2, v19, s12
	v_add_f32_e32 v3, 1.0, v3
	v_cndmask_b32_e32 v1, 0x7f800000, v1, vcc_lo
	s_delay_alu instid0(VALU_DEP_3) | instskip(NEXT) | instid1(VALU_DEP_3)
	v_cmp_lt_f32_e64 s15, v2, v18
	v_div_scale_f32 v31, vcc_lo, 1.0, v3, 1.0
	s_delay_alu instid0(VALU_DEP_3) | instskip(NEXT) | instid1(VALU_DEP_3)
	v_add_f32_e32 v4, 1.0, v1
	v_cndmask_b32_e64 v2, v2, v18, s15
	s_delay_alu instid0(VALU_DEP_2) | instskip(NEXT) | instid1(VALU_DEP_2)
	v_div_scale_f32 v12, null, v4, v4, 1.0
	v_cmp_lt_f32_e64 s8, v2, v17
	s_delay_alu instid0(VALU_DEP_2) | instskip(NEXT) | instid1(VALU_DEP_1)
	v_rcp_f32_e32 v30, v12
	v_cndmask_b32_e64 v1, v2, v17, s8
	v_lshrrev_b32_e32 v2, 16, v7
	v_and_b32_e32 v7, 0xffff, v7
	s_delay_alu instid0(VALU_DEP_2) | instskip(NEXT) | instid1(VALU_DEP_2)
	v_cvt_f32_u32_e32 v10, v2
	v_cvt_f32_u32_e32 v11, v7
	s_waitcnt_depctr 0xfff
	v_fma_f32 v7, -v12, v30, 1.0
	s_delay_alu instid0(VALU_DEP_1) | instskip(SKIP_2) | instid1(VALU_DEP_3)
	v_dual_fmac_f32 v30, v7, v30 :: v_dual_and_b32 v5, 0xffff, v5
	v_and_b32_e32 v7, 0xffff, v8
	v_lshrrev_b32_e32 v8, 16, v8
	v_cvt_f32_u32_e32 v16, v5
	v_div_scale_f32 v5, null, v3, v3, 1.0
	s_delay_alu instid0(VALU_DEP_4) | instskip(NEXT) | instid1(VALU_DEP_3)
	v_cvt_f32_u32_e32 v9, v7
	v_cmp_lt_f32_e64 s11, v1, v16
	s_delay_alu instid0(VALU_DEP_3) | instskip(NEXT) | instid1(VALU_DEP_1)
	v_rcp_f32_e32 v32, v5
	v_cndmask_b32_e64 v1, v1, v16, s11
	s_delay_alu instid0(VALU_DEP_1) | instskip(SKIP_3) | instid1(VALU_DEP_2)
	v_cmp_lt_f32_e64 s13, v1, v15
	s_waitcnt_depctr 0xfff
	v_fma_f32 v6, -v5, v32, 1.0
	v_cndmask_b32_e64 v1, v1, v15, s13
	v_fmac_f32_e32 v32, v6, v32
	v_div_scale_f32 v6, s16, 1.0, v4, 1.0
	s_delay_alu instid0(VALU_DEP_3) | instskip(NEXT) | instid1(VALU_DEP_2)
	v_cmp_lt_f32_e64 s14, v1, v14
	v_dual_mul_f32 v33, v31, v32 :: v_dual_mul_f32 v34, v6, v30
	s_delay_alu instid0(VALU_DEP_2) | instskip(NEXT) | instid1(VALU_DEP_2)
	v_cndmask_b32_e64 v1, v1, v14, s14
	v_fma_f32 v2, -v5, v33, v31
	s_delay_alu instid0(VALU_DEP_3) | instskip(NEXT) | instid1(VALU_DEP_3)
	v_fma_f32 v7, -v12, v34, v6
	v_cmp_lt_f32_e64 s9, v1, v13
	s_delay_alu instid0(VALU_DEP_2) | instskip(SKIP_1) | instid1(VALU_DEP_3)
	v_dual_fmac_f32 v33, v2, v32 :: v_dual_fmac_f32 v34, v7, v30
	v_cvt_f32_u32_e32 v7, v8
	v_cndmask_b32_e64 v1, v1, v13, s9
	s_delay_alu instid0(VALU_DEP_3) | instskip(NEXT) | instid1(VALU_DEP_4)
	v_fma_f32 v5, -v5, v33, v31
	v_fma_f32 v6, -v12, v34, v6
	v_mov_b32_e32 v12, 0
	s_delay_alu instid0(VALU_DEP_4) | instskip(NEXT) | instid1(VALU_DEP_4)
	v_cmp_lt_f32_e64 s6, v1, v11
	v_div_fmas_f32 v5, v5, v32, v33
	s_mov_b32 vcc_lo, s16
	s_cselect_b32 s16, -1, 0
	v_div_fmas_f32 v6, v6, v30, v34
	v_cndmask_b32_e64 v1, v1, v11, s6
	v_div_fixup_f32 v3, v5, v3, 1.0
	s_cmp_lt_i32 s20, 1
	s_delay_alu instid0(VALU_DEP_3) | instskip(NEXT) | instid1(VALU_DEP_3)
	v_div_fixup_f32 v4, v6, v4, 1.0
	v_cmp_lt_f32_e64 s4, v1, v10
	s_delay_alu instid0(VALU_DEP_1) | instskip(SKIP_1) | instid1(VALU_DEP_2)
	v_cndmask_b32_e64 v35, v1, v10, s4
	v_lshlrev_b64 v[1:2], 2, v[28:29]
	v_cmp_lt_f32_e64 s3, v35, v9
	s_delay_alu instid0(VALU_DEP_2) | instskip(NEXT) | instid1(VALU_DEP_3)
	v_add_co_u32 v1, vcc_lo, s18, v1
	v_add_co_ci_u32_e32 v2, vcc_lo, s19, v2, vcc_lo
	s_delay_alu instid0(VALU_DEP_3)
	v_cndmask_b32_e64 v8, v35, v9, s3
	global_store_b64 v[1:2], v[3:4], off
	v_cmp_lt_f32_e32 vcc_lo, v8, v7
	v_cndmask_b32_e32 v8, v8, v7, vcc_lo
	s_cbranch_scc1 .LBB253_8
; %bb.5:
	v_cndmask_b32_e64 v1, 0, 1, s2
	s_delay_alu instid0(VALU_DEP_2) | instskip(SKIP_2) | instid1(VALU_DEP_4)
	v_sub_f32_e32 v12, v8, v8
	v_mul_lo_u32 v2, v27, s24
	v_mul_lo_u32 v28, v27, s20
	v_cndmask_b32_e64 v1, v1, 2, s5
	s_delay_alu instid0(VALU_DEP_4) | instskip(NEXT) | instid1(VALU_DEP_2)
	v_mul_f32_e32 v3, 0x3fb8aa3b, v12
	v_cndmask_b32_e64 v1, v1, 3, s7
	s_delay_alu instid0(VALU_DEP_2) | instskip(SKIP_1) | instid1(VALU_DEP_3)
	v_rndne_f32_e32 v4, v3
	v_fma_f32 v5, 0x3fb8aa3b, v12, -v3
	v_cndmask_b32_e64 v1, v1, 4, s10
	s_delay_alu instid0(VALU_DEP_3) | instskip(NEXT) | instid1(VALU_DEP_3)
	v_sub_f32_e32 v3, v3, v4
	v_fmac_f32_e32 v5, 0x32a5705f, v12
	v_cvt_i32_f32_e32 v32, v4
	s_delay_alu instid0(VALU_DEP_4) | instskip(NEXT) | instid1(VALU_DEP_3)
	v_cndmask_b32_e64 v1, v1, 5, s12
	v_add_f32_e32 v30, v3, v5
	v_ashrrev_i32_e32 v3, 31, v2
	s_delay_alu instid0(VALU_DEP_3) | instskip(NEXT) | instid1(VALU_DEP_3)
	v_cndmask_b32_e64 v1, v1, 6, s15
	v_exp_f32_e32 v30, v30
	s_delay_alu instid0(VALU_DEP_1) | instskip(NEXT) | instid1(VALU_DEP_1)
	v_cndmask_b32_e64 v1, v1, 7, s8
	v_cndmask_b32_e64 v1, v1, 8, s11
	s_waitcnt_depctr 0xfff
	v_ldexp_f32 v30, v30, v32
	v_cndmask_b32_e64 v1, v1, 9, s13
	s_delay_alu instid0(VALU_DEP_1) | instskip(SKIP_2) | instid1(VALU_DEP_2)
	v_cndmask_b32_e64 v6, v1, 10, s14
	s_load_b128 s[12:15], s[0:1], 0x20
	v_ashrrev_i32_e32 v1, 31, v0
	v_cndmask_b32_e64 v29, v6, 11, s9
	s_delay_alu instid0(VALU_DEP_2) | instskip(SKIP_1) | instid1(VALU_DEP_3)
	v_lshlrev_b64 v[5:6], 2, v[0:1]
	v_lshlrev_b64 v[1:2], 2, v[2:3]
	v_cndmask_b32_e64 v31, v29, 12, s6
	v_ashrrev_i32_e32 v29, 31, v28
	s_delay_alu instid0(VALU_DEP_4) | instskip(NEXT) | instid1(VALU_DEP_3)
	v_add_co_u32 v5, s0, s18, v5
	v_cndmask_b32_e64 v31, v31, 13, s4
	v_add_co_ci_u32_e64 v6, s0, s19, v6, s0
	s_delay_alu instid0(VALU_DEP_4) | instskip(NEXT) | instid1(VALU_DEP_3)
	v_lshlrev_b64 v[3:4], 2, v[28:29]
	v_cndmask_b32_e64 v31, v31, 14, s3
	s_waitcnt lgkmcnt(0)
	v_add_co_u32 v28, s0, s12, v1
	s_delay_alu instid0(VALU_DEP_1) | instskip(NEXT) | instid1(VALU_DEP_3)
	v_add_co_ci_u32_e64 v29, s0, s13, v2, s0
	v_cndmask_b32_e64 v33, v31, 15, vcc_lo
	v_cmp_ngt_f32_e64 s0, 0xc2ce8ed0, v12
	s_delay_alu instid0(VALU_DEP_2) | instskip(NEXT) | instid1(VALU_DEP_2)
	v_cmp_ne_u32_e64 s1, 15, v33
	v_cndmask_b32_e64 v32, 0, v30, s0
	v_add_co_u32 v30, vcc_lo, s14, v3
	v_add_co_ci_u32_e32 v31, vcc_lo, s15, v4, vcc_lo
	s_delay_alu instid0(VALU_DEP_4) | instskip(SKIP_3) | instid1(VALU_DEP_3)
	v_cndmask_b32_e64 v7, 0xff800000, v7, s1
	v_cmp_ne_u32_e64 s1, 14, v33
	v_cmp_nlt_f32_e32 vcc_lo, 0x42b17218, v12
	v_cmp_gt_i32_e64 s0, s22, v33
	v_cndmask_b32_e64 v9, 0xff800000, v9, s1
	v_cmp_ne_u32_e64 s1, 13, v33
	v_cndmask_b32_e32 v12, 0x7f800000, v32, vcc_lo
	v_cmp_le_i32_e32 vcc_lo, s21, v33
	v_subrev_nc_u32_e32 v32, s21, v33
	s_delay_alu instid0(VALU_DEP_4)
	v_cndmask_b32_e64 v10, 0xff800000, v10, s1
	v_cmp_ne_u32_e64 s1, 12, v33
	s_and_b32 s0, vcc_lo, s0
	v_cmp_ne_u32_e32 vcc_lo, 3, v33
	global_store_b32 v[5:6], v12, off
	v_cndmask_b32_e64 v11, 0xff800000, v11, s1
	v_cmp_ne_u32_e64 s1, 11, v33
	v_cndmask_b32_e32 v23, 0xff800000, v23, vcc_lo
	s_and_b32 vcc_lo, s26, s0
	s_cmp_eq_u32 s20, 1
	v_cndmask_b32_e32 v32, 16, v32, vcc_lo
	v_cndmask_b32_e64 v13, 0xff800000, v13, s1
	v_cmp_ne_u32_e64 s1, 10, v33
	v_cmp_ne_u32_e32 vcc_lo, 2, v33
	global_store_b32 v[28:29], v32, off
	global_store_b32 v[30:31], v27, off
	v_cndmask_b32_e64 v14, 0xff800000, v14, s1
	v_cmp_ne_u32_e64 s1, 9, v33
	v_cndmask_b32_e32 v20, 0xff800000, v20, vcc_lo
	v_cmp_ne_u32_e32 vcc_lo, 1, v33
	s_delay_alu instid0(VALU_DEP_3) | instskip(SKIP_3) | instid1(VALU_DEP_3)
	v_cndmask_b32_e64 v15, 0xff800000, v15, s1
	v_cmp_ne_u32_e64 s1, 8, v33
	v_cndmask_b32_e32 v22, 0xff800000, v22, vcc_lo
	v_cmp_ne_u32_e32 vcc_lo, 0, v33
	v_cndmask_b32_e64 v16, 0xff800000, v16, s1
	v_cmp_ne_u32_e64 s1, 7, v33
	v_cndmask_b32_e32 v24, 0xff800000, v24, vcc_lo
	s_delay_alu instid0(VALU_DEP_2) | instskip(SKIP_1) | instid1(VALU_DEP_1)
	v_cndmask_b32_e64 v17, 0xff800000, v17, s1
	v_cmp_ne_u32_e64 s1, 6, v33
	v_cndmask_b32_e64 v18, 0xff800000, v18, s1
	v_cmp_ne_u32_e64 s1, 5, v33
	s_delay_alu instid0(VALU_DEP_1) | instskip(SKIP_1) | instid1(VALU_DEP_1)
	v_cndmask_b32_e64 v19, 0xff800000, v19, s1
	v_cmp_ne_u32_e64 s1, 4, v33
	v_cndmask_b32_e64 v21, 0xff800000, v21, s1
	s_cbranch_scc1 .LBB253_8
; %bb.6:
	v_add_co_u32 v3, vcc_lo, v3, s14
	v_add_co_ci_u32_e32 v4, vcc_lo, s15, v4, vcc_lo
	v_add_co_u32 v27, vcc_lo, v1, s12
	v_add_co_ci_u32_e32 v28, vcc_lo, s13, v2, vcc_lo
	s_delay_alu instid0(VALU_DEP_4) | instskip(NEXT) | instid1(VALU_DEP_4)
	v_add_co_u32 v1, vcc_lo, v3, 4
	v_add_co_ci_u32_e32 v2, vcc_lo, 0, v4, vcc_lo
	s_delay_alu instid0(VALU_DEP_4) | instskip(NEXT) | instid1(VALU_DEP_4)
	v_add_co_u32 v3, vcc_lo, v27, 4
	v_add_co_ci_u32_e32 v4, vcc_lo, 0, v28, vcc_lo
	s_add_i32 s27, s27, s17
	v_add_co_u32 v5, vcc_lo, v5, 4
	v_add_co_ci_u32_e32 v6, vcc_lo, 0, v6, vcc_lo
	v_add3_u32 v25, s27, v26, v25
	s_add_i32 s2, s20, -1
.LBB253_7:                              ; =>This Inner Loop Header: Depth=1
	v_cmp_gt_f32_e32 vcc_lo, v22, v24
	s_add_i32 s2, s2, -1
	v_cndmask_b32_e32 v26, v24, v22, vcc_lo
	v_cndmask_b32_e64 v27, 0, 1, vcc_lo
	s_delay_alu instid0(VALU_DEP_2) | instskip(SKIP_1) | instid1(VALU_DEP_3)
	v_cmp_gt_f32_e32 vcc_lo, v20, v26
	v_cndmask_b32_e32 v26, v26, v20, vcc_lo
	v_cndmask_b32_e64 v27, v27, 2, vcc_lo
	s_delay_alu instid0(VALU_DEP_2) | instskip(SKIP_1) | instid1(VALU_DEP_3)
	v_cmp_gt_f32_e32 vcc_lo, v23, v26
	;; [unrolled: 4-line block ×13, first 2 shown]
	v_cndmask_b32_e32 v26, v26, v9, vcc_lo
	v_cndmask_b32_e64 v27, v27, 14, vcc_lo
	s_delay_alu instid0(VALU_DEP_2) | instskip(NEXT) | instid1(VALU_DEP_2)
	v_cmp_gt_f32_e32 vcc_lo, v7, v26
	v_cndmask_b32_e64 v27, v27, 15, vcc_lo
	v_cndmask_b32_e32 v26, v26, v7, vcc_lo
	s_delay_alu instid0(VALU_DEP_2) | instskip(NEXT) | instid1(VALU_DEP_2)
	v_cmp_ne_u32_e64 s1, 15, v27
	v_sub_f32_e32 v26, v26, v8
	v_cmp_le_i32_e32 vcc_lo, s21, v27
	v_cmp_gt_i32_e64 s0, s22, v27
	v_subrev_nc_u32_e32 v29, s21, v27
	v_cndmask_b32_e64 v7, 0xff800000, v7, s1
	v_cmp_ne_u32_e64 s1, 14, v27
	v_mul_f32_e32 v28, 0x3fb8aa3b, v26
	s_and_b32 s0, vcc_lo, s0
	s_delay_alu instid0(SALU_CYCLE_1) | instskip(NEXT) | instid1(VALU_DEP_2)
	s_and_b32 vcc_lo, s26, s0
	v_cndmask_b32_e64 v9, 0xff800000, v9, s1
	v_cmp_ne_u32_e64 s1, 13, v27
	v_rndne_f32_e32 v30, v28
	v_cndmask_b32_e32 v29, 16, v29, vcc_lo
	global_store_b32 v[3:4], v29, off
	global_store_b32 v[1:2], v25, off
	v_cndmask_b32_e64 v10, 0xff800000, v10, s1
	v_cmp_ne_u32_e64 s1, 12, v27
	v_add_co_u32 v1, vcc_lo, v1, 4
	v_add_co_ci_u32_e32 v2, vcc_lo, 0, v2, vcc_lo
	s_delay_alu instid0(VALU_DEP_3) | instskip(SKIP_3) | instid1(VALU_DEP_3)
	v_cndmask_b32_e64 v11, 0xff800000, v11, s1
	v_cmp_ne_u32_e64 s1, 11, v27
	v_add_co_u32 v3, vcc_lo, v3, 4
	v_add_co_ci_u32_e32 v4, vcc_lo, 0, v4, vcc_lo
	v_cndmask_b32_e64 v13, 0xff800000, v13, s1
	v_cmp_ne_u32_e64 s1, 10, v27
	v_cmp_ngt_f32_e32 vcc_lo, 0xc2ce8ed0, v26
	v_add_nc_u32_e32 v25, s17, v25
	s_cmp_eq_u32 s2, 0
	s_delay_alu instid0(VALU_DEP_3) | instskip(SKIP_1) | instid1(VALU_DEP_1)
	v_cndmask_b32_e64 v14, 0xff800000, v14, s1
	v_cmp_ne_u32_e64 s1, 9, v27
	v_cndmask_b32_e64 v15, 0xff800000, v15, s1
	v_cmp_ne_u32_e64 s1, 8, v27
	s_delay_alu instid0(VALU_DEP_1) | instskip(SKIP_1) | instid1(VALU_DEP_1)
	v_cndmask_b32_e64 v16, 0xff800000, v16, s1
	v_cmp_ne_u32_e64 s1, 7, v27
	v_cndmask_b32_e64 v17, 0xff800000, v17, s1
	v_cmp_ne_u32_e64 s1, 6, v27
	s_delay_alu instid0(VALU_DEP_1) | instskip(SKIP_1) | instid1(VALU_DEP_1)
	;; [unrolled: 5-line block ×4, first 2 shown]
	v_cndmask_b32_e64 v20, 0xff800000, v20, s1
	v_cmp_ne_u32_e64 s1, 1, v27
	v_cndmask_b32_e64 v22, 0xff800000, v22, s1
	v_cmp_ne_u32_e64 s1, 0, v27
	v_fma_f32 v27, 0x3fb8aa3b, v26, -v28
	v_sub_f32_e32 v28, v28, v30
	v_cvt_i32_f32_e32 v30, v30
	s_delay_alu instid0(VALU_DEP_4) | instskip(NEXT) | instid1(VALU_DEP_4)
	v_cndmask_b32_e64 v24, 0xff800000, v24, s1
	v_fmac_f32_e32 v27, 0x32a5705f, v26
	s_delay_alu instid0(VALU_DEP_1) | instskip(NEXT) | instid1(VALU_DEP_1)
	v_add_f32_e32 v27, v28, v27
	v_exp_f32_e32 v27, v27
	s_waitcnt_depctr 0xfff
	v_ldexp_f32 v27, v27, v30
	s_delay_alu instid0(VALU_DEP_1) | instskip(SKIP_1) | instid1(VALU_DEP_2)
	v_cndmask_b32_e32 v27, 0, v27, vcc_lo
	v_cmp_nlt_f32_e32 vcc_lo, 0x42b17218, v26
	v_cndmask_b32_e32 v26, 0x7f800000, v27, vcc_lo
	global_store_b32 v[5:6], v26, off
	v_add_co_u32 v5, vcc_lo, v5, 4
	v_add_f32_e32 v12, v12, v26
	v_add_co_ci_u32_e32 v6, vcc_lo, 0, v6, vcc_lo
	s_cbranch_scc0 .LBB253_7
.LBB253_8:
	s_delay_alu instid0(VALU_DEP_1) | instskip(SKIP_3) | instid1(VALU_DEP_4)
	v_sub_f32_e32 v6, v23, v8
	v_sub_f32_e32 v1, v24, v8
	;; [unrolled: 1-line block ×4, first 2 shown]
	v_dual_sub_f32 v7, v7, v8 :: v_dual_mul_f32 v26, 0x3fb8aa3b, v6
	s_delay_alu instid0(VALU_DEP_4) | instskip(SKIP_2) | instid1(VALU_DEP_4)
	v_dual_sub_f32 v2, v22, v8 :: v_dual_mul_f32 v3, 0x3fb8aa3b, v1
	v_sub_f32_e32 v4, v20, v8
	v_cmp_ngt_f32_e32 vcc_lo, 0xc2ce8ed0, v1
	v_rndne_f32_e32 v29, v26
	s_delay_alu instid0(VALU_DEP_4)
	v_mul_f32_e32 v5, 0x3fb8aa3b, v2
	v_rndne_f32_e32 v22, v3
	v_sub_f32_e32 v20, v21, v8
	v_fma_f32 v21, 0x3fb8aa3b, v1, -v3
	v_mul_f32_e32 v25, 0x3fb8aa3b, v4
	v_fma_f32 v23, 0x3fb8aa3b, v2, -v5
	v_sub_f32_e32 v3, v3, v22
	v_rndne_f32_e32 v24, v5
	v_fmac_f32_e32 v21, 0x32a5705f, v1
	v_fma_f32 v28, 0x3fb8aa3b, v6, -v26
	v_cvt_i32_f32_e32 v22, v22
	v_sub_f32_e32 v18, v18, v8
	v_sub_f32_e32 v5, v5, v24
	s_delay_alu instid0(VALU_DEP_4) | instskip(SKIP_3) | instid1(VALU_DEP_4)
	v_dual_add_f32 v3, v3, v21 :: v_dual_fmac_f32 v28, 0x32a5705f, v6
	v_cvt_i32_f32_e32 v24, v24
	v_sub_f32_e32 v14, v14, v8
	v_sub_f32_e32 v13, v13, v8
	v_exp_f32_e32 v3, v3
	v_sub_f32_e32 v10, v10, v8
	s_waitcnt_depctr 0xfff
	v_ldexp_f32 v3, v3, v22
	v_dual_sub_f32 v22, v26, v29 :: v_dual_fmac_f32 v23, 0x32a5705f, v2
	v_fma_f32 v21, 0x3fb8aa3b, v4, -v25
	s_delay_alu instid0(VALU_DEP_2) | instskip(NEXT) | instid1(VALU_DEP_3)
	v_dual_cndmask_b32 v3, 0, v3 :: v_dual_add_f32 v22, v22, v28
	v_add_f32_e32 v5, v5, v23
	v_cmp_ngt_f32_e32 vcc_lo, 0xc2ce8ed0, v2
	v_rndne_f32_e32 v23, v25
	v_fmac_f32_e32 v21, 0x32a5705f, v4
	v_exp_f32_e32 v22, v22
	v_exp_f32_e32 v5, v5
	s_waitcnt_depctr 0xfff
	v_ldexp_f32 v5, v5, v24
	s_delay_alu instid0(VALU_DEP_1)
	v_cndmask_b32_e32 v5, 0, v5, vcc_lo
	v_cmp_nlt_f32_e32 vcc_lo, 0x42b17218, v1
	v_cndmask_b32_e32 v1, 0x7f800000, v3, vcc_lo
	v_cmp_nlt_f32_e32 vcc_lo, 0x42b17218, v2
	v_sub_f32_e32 v25, v25, v23
	v_cvt_i32_f32_e32 v23, v23
	v_cndmask_b32_e32 v2, 0x7f800000, v5, vcc_lo
	s_delay_alu instid0(VALU_DEP_3) | instskip(SKIP_1) | instid1(VALU_DEP_3)
	v_add_f32_e32 v21, v25, v21
	v_cmp_ngt_f32_e32 vcc_lo, 0xc2ce8ed0, v4
	v_add_f32_e32 v1, v1, v2
	s_delay_alu instid0(VALU_DEP_3) | instskip(SKIP_2) | instid1(VALU_DEP_1)
	v_exp_f32_e32 v21, v21
	s_waitcnt_depctr 0xfff
	v_ldexp_f32 v5, v21, v23
	v_dual_mul_f32 v27, 0x3fb8aa3b, v20 :: v_dual_cndmask_b32 v2, 0, v5
	v_cvt_i32_f32_e32 v5, v29
	v_cmp_nlt_f32_e32 vcc_lo, 0x42b17218, v4
	s_delay_alu instid0(VALU_DEP_3) | instskip(SKIP_1) | instid1(VALU_DEP_4)
	v_fma_f32 v3, 0x3fb8aa3b, v20, -v27
	v_rndne_f32_e32 v21, v27
	v_ldexp_f32 v4, v22, v5
	v_cndmask_b32_e32 v2, 0x7f800000, v2, vcc_lo
	v_cmp_ngt_f32_e32 vcc_lo, 0xc2ce8ed0, v6
	v_fmac_f32_e32 v3, 0x32a5705f, v20
	s_delay_alu instid0(VALU_DEP_3) | instskip(SKIP_3) | instid1(VALU_DEP_2)
	v_dual_add_f32 v1, v1, v2 :: v_dual_cndmask_b32 v2, 0, v4
	v_cmp_nlt_f32_e32 vcc_lo, 0x42b17218, v6
	v_sub_f32_e32 v23, v27, v21
	v_cvt_i32_f32_e32 v6, v21
	v_dual_cndmask_b32 v2, 0x7f800000, v2 :: v_dual_add_f32 v3, v23, v3
	v_cmp_ngt_f32_e32 vcc_lo, 0xc2ce8ed0, v20
	s_delay_alu instid0(VALU_DEP_2) | instskip(NEXT) | instid1(VALU_DEP_3)
	v_add_f32_e32 v1, v1, v2
	v_exp_f32_e32 v3, v3
	s_waitcnt_depctr 0xfff
	v_ldexp_f32 v2, v3, v6
	s_delay_alu instid0(VALU_DEP_1) | instskip(SKIP_1) | instid1(VALU_DEP_2)
	v_cndmask_b32_e32 v2, 0, v2, vcc_lo
	v_cmp_nlt_f32_e32 vcc_lo, 0x42b17218, v20
	v_cndmask_b32_e32 v2, 0x7f800000, v2, vcc_lo
	v_mul_f32_e32 v5, 0x3fb8aa3b, v19
	v_cmp_ngt_f32_e32 vcc_lo, 0xc2ce8ed0, v19
	s_delay_alu instid0(VALU_DEP_3) | instskip(NEXT) | instid1(VALU_DEP_3)
	v_add_f32_e32 v1, v1, v2
	v_fma_f32 v4, 0x3fb8aa3b, v19, -v5
	v_rndne_f32_e32 v22, v5
	s_delay_alu instid0(VALU_DEP_1) | instskip(SKIP_1) | instid1(VALU_DEP_2)
	v_dual_fmac_f32 v4, 0x32a5705f, v19 :: v_dual_sub_f32 v5, v5, v22
	v_cvt_i32_f32_e32 v20, v22
	v_add_f32_e32 v3, v5, v4
	s_delay_alu instid0(VALU_DEP_1) | instskip(SKIP_2) | instid1(VALU_DEP_1)
	v_exp_f32_e32 v3, v3
	s_waitcnt_depctr 0xfff
	v_ldexp_f32 v2, v3, v20
	v_cndmask_b32_e32 v2, 0, v2, vcc_lo
	v_cmp_nlt_f32_e32 vcc_lo, 0x42b17218, v19
	s_delay_alu instid0(VALU_DEP_2) | instskip(SKIP_2) | instid1(VALU_DEP_3)
	v_cndmask_b32_e32 v2, 0x7f800000, v2, vcc_lo
	v_cmp_ngt_f32_e32 vcc_lo, 0xc2ce8ed0, v18
	v_mul_f32_e32 v21, 0x3fb8aa3b, v18
	v_add_f32_e32 v1, v1, v2
	s_delay_alu instid0(VALU_DEP_2) | instskip(SKIP_1) | instid1(VALU_DEP_2)
	v_fma_f32 v4, 0x3fb8aa3b, v18, -v21
	v_rndne_f32_e32 v5, v21
	v_fmac_f32_e32 v4, 0x32a5705f, v18
	s_delay_alu instid0(VALU_DEP_2) | instskip(SKIP_1) | instid1(VALU_DEP_2)
	v_sub_f32_e32 v6, v21, v5
	v_cvt_i32_f32_e32 v5, v5
	v_add_f32_e32 v4, v6, v4
	s_delay_alu instid0(VALU_DEP_1) | instskip(SKIP_2) | instid1(VALU_DEP_1)
	v_exp_f32_e32 v3, v4
	s_waitcnt_depctr 0xfff
	v_ldexp_f32 v3, v3, v5
	v_cndmask_b32_e32 v2, 0, v3, vcc_lo
	v_cmp_nlt_f32_e32 vcc_lo, 0x42b17218, v18
	s_delay_alu instid0(VALU_DEP_2) | instskip(SKIP_2) | instid1(VALU_DEP_2)
	v_cndmask_b32_e32 v2, 0x7f800000, v2, vcc_lo
	v_mul_f32_e32 v6, 0x3fb8aa3b, v17
	v_cmp_ngt_f32_e32 vcc_lo, 0xc2ce8ed0, v17
	v_fma_f32 v4, 0x3fb8aa3b, v17, -v6
	v_rndne_f32_e32 v20, v6
	s_delay_alu instid0(VALU_DEP_2) | instskip(NEXT) | instid1(VALU_DEP_2)
	v_fmac_f32_e32 v4, 0x32a5705f, v17
	v_sub_f32_e32 v6, v6, v20
	s_delay_alu instid0(VALU_DEP_1) | instskip(SKIP_3) | instid1(VALU_DEP_4)
	v_add_f32_e32 v4, v6, v4
	v_sub_f32_e32 v6, v15, v8
	v_cvt_i32_f32_e32 v15, v20
	v_mul_f32_e32 v20, 0x3fb8aa3b, v13
	v_exp_f32_e32 v3, v4
	s_delay_alu instid0(VALU_DEP_3)
	v_mul_f32_e32 v19, 0x3fb8aa3b, v6
	v_add_f32_e32 v1, v1, v2
	s_waitcnt_depctr 0xfff
	v_ldexp_f32 v2, v3, v15
	v_sub_f32_e32 v5, v16, v8
	v_rndne_f32_e32 v15, v19
	s_delay_alu instid0(VALU_DEP_3) | instskip(NEXT) | instid1(VALU_DEP_3)
	v_cndmask_b32_e32 v2, 0, v2, vcc_lo
	v_mul_f32_e32 v4, 0x3fb8aa3b, v5
	v_cmp_nlt_f32_e32 vcc_lo, 0x42b17218, v17
	s_delay_alu instid0(VALU_DEP_2) | instskip(SKIP_3) | instid1(VALU_DEP_3)
	v_fma_f32 v16, 0x3fb8aa3b, v5, -v4
	v_rndne_f32_e32 v18, v4
	v_cndmask_b32_e32 v2, 0x7f800000, v2, vcc_lo
	v_cmp_ngt_f32_e32 vcc_lo, 0xc2ce8ed0, v5
	v_dual_fmac_f32 v16, 0x32a5705f, v5 :: v_dual_sub_f32 v3, v4, v18
	v_fma_f32 v4, 0x3fb8aa3b, v6, -v19
	v_cvt_i32_f32_e32 v18, v18
	s_delay_alu instid0(VALU_DEP_2) | instskip(SKIP_2) | instid1(VALU_DEP_3)
	v_dual_add_f32 v3, v3, v16 :: v_dual_fmac_f32 v4, 0x32a5705f, v6
	v_dual_sub_f32 v16, v19, v15 :: v_dual_mul_f32 v19, 0x3fb8aa3b, v14
	v_add_f32_e32 v1, v1, v2
	v_exp_f32_e32 v3, v3
	s_delay_alu instid0(VALU_DEP_2) | instskip(NEXT) | instid1(VALU_DEP_3)
	v_add_f32_e32 v4, v16, v4
	v_fma_f32 v16, 0x3fb8aa3b, v14, -v19
	v_rndne_f32_e32 v17, v19
	s_delay_alu instid0(VALU_DEP_3) | instskip(NEXT) | instid1(VALU_DEP_1)
	v_exp_f32_e32 v4, v4
	v_dual_fmac_f32 v16, 0x32a5705f, v14 :: v_dual_sub_f32 v19, v19, v17
	s_waitcnt_depctr 0xfff
	v_ldexp_f32 v2, v3, v18
	v_cvt_i32_f32_e32 v3, v15
	v_rndne_f32_e32 v18, v20
	s_delay_alu instid0(VALU_DEP_3) | instskip(SKIP_1) | instid1(VALU_DEP_4)
	v_dual_add_f32 v15, v19, v16 :: v_dual_cndmask_b32 v2, 0, v2
	v_fma_f32 v16, 0x3fb8aa3b, v13, -v20
	v_ldexp_f32 v3, v4, v3
	v_cmp_nlt_f32_e32 vcc_lo, 0x42b17218, v5
	s_delay_alu instid0(VALU_DEP_4) | instskip(SKIP_4) | instid1(VALU_DEP_2)
	v_exp_f32_e32 v4, v15
	v_cvt_i32_f32_e32 v5, v17
	v_fmac_f32_e32 v16, 0x32a5705f, v13
	v_cndmask_b32_e32 v2, 0x7f800000, v2, vcc_lo
	v_cmp_ngt_f32_e32 vcc_lo, 0xc2ce8ed0, v6
	v_add_f32_e32 v1, v1, v2
	s_waitcnt_depctr 0xfff
	v_ldexp_f32 v2, v4, v5
	v_cndmask_b32_e32 v3, 0, v3, vcc_lo
	v_cmp_nlt_f32_e32 vcc_lo, 0x42b17218, v6
	v_sub_f32_e32 v5, v11, v8
	s_delay_alu instid0(VALU_DEP_1) | instskip(NEXT) | instid1(VALU_DEP_1)
	v_dual_sub_f32 v15, v20, v18 :: v_dual_mul_f32 v6, 0x3fb8aa3b, v5
	v_add_f32_e32 v15, v15, v16
	v_cndmask_b32_e32 v3, 0x7f800000, v3, vcc_lo
	v_cmp_ngt_f32_e32 vcc_lo, 0xc2ce8ed0, v14
	s_delay_alu instid0(VALU_DEP_3) | instskip(SKIP_2) | instid1(VALU_DEP_2)
	v_exp_f32_e32 v4, v15
	v_dual_mul_f32 v15, 0x3fb8aa3b, v7 :: v_dual_cndmask_b32 v2, 0, v2
	v_cmp_nlt_f32_e32 vcc_lo, 0x42b17218, v14
	v_rndne_f32_e32 v16, v15
	v_mul_f32_e32 v11, 0x3fb8aa3b, v10
	s_delay_alu instid0(VALU_DEP_4) | instskip(SKIP_2) | instid1(VALU_DEP_3)
	v_dual_cndmask_b32 v2, 0x7f800000, v2 :: v_dual_add_f32 v1, v1, v3
	v_cvt_i32_f32_e32 v3, v18
	v_cmp_ngt_f32_e32 vcc_lo, 0xc2ce8ed0, v13
	v_add_f32_e32 v1, v1, v2
	s_delay_alu instid0(TRANS32_DEP_1) | instid1(VALU_DEP_3)
	v_ldexp_f32 v3, v4, v3
	v_fma_f32 v2, 0x3fb8aa3b, v5, -v6
	v_rndne_f32_e32 v4, v6
	s_delay_alu instid0(VALU_DEP_2) | instskip(NEXT) | instid1(VALU_DEP_2)
	v_fmac_f32_e32 v2, 0x32a5705f, v5
	v_dual_sub_f32 v6, v6, v4 :: v_dual_cndmask_b32 v3, 0, v3
	v_cmp_nlt_f32_e32 vcc_lo, 0x42b17218, v13
	v_cvt_i32_f32_e32 v4, v4
	s_delay_alu instid0(VALU_DEP_3) | instskip(SKIP_3) | instid1(VALU_DEP_4)
	v_add_f32_e32 v2, v6, v2
	v_rndne_f32_e32 v6, v11
	v_cndmask_b32_e32 v3, 0x7f800000, v3, vcc_lo
	v_cmp_ngt_f32_e32 vcc_lo, 0xc2ce8ed0, v5
	v_exp_f32_e32 v2, v2
	s_waitcnt_depctr 0xfff
	v_ldexp_f32 v2, v2, v4
	v_dual_sub_f32 v9, v9, v8 :: v_dual_sub_f32 v8, v11, v6
	v_add_f32_e32 v1, v1, v3
	v_fma_f32 v3, 0x3fb8aa3b, v10, -v11
	s_delay_alu instid0(VALU_DEP_4) | instskip(SKIP_2) | instid1(VALU_DEP_4)
	v_cndmask_b32_e32 v2, 0, v2, vcc_lo
	v_cmp_nlt_f32_e32 vcc_lo, 0x42b17218, v5
	v_cvt_i32_f32_e32 v6, v6
	v_fmac_f32_e32 v3, 0x32a5705f, v10
	s_delay_alu instid0(VALU_DEP_4) | instskip(SKIP_1) | instid1(VALU_DEP_3)
	v_cndmask_b32_e32 v2, 0x7f800000, v2, vcc_lo
	v_cmp_ngt_f32_e32 vcc_lo, 0xc2ce8ed0, v10
	v_add_f32_e32 v3, v8, v3
	s_delay_alu instid0(VALU_DEP_1) | instskip(SKIP_2) | instid1(VALU_DEP_1)
	v_exp_f32_e32 v3, v3
	s_waitcnt_depctr 0xfff
	v_ldexp_f32 v3, v3, v6
	v_cndmask_b32_e32 v3, 0, v3, vcc_lo
	v_cmp_nlt_f32_e32 vcc_lo, 0x42b17218, v10
	s_delay_alu instid0(VALU_DEP_2) | instskip(SKIP_2) | instid1(VALU_DEP_1)
	v_cndmask_b32_e32 v3, 0x7f800000, v3, vcc_lo
	v_cmp_ngt_f32_e32 vcc_lo, 0xc2ce8ed0, v9
	v_mul_f32_e32 v13, 0x3fb8aa3b, v9
	v_fma_f32 v11, 0x3fb8aa3b, v9, -v13
	v_rndne_f32_e32 v14, v13
	s_delay_alu instid0(VALU_DEP_1) | instskip(SKIP_2) | instid1(VALU_DEP_3)
	v_dual_fmac_f32 v11, 0x32a5705f, v9 :: v_dual_sub_f32 v8, v13, v14
	v_fma_f32 v13, 0x3fb8aa3b, v7, -v15
	v_cvt_i32_f32_e32 v5, v14
	v_add_f32_e32 v4, v8, v11
	s_delay_alu instid0(VALU_DEP_3) | instskip(NEXT) | instid1(VALU_DEP_2)
	v_dual_fmac_f32 v13, 0x32a5705f, v7 :: v_dual_sub_f32 v8, v15, v16
	v_exp_f32_e32 v4, v4
	s_delay_alu instid0(VALU_DEP_1) | instskip(NEXT) | instid1(VALU_DEP_1)
	v_dual_add_f32 v8, v8, v13 :: v_dual_add_f32 v1, v1, v2
	v_exp_f32_e32 v6, v8
	s_waitcnt_depctr 0xfff
	v_ldexp_f32 v2, v4, v5
	v_cvt_i32_f32_e32 v4, v16
	s_delay_alu instid0(VALU_DEP_2) | instskip(SKIP_1) | instid1(VALU_DEP_3)
	v_cndmask_b32_e32 v2, 0, v2, vcc_lo
	v_cmp_nlt_f32_e32 vcc_lo, 0x42b17218, v9
	v_ldexp_f32 v4, v6, v4
	s_delay_alu instid0(VALU_DEP_3) | instskip(SKIP_1) | instid1(VALU_DEP_2)
	v_dual_add_f32 v1, v1, v3 :: v_dual_cndmask_b32 v2, 0x7f800000, v2
	v_cmp_ngt_f32_e32 vcc_lo, 0xc2ce8ed0, v7
	v_add_f32_e32 v1, v1, v2
	s_delay_alu instid0(VALU_DEP_4) | instskip(SKIP_1) | instid1(VALU_DEP_2)
	v_cndmask_b32_e32 v3, 0, v4, vcc_lo
	v_cmp_nlt_f32_e32 vcc_lo, 0x42b17218, v7
	v_cndmask_b32_e32 v2, 0x7f800000, v3, vcc_lo
	s_delay_alu instid0(VALU_DEP_1) | instskip(NEXT) | instid1(VALU_DEP_1)
	v_add_f32_e32 v1, v1, v2
	v_add_f32_e32 v2, v12, v1
	s_delay_alu instid0(VALU_DEP_1)
	v_cmp_neq_f32_e32 vcc_lo, 0, v2
	s_and_b32 exec_lo, exec_lo, vcc_lo
	s_cbranch_execz .LBB253_12
; %bb.9:
	s_and_not1_b32 vcc_lo, exec_lo, s16
	s_cbranch_vccnz .LBB253_12
; %bb.10:
	v_div_scale_f32 v1, null, v2, v2, 1.0
	v_div_scale_f32 v5, vcc_lo, 1.0, v2, 1.0
	s_delay_alu instid0(VALU_DEP_2) | instskip(SKIP_2) | instid1(VALU_DEP_1)
	v_rcp_f32_e32 v3, v1
	s_waitcnt_depctr 0xfff
	v_fma_f32 v4, -v1, v3, 1.0
	v_fmac_f32_e32 v3, v4, v3
	s_delay_alu instid0(VALU_DEP_1) | instskip(NEXT) | instid1(VALU_DEP_1)
	v_mul_f32_e32 v4, v5, v3
	v_fma_f32 v6, -v1, v4, v5
	s_delay_alu instid0(VALU_DEP_1) | instskip(NEXT) | instid1(VALU_DEP_1)
	v_fmac_f32_e32 v4, v6, v3
	v_fma_f32 v5, -v1, v4, v5
	v_ashrrev_i32_e32 v1, 31, v0
	s_delay_alu instid0(VALU_DEP_2) | instskip(NEXT) | instid1(VALU_DEP_2)
	v_div_fmas_f32 v3, v5, v3, v4
	v_lshlrev_b64 v[0:1], 2, v[0:1]
	s_delay_alu instid0(VALU_DEP_2) | instskip(NEXT) | instid1(VALU_DEP_2)
	v_div_fixup_f32 v2, v3, v2, 1.0
	v_add_co_u32 v0, vcc_lo, s18, v0
	s_delay_alu instid0(VALU_DEP_3)
	v_add_co_ci_u32_e32 v1, vcc_lo, s19, v1, vcc_lo
.LBB253_11:                             ; =>This Inner Loop Header: Depth=1
	global_load_b32 v3, v[0:1], off
	s_add_i32 s20, s20, -1
	s_delay_alu instid0(SALU_CYCLE_1)
	s_cmp_lg_u32 s20, 0
	s_waitcnt vmcnt(0)
	v_mul_f32_e32 v3, v2, v3
	global_store_b32 v[0:1], v3, off
	v_add_co_u32 v0, vcc_lo, v0, 4
	v_add_co_ci_u32_e32 v1, vcc_lo, 0, v1, vcc_lo
	s_cbranch_scc1 .LBB253_11
.LBB253_12:
	s_nop 0
	s_sendmsg sendmsg(MSG_DEALLOC_VGPRS)
	s_endpgm
	.section	.rodata,"a",@progbits
	.p2align	6, 0x0
	.amdhsa_kernel _ZN4vllm3moe17topkGatingSoftmaxItLi16ELi16ELi8ELi32ELb0ELi2ELNS0_23SharedExpertScoringFuncE1EEEvPKT_PKbPfiPiS9_iiiiii
		.amdhsa_group_segment_fixed_size 0
		.amdhsa_private_segment_fixed_size 0
		.amdhsa_kernarg_size 72
		.amdhsa_user_sgpr_count 15
		.amdhsa_user_sgpr_dispatch_ptr 0
		.amdhsa_user_sgpr_queue_ptr 0
		.amdhsa_user_sgpr_kernarg_segment_ptr 1
		.amdhsa_user_sgpr_dispatch_id 0
		.amdhsa_user_sgpr_private_segment_size 0
		.amdhsa_wavefront_size32 1
		.amdhsa_uses_dynamic_stack 0
		.amdhsa_enable_private_segment 0
		.amdhsa_system_sgpr_workgroup_id_x 1
		.amdhsa_system_sgpr_workgroup_id_y 0
		.amdhsa_system_sgpr_workgroup_id_z 0
		.amdhsa_system_sgpr_workgroup_info 0
		.amdhsa_system_vgpr_workitem_id 1
		.amdhsa_next_free_vgpr 36
		.amdhsa_next_free_sgpr 28
		.amdhsa_reserve_vcc 1
		.amdhsa_float_round_mode_32 0
		.amdhsa_float_round_mode_16_64 0
		.amdhsa_float_denorm_mode_32 3
		.amdhsa_float_denorm_mode_16_64 3
		.amdhsa_dx10_clamp 1
		.amdhsa_ieee_mode 1
		.amdhsa_fp16_overflow 0
		.amdhsa_workgroup_processor_mode 1
		.amdhsa_memory_ordered 1
		.amdhsa_forward_progress 0
		.amdhsa_shared_vgpr_count 0
		.amdhsa_exception_fp_ieee_invalid_op 0
		.amdhsa_exception_fp_denorm_src 0
		.amdhsa_exception_fp_ieee_div_zero 0
		.amdhsa_exception_fp_ieee_overflow 0
		.amdhsa_exception_fp_ieee_underflow 0
		.amdhsa_exception_fp_ieee_inexact 0
		.amdhsa_exception_int_div_zero 0
	.end_amdhsa_kernel
	.section	.text._ZN4vllm3moe17topkGatingSoftmaxItLi16ELi16ELi8ELi32ELb0ELi2ELNS0_23SharedExpertScoringFuncE1EEEvPKT_PKbPfiPiS9_iiiiii,"axG",@progbits,_ZN4vllm3moe17topkGatingSoftmaxItLi16ELi16ELi8ELi32ELb0ELi2ELNS0_23SharedExpertScoringFuncE1EEEvPKT_PKbPfiPiS9_iiiiii,comdat
.Lfunc_end253:
	.size	_ZN4vllm3moe17topkGatingSoftmaxItLi16ELi16ELi8ELi32ELb0ELi2ELNS0_23SharedExpertScoringFuncE1EEEvPKT_PKbPfiPiS9_iiiiii, .Lfunc_end253-_ZN4vllm3moe17topkGatingSoftmaxItLi16ELi16ELi8ELi32ELb0ELi2ELNS0_23SharedExpertScoringFuncE1EEEvPKT_PKbPfiPiS9_iiiiii
                                        ; -- End function
	.section	.AMDGPU.csdata,"",@progbits
; Kernel info:
; codeLenInByte = 4780
; NumSgprs: 30
; NumVgprs: 36
; ScratchSize: 0
; MemoryBound: 0
; FloatMode: 240
; IeeeMode: 1
; LDSByteSize: 0 bytes/workgroup (compile time only)
; SGPRBlocks: 3
; VGPRBlocks: 4
; NumSGPRsForWavesPerEU: 30
; NumVGPRsForWavesPerEU: 36
; Occupancy: 16
; WaveLimiterHint : 0
; COMPUTE_PGM_RSRC2:SCRATCH_EN: 0
; COMPUTE_PGM_RSRC2:USER_SGPR: 15
; COMPUTE_PGM_RSRC2:TRAP_HANDLER: 0
; COMPUTE_PGM_RSRC2:TGID_X_EN: 1
; COMPUTE_PGM_RSRC2:TGID_Y_EN: 0
; COMPUTE_PGM_RSRC2:TGID_Z_EN: 0
; COMPUTE_PGM_RSRC2:TIDIG_COMP_CNT: 1
	.section	.text._ZN4vllm3moe17topkGatingSoftmaxItLi16ELi16ELi8ELi32ELb1ELi4ELNS0_23SharedExpertScoringFuncE1EEEvPKT_PKbPfiPiS9_iiiiii,"axG",@progbits,_ZN4vllm3moe17topkGatingSoftmaxItLi16ELi16ELi8ELi32ELb1ELi4ELNS0_23SharedExpertScoringFuncE1EEEvPKT_PKbPfiPiS9_iiiiii,comdat
	.protected	_ZN4vllm3moe17topkGatingSoftmaxItLi16ELi16ELi8ELi32ELb1ELi4ELNS0_23SharedExpertScoringFuncE1EEEvPKT_PKbPfiPiS9_iiiiii ; -- Begin function _ZN4vllm3moe17topkGatingSoftmaxItLi16ELi16ELi8ELi32ELb1ELi4ELNS0_23SharedExpertScoringFuncE1EEEvPKT_PKbPfiPiS9_iiiiii
	.globl	_ZN4vllm3moe17topkGatingSoftmaxItLi16ELi16ELi8ELi32ELb1ELi4ELNS0_23SharedExpertScoringFuncE1EEEvPKT_PKbPfiPiS9_iiiiii
	.p2align	8
	.type	_ZN4vllm3moe17topkGatingSoftmaxItLi16ELi16ELi8ELi32ELb1ELi4ELNS0_23SharedExpertScoringFuncE1EEEvPKT_PKbPfiPiS9_iiiiii,@function
_ZN4vllm3moe17topkGatingSoftmaxItLi16ELi16ELi8ELi32ELb1ELi4ELNS0_23SharedExpertScoringFuncE1EEEvPKT_PKbPfiPiS9_iiiiii: ; @_ZN4vllm3moe17topkGatingSoftmaxItLi16ELi16ELi8ELi32ELb1ELi4ELNS0_23SharedExpertScoringFuncE1EEEvPKT_PKbPfiPiS9_iiiiii
; %bb.0:
	s_load_b32 s14, s[0:1], 0x18
	v_bfe_u32 v1, v0, 10, 10
	v_and_b32_e32 v11, 0x3ff, v0
	s_lshl_b32 s16, s15, 8
	s_mov_b32 s2, exec_lo
	s_delay_alu instid0(VALU_DEP_2) | instskip(NEXT) | instid1(VALU_DEP_1)
	v_lshlrev_b32_e32 v10, 5, v1
	v_add3_u32 v12, v10, v11, s16
	s_waitcnt lgkmcnt(0)
	s_delay_alu instid0(VALU_DEP_1)
	v_cmpx_gt_i32_e64 s14, v12
	s_cbranch_execz .LBB254_12
; %bb.1:
	s_clause 0x1
	s_load_b128 s[4:7], s[0:1], 0x0
	s_load_b64 s[12:13], s[0:1], 0x10
	s_waitcnt lgkmcnt(0)
	s_cmp_eq_u64 s[6:7], 0
	s_cbranch_scc1 .LBB254_3
; %bb.2:
	v_ashrrev_i32_e32 v1, 31, v12
	v_add_co_u32 v0, vcc_lo, s6, v12
	s_delay_alu instid0(VALU_DEP_2) | instskip(SKIP_3) | instid1(VALU_DEP_1)
	v_add_co_ci_u32_e32 v1, vcc_lo, s7, v1, vcc_lo
	global_load_u8 v0, v[0:1], off
	s_waitcnt vmcnt(0)
	v_and_b32_e32 v0, 1, v0
	v_cmp_eq_u32_e32 vcc_lo, 1, v0
	s_xor_b32 s2, vcc_lo, -1
	s_delay_alu instid0(SALU_CYCLE_1)
	s_or_not1_b32 s15, s2, exec_lo
	s_branch .LBB254_4
.LBB254_3:
	s_mov_b32 s15, -1
.LBB254_4:
	s_clause 0x1
	s_load_b64 s[6:7], s[0:1], 0x40
	s_load_b128 s[8:11], s[0:1], 0x30
	s_waitcnt lgkmcnt(0)
	v_mul_lo_u32 v0, v12, s7
	s_cmp_gt_i32 s8, 0
	s_delay_alu instid0(VALU_DEP_1) | instskip(NEXT) | instid1(VALU_DEP_1)
	v_ashrrev_i32_e32 v1, 31, v0
	v_lshlrev_b64 v[0:1], 1, v[0:1]
	s_delay_alu instid0(VALU_DEP_1) | instskip(NEXT) | instid1(VALU_DEP_2)
	v_add_co_u32 v4, vcc_lo, s4, v0
	v_add_co_ci_u32_e32 v5, vcc_lo, s5, v1, vcc_lo
	s_clause 0x2
	global_load_b64 v[8:9], v[4:5], off offset:32
	global_load_b128 v[0:3], v[4:5], off offset:16
	global_load_b128 v[4:7], v[4:5], off
	s_waitcnt vmcnt(2)
	v_and_b32_e32 v13, 0xffff, v8
	v_lshrrev_b32_e32 v8, 16, v8
	s_delay_alu instid0(VALU_DEP_1) | instskip(NEXT) | instid1(VALU_DEP_1)
	v_cvt_f32_u32_e32 v8, v8
	v_mul_f32_e32 v16, 0xbfb8aa3b, v8
	s_delay_alu instid0(VALU_DEP_1) | instskip(SKIP_1) | instid1(VALU_DEP_2)
	v_rndne_f32_e32 v22, v16
	v_fma_f32 v21, 0xbfb8aa3b, v8, -v16
	v_sub_f32_e32 v16, v16, v22
	v_cvt_f32_u32_e32 v13, v13
	s_delay_alu instid0(VALU_DEP_1) | instskip(SKIP_1) | instid1(VALU_DEP_2)
	v_mul_f32_e32 v15, 0xbfb8aa3b, v13
	v_cmp_nlt_f32_e32 vcc_lo, 0x42ce8ed0, v13
	v_rndne_f32_e32 v20, v15
	v_and_b32_e32 v14, 0xffff, v9
	v_lshrrev_b32_e32 v9, 16, v9
	s_delay_alu instid0(VALU_DEP_1) | instskip(NEXT) | instid1(VALU_DEP_1)
	v_cvt_f32_u32_e32 v9, v9
	v_mul_f32_e32 v18, 0xbfb8aa3b, v9
	s_delay_alu instid0(VALU_DEP_1) | instskip(SKIP_1) | instid1(VALU_DEP_2)
	v_rndne_f32_e32 v26, v18
	v_fma_f32 v25, 0xbfb8aa3b, v9, -v18
	v_sub_f32_e32 v18, v18, v26
	v_fma_f32 v19, 0xbfb8aa3b, v13, -v15
	v_sub_f32_e32 v15, v15, v20
	v_cvt_f32_u32_e32 v14, v14
	v_fmac_f32_e32 v25, 0xb2a5705f, v9
	v_fmac_f32_e32 v21, 0xb2a5705f, v8
	;; [unrolled: 1-line block ×3, first 2 shown]
	s_delay_alu instid0(VALU_DEP_3) | instskip(NEXT) | instid1(VALU_DEP_2)
	v_dual_mul_f32 v17, 0xbfb8aa3b, v14 :: v_dual_add_f32 v18, v18, v25
	v_dual_add_f32 v16, v16, v21 :: v_dual_add_f32 v15, v15, v19
	v_cvt_i32_f32_e32 v19, v20
	s_delay_alu instid0(VALU_DEP_3)
	v_fma_f32 v23, 0xbfb8aa3b, v14, -v17
	v_rndne_f32_e32 v24, v17
	v_cvt_i32_f32_e32 v20, v22
	v_exp_f32_e32 v15, v15
	v_exp_f32_e32 v16, v16
	v_fmac_f32_e32 v23, 0xb2a5705f, v14
	v_sub_f32_e32 v17, v17, v24
	v_exp_f32_e32 v18, v18
	v_cvt_i32_f32_e32 v21, v24
	v_cvt_i32_f32_e32 v22, v26
	s_delay_alu instid0(VALU_DEP_3) | instskip(NEXT) | instid1(TRANS32_DEP_3)
	v_add_f32_e32 v17, v17, v23
	v_ldexp_f32 v15, v15, v19
	s_delay_alu instid0(TRANS32_DEP_2) | instskip(NEXT) | instid1(VALU_DEP_3)
	v_ldexp_f32 v16, v16, v20
	v_exp_f32_e32 v17, v17
	s_delay_alu instid0(TRANS32_DEP_2) | instskip(NEXT) | instid1(VALU_DEP_3)
	v_ldexp_f32 v18, v18, v22
	v_cndmask_b32_e32 v15, 0, v15, vcc_lo
	v_cmp_nlt_f32_e32 vcc_lo, 0x42ce8ed0, v8
	v_cndmask_b32_e32 v16, 0, v16, vcc_lo
	v_cmp_nlt_f32_e32 vcc_lo, 0x42ce8ed0, v14
	s_waitcnt_depctr 0xfff
	v_ldexp_f32 v17, v17, v21
	s_delay_alu instid0(VALU_DEP_1)
	v_cndmask_b32_e32 v17, 0, v17, vcc_lo
	v_cmp_nlt_f32_e32 vcc_lo, 0x42ce8ed0, v9
	v_cndmask_b32_e32 v18, 0, v18, vcc_lo
	v_cmp_ngt_f32_e32 vcc_lo, 0xc2b17218, v13
	v_cndmask_b32_e32 v13, 0x7f800000, v15, vcc_lo
	v_cmp_ngt_f32_e32 vcc_lo, 0xc2b17218, v8
	;; [unrolled: 2-line block ×3, first 2 shown]
	s_delay_alu instid0(VALU_DEP_2) | instskip(SKIP_3) | instid1(VALU_DEP_4)
	v_add_f32_e32 v16, 1.0, v8
	v_cndmask_b32_e32 v14, 0x7f800000, v17, vcc_lo
	v_cmp_ngt_f32_e32 vcc_lo, 0xc2b17218, v9
	v_mul_lo_u32 v8, v12, s11
	v_div_scale_f32 v19, null, v16, v16, 1.0
	s_delay_alu instid0(VALU_DEP_4) | instskip(SKIP_1) | instid1(VALU_DEP_3)
	v_add_f32_e32 v17, 1.0, v14
	v_div_scale_f32 v27, s2, 1.0, v16, 1.0
	v_rcp_f32_e32 v23, v19
	s_delay_alu instid0(VALU_DEP_2) | instskip(SKIP_1) | instid1(VALU_DEP_2)
	v_div_scale_f32 v20, null, v17, v17, 1.0
	v_div_scale_f32 v28, s3, 1.0, v17, 1.0
	v_rcp_f32_e32 v24, v20
	s_waitcnt_depctr 0xfff
	v_fma_f32 v14, -v19, v23, 1.0
	s_delay_alu instid0(VALU_DEP_1) | instskip(SKIP_2) | instid1(VALU_DEP_1)
	v_fmac_f32_e32 v23, v14, v23
	v_cndmask_b32_e32 v9, 0x7f800000, v18, vcc_lo
	v_fma_f32 v29, -v20, v24, 1.0
	v_dual_add_f32 v9, 1.0, v9 :: v_dual_fmac_f32 v24, v29, v24
	s_delay_alu instid0(VALU_DEP_1) | instskip(NEXT) | instid1(VALU_DEP_2)
	v_div_scale_f32 v21, null, v9, v9, 1.0
	v_mul_f32_e32 v32, v28, v24
	v_div_scale_f32 v31, s4, 1.0, v9, 1.0
	s_delay_alu instid0(VALU_DEP_3) | instskip(NEXT) | instid1(VALU_DEP_2)
	v_rcp_f32_e32 v25, v21
	v_fma_f32 v36, -v20, v32, v28
	s_delay_alu instid0(VALU_DEP_1) | instskip(SKIP_3) | instid1(VALU_DEP_2)
	v_fmac_f32_e32 v32, v36, v24
	s_waitcnt_depctr 0xfff
	v_fma_f32 v30, -v21, v25, 1.0
	v_fma_f32 v20, -v20, v32, v28
	v_dual_fmac_f32 v25, v30, v25 :: v_dual_mul_f32 v30, v27, v23
	s_delay_alu instid0(VALU_DEP_1) | instskip(NEXT) | instid1(VALU_DEP_2)
	v_mul_f32_e32 v33, v31, v25
	v_fma_f32 v35, -v19, v30, v27
	v_add_f32_e32 v15, 1.0, v13
	s_delay_alu instid0(VALU_DEP_3) | instskip(NEXT) | instid1(VALU_DEP_3)
	v_fma_f32 v37, -v21, v33, v31
	v_fmac_f32_e32 v30, v35, v23
	s_delay_alu instid0(VALU_DEP_3) | instskip(SKIP_1) | instid1(VALU_DEP_4)
	v_div_scale_f32 v18, null, v15, v15, 1.0
	v_div_scale_f32 v26, vcc_lo, 1.0, v15, 1.0
	v_fmac_f32_e32 v33, v37, v25
	s_delay_alu instid0(VALU_DEP_3) | instskip(SKIP_1) | instid1(VALU_DEP_2)
	v_rcp_f32_e32 v22, v18
	v_fma_f32 v19, -v19, v30, v27
	v_fma_f32 v21, -v21, v33, v31
	s_waitcnt_depctr 0xfff
	v_fma_f32 v13, -v18, v22, 1.0
	s_delay_alu instid0(VALU_DEP_1) | instskip(NEXT) | instid1(VALU_DEP_1)
	v_dual_fmac_f32 v22, v13, v22 :: v_dual_add_nc_u32 v13, s8, v8
	v_mul_f32_e32 v29, v26, v22
	s_delay_alu instid0(VALU_DEP_2) | instskip(NEXT) | instid1(VALU_DEP_2)
	v_ashrrev_i32_e32 v14, 31, v13
	v_fma_f32 v34, -v18, v29, v26
	s_delay_alu instid0(VALU_DEP_2) | instskip(NEXT) | instid1(VALU_DEP_2)
	v_lshlrev_b64 v[13:14], 2, v[13:14]
	v_fmac_f32_e32 v29, v34, v22
	s_delay_alu instid0(VALU_DEP_1) | instskip(NEXT) | instid1(VALU_DEP_1)
	v_fma_f32 v18, -v18, v29, v26
	v_div_fmas_f32 v22, v18, v22, v29
	s_mov_b32 vcc_lo, s2
	s_cselect_b32 s2, -1, 0
	v_div_fmas_f32 v23, v19, v23, v30
	s_mov_b32 vcc_lo, s3
	s_cmp_lt_i32 s8, 1
	v_div_fmas_f32 v20, v20, v24, v32
	s_mov_b32 vcc_lo, s4
	v_div_fmas_f32 v21, v21, v25, v33
	v_add_co_u32 v18, vcc_lo, s12, v13
	v_add_co_ci_u32_e32 v19, vcc_lo, s13, v14, vcc_lo
	v_div_fixup_f32 v14, v22, v15, 1.0
	v_div_fixup_f32 v15, v23, v16, 1.0
	;; [unrolled: 1-line block ×4, first 2 shown]
	v_mov_b32_e32 v13, 0
	global_store_b128 v[18:19], v[14:17], off
	s_cbranch_scc1 .LBB254_8
; %bb.5:
	s_waitcnt vmcnt(0)
	v_lshrrev_b32_e32 v9, 16, v4
	s_delay_alu instid0(VALU_DEP_1) | instskip(SKIP_1) | instid1(VALU_DEP_1)
	v_cvt_f32_u32_e32 v25, v9
	v_and_b32_e32 v4, 0xffff, v4
	v_cvt_f32_u32_e32 v26, v4
	s_delay_alu instid0(VALU_DEP_1) | instskip(SKIP_3) | instid1(VALU_DEP_2)
	v_cmp_lt_f32_e32 vcc_lo, v26, v25
	v_cndmask_b32_e32 v9, v26, v25, vcc_lo
	v_and_b32_e32 v4, 0xffff, v5
	v_lshrrev_b32_e32 v5, 16, v5
	v_cvt_f32_u32_e32 v24, v4
	v_cndmask_b32_e64 v4, 0, 1, vcc_lo
	s_delay_alu instid0(VALU_DEP_3) | instskip(NEXT) | instid1(VALU_DEP_3)
	v_cvt_f32_u32_e32 v23, v5
	v_cmp_lt_f32_e32 vcc_lo, v9, v24
	v_cndmask_b32_e32 v5, v9, v24, vcc_lo
	v_and_b32_e32 v9, 0xffff, v6
	v_lshrrev_b32_e32 v6, 16, v6
	v_cndmask_b32_e64 v4, v4, 2, vcc_lo
	s_delay_alu instid0(VALU_DEP_4) | instskip(NEXT) | instid1(VALU_DEP_4)
	v_cmp_lt_f32_e32 vcc_lo, v5, v23
	v_cvt_f32_u32_e32 v22, v9
	s_delay_alu instid0(VALU_DEP_4) | instskip(SKIP_4) | instid1(VALU_DEP_4)
	v_cvt_f32_u32_e32 v21, v6
	v_and_b32_e32 v6, 0xffff, v7
	v_ashrrev_i32_e32 v9, 31, v8
	v_cndmask_b32_e32 v5, v5, v23, vcc_lo
	v_cndmask_b32_e64 v4, v4, 3, vcc_lo
	v_cvt_f32_u32_e32 v20, v6
	v_lshrrev_b32_e32 v6, 16, v7
	s_delay_alu instid0(VALU_DEP_1) | instskip(SKIP_3) | instid1(VALU_DEP_3)
	v_cvt_f32_u32_e32 v19, v6
	v_and_b32_e32 v6, 0xffff, v0
	v_cmp_lt_f32_e32 vcc_lo, v5, v22
	v_lshrrev_b32_e32 v0, 16, v0
	v_cvt_f32_u32_e32 v18, v6
	v_cndmask_b32_e32 v5, v5, v22, vcc_lo
	v_cndmask_b32_e64 v4, v4, 4, vcc_lo
	s_delay_alu instid0(VALU_DEP_4) | instskip(NEXT) | instid1(VALU_DEP_3)
	v_cvt_f32_u32_e32 v17, v0
	v_cmp_lt_f32_e32 vcc_lo, v5, v21
	v_cndmask_b32_e32 v5, v5, v21, vcc_lo
	s_delay_alu instid0(VALU_DEP_4) | instskip(NEXT) | instid1(VALU_DEP_2)
	v_cndmask_b32_e64 v4, v4, 5, vcc_lo
	v_cmp_lt_f32_e32 vcc_lo, v5, v20
	v_cndmask_b32_e32 v5, v5, v20, vcc_lo
	s_delay_alu instid0(VALU_DEP_3) | instskip(NEXT) | instid1(VALU_DEP_2)
	v_cndmask_b32_e64 v4, v4, 6, vcc_lo
	v_cmp_lt_f32_e32 vcc_lo, v5, v19
	v_cndmask_b32_e32 v5, v5, v19, vcc_lo
	s_delay_alu instid0(VALU_DEP_3) | instskip(NEXT) | instid1(VALU_DEP_2)
	v_cndmask_b32_e64 v4, v4, 7, vcc_lo
	v_cmp_lt_f32_e32 vcc_lo, v5, v18
	s_delay_alu instid0(VALU_DEP_2) | instskip(SKIP_2) | instid1(VALU_DEP_2)
	v_cndmask_b32_e64 v0, v4, 8, vcc_lo
	v_dual_cndmask_b32 v4, v5, v18 :: v_dual_and_b32 v5, 0xffff, v1
	v_lshrrev_b32_e32 v1, 16, v1
	v_cmp_lt_f32_e32 vcc_lo, v4, v17
	s_delay_alu instid0(VALU_DEP_3) | instskip(NEXT) | instid1(VALU_DEP_3)
	v_cvt_f32_u32_e32 v16, v5
	v_cvt_f32_u32_e32 v15, v1
	v_cndmask_b32_e32 v4, v4, v17, vcc_lo
	v_cndmask_b32_e64 v0, v0, 9, vcc_lo
	s_delay_alu instid0(VALU_DEP_2) | instskip(SKIP_1) | instid1(VALU_DEP_3)
	v_cmp_lt_f32_e32 vcc_lo, v4, v16
	v_cndmask_b32_e32 v1, v4, v16, vcc_lo
	v_cndmask_b32_e64 v0, v0, 10, vcc_lo
	v_and_b32_e32 v4, 0xffff, v2
	v_lshrrev_b32_e32 v2, 16, v2
	s_delay_alu instid0(VALU_DEP_4) | instskip(NEXT) | instid1(VALU_DEP_3)
	v_cmp_lt_f32_e32 vcc_lo, v1, v15
	v_cvt_f32_u32_e32 v14, v4
	s_delay_alu instid0(VALU_DEP_3) | instskip(SKIP_4) | instid1(VALU_DEP_4)
	v_cvt_f32_u32_e32 v28, v2
	v_and_b32_e32 v2, 0xffff, v3
	v_cndmask_b32_e32 v1, v1, v15, vcc_lo
	v_cndmask_b32_e64 v0, v0, 11, vcc_lo
	v_lshlrev_b64 v[4:5], 2, v[8:9]
	v_cvt_f32_u32_e32 v29, v2
	s_delay_alu instid0(VALU_DEP_4) | instskip(SKIP_3) | instid1(VALU_DEP_3)
	v_cmp_lt_f32_e32 vcc_lo, v1, v14
	v_lshrrev_b32_e32 v2, 16, v3
	v_cndmask_b32_e32 v1, v1, v14, vcc_lo
	v_cndmask_b32_e64 v0, v0, 12, vcc_lo
	v_cvt_f32_u32_e32 v7, v2
	v_mul_lo_u32 v2, v12, s8
	s_delay_alu instid0(VALU_DEP_4) | instskip(SKIP_2) | instid1(VALU_DEP_2)
	v_cmp_lt_f32_e32 vcc_lo, v1, v28
	v_cndmask_b32_e32 v1, v1, v28, vcc_lo
	v_cndmask_b32_e64 v0, v0, 13, vcc_lo
	v_cmp_lt_f32_e32 vcc_lo, v1, v29
	v_cndmask_b32_e32 v1, v1, v29, vcc_lo
	s_delay_alu instid0(VALU_DEP_3) | instskip(NEXT) | instid1(VALU_DEP_2)
	v_cndmask_b32_e64 v0, v0, 14, vcc_lo
	v_cmp_lt_f32_e32 vcc_lo, v1, v7
	v_cndmask_b32_e32 v6, v1, v7, vcc_lo
	s_delay_alu instid0(VALU_DEP_3) | instskip(SKIP_2) | instid1(VALU_DEP_4)
	v_cndmask_b32_e64 v27, v0, 15, vcc_lo
	v_add_co_u32 v4, vcc_lo, s12, v4
	v_add_co_ci_u32_e32 v5, vcc_lo, s13, v5, vcc_lo
	v_sub_f32_e32 v13, v6, v6
	s_delay_alu instid0(VALU_DEP_4) | instskip(SKIP_1) | instid1(VALU_DEP_3)
	v_cmp_le_i32_e32 vcc_lo, s9, v27
	v_subrev_nc_u32_e32 v32, s9, v27
	v_mul_f32_e32 v0, 0x3fb8aa3b, v13
	s_delay_alu instid0(VALU_DEP_1) | instskip(SKIP_1) | instid1(VALU_DEP_2)
	v_fma_f32 v1, 0x3fb8aa3b, v13, -v0
	v_rndne_f32_e32 v30, v0
	v_fmac_f32_e32 v1, 0x32a5705f, v13
	s_delay_alu instid0(VALU_DEP_2)
	v_sub_f32_e32 v3, v0, v30
	v_mul_lo_u32 v0, v12, s6
	s_load_b128 s[4:7], s[0:1], 0x20
	v_cvt_i32_f32_e32 v30, v30
	v_cmp_gt_i32_e64 s0, s10, v27
	v_add_f32_e32 v3, v3, v1
	s_delay_alu instid0(VALU_DEP_4) | instskip(NEXT) | instid1(VALU_DEP_2)
	v_ashrrev_i32_e32 v1, 31, v0
	v_exp_f32_e32 v9, v3
	s_delay_alu instid0(VALU_DEP_3) | instskip(SKIP_3) | instid1(VALU_DEP_2)
	s_and_b32 s0, vcc_lo, s0
	v_cmp_ngt_f32_e32 vcc_lo, 0xc2ce8ed0, v13
	v_ashrrev_i32_e32 v3, 31, v2
	v_lshlrev_b64 v[0:1], 2, v[0:1]
	v_lshlrev_b64 v[2:3], 2, v[2:3]
	s_waitcnt_depctr 0xfff
	v_ldexp_f32 v9, v9, v30
	s_delay_alu instid0(VALU_DEP_1)
	v_cndmask_b32_e32 v9, 0, v9, vcc_lo
	s_waitcnt lgkmcnt(0)
	v_add_co_u32 v30, vcc_lo, s4, v0
	v_add_co_ci_u32_e32 v31, vcc_lo, s5, v1, vcc_lo
	s_and_b32 vcc_lo, s15, s0
	s_cmp_eq_u32 s8, 1
	v_cndmask_b32_e32 v34, 16, v32, vcc_lo
	v_cmp_nlt_f32_e32 vcc_lo, 0x42b17218, v13
	v_cndmask_b32_e32 v13, 0x7f800000, v9, vcc_lo
	v_add_co_u32 v32, vcc_lo, s6, v2
	v_add_co_ci_u32_e32 v33, vcc_lo, s7, v3, vcc_lo
	global_store_b32 v[30:31], v34, off
	global_store_b32 v[4:5], v13, off
	;; [unrolled: 1-line block ×3, first 2 shown]
	s_cbranch_scc1 .LBB254_8
; %bb.6:
	v_cmp_ne_u32_e32 vcc_lo, 15, v27
	s_add_i32 s16, s16, s14
	s_add_i32 s3, s8, -1
	v_add3_u32 v10, s16, v11, v10
	v_cndmask_b32_e32 v7, 0xff800000, v7, vcc_lo
	v_cmp_ne_u32_e32 vcc_lo, 14, v27
	v_cndmask_b32_e32 v9, 0xff800000, v29, vcc_lo
	v_cmp_ne_u32_e32 vcc_lo, 13, v27
	;; [unrolled: 2-line block ×15, first 2 shown]
	v_cndmask_b32_e32 v26, 0xff800000, v26, vcc_lo
	v_add_co_u32 v2, vcc_lo, v2, s6
	v_add_co_ci_u32_e32 v3, vcc_lo, s7, v3, vcc_lo
	v_add_co_u32 v27, vcc_lo, v0, s4
	v_add_co_ci_u32_e32 v28, vcc_lo, s5, v1, vcc_lo
	s_delay_alu instid0(VALU_DEP_4) | instskip(NEXT) | instid1(VALU_DEP_4)
	v_add_co_u32 v0, vcc_lo, v2, 4
	v_add_co_ci_u32_e32 v1, vcc_lo, 0, v3, vcc_lo
	s_delay_alu instid0(VALU_DEP_4) | instskip(NEXT) | instid1(VALU_DEP_4)
	v_add_co_u32 v2, vcc_lo, v27, 4
	v_add_co_ci_u32_e32 v3, vcc_lo, 0, v28, vcc_lo
	v_add_co_u32 v4, vcc_lo, v4, 4
	v_add_co_ci_u32_e32 v5, vcc_lo, 0, v5, vcc_lo
.LBB254_7:                              ; =>This Inner Loop Header: Depth=1
	v_cmp_gt_f32_e32 vcc_lo, v25, v26
	s_add_i32 s3, s3, -1
	v_cndmask_b32_e32 v11, v26, v25, vcc_lo
	v_cndmask_b32_e64 v27, 0, 1, vcc_lo
	s_delay_alu instid0(VALU_DEP_2) | instskip(SKIP_1) | instid1(VALU_DEP_3)
	v_cmp_gt_f32_e32 vcc_lo, v24, v11
	v_cndmask_b32_e32 v11, v11, v24, vcc_lo
	v_cndmask_b32_e64 v27, v27, 2, vcc_lo
	s_delay_alu instid0(VALU_DEP_2) | instskip(SKIP_1) | instid1(VALU_DEP_3)
	v_cmp_gt_f32_e32 vcc_lo, v23, v11
	;; [unrolled: 4-line block ×13, first 2 shown]
	v_cndmask_b32_e32 v11, v11, v9, vcc_lo
	v_cndmask_b32_e64 v27, v27, 14, vcc_lo
	s_delay_alu instid0(VALU_DEP_2) | instskip(NEXT) | instid1(VALU_DEP_2)
	v_cmp_gt_f32_e32 vcc_lo, v7, v11
	v_cndmask_b32_e64 v27, v27, 15, vcc_lo
	v_cndmask_b32_e32 v11, v11, v7, vcc_lo
	s_delay_alu instid0(VALU_DEP_2) | instskip(SKIP_2) | instid1(VALU_DEP_4)
	v_cmp_ne_u32_e64 s1, 15, v27
	v_cmp_le_i32_e32 vcc_lo, s9, v27
	v_cmp_gt_i32_e64 s0, s10, v27
	v_sub_f32_e32 v11, v11, v6
	v_subrev_nc_u32_e32 v29, s9, v27
	v_cndmask_b32_e64 v7, 0xff800000, v7, s1
	v_cmp_ne_u32_e64 s1, 14, v27
	s_and_b32 s0, vcc_lo, s0
	s_delay_alu instid0(SALU_CYCLE_1) | instskip(SKIP_1) | instid1(VALU_DEP_2)
	s_and_b32 vcc_lo, s15, s0
	v_dual_mul_f32 v28, 0x3fb8aa3b, v11 :: v_dual_cndmask_b32 v29, 16, v29
	v_cndmask_b32_e64 v9, 0xff800000, v9, s1
	v_cmp_ne_u32_e64 s1, 13, v27
	global_store_b32 v[2:3], v29, off
	global_store_b32 v[0:1], v10, off
	v_rndne_f32_e32 v30, v28
	v_cndmask_b32_e64 v12, 0xff800000, v12, s1
	v_cmp_ne_u32_e64 s1, 12, v27
	v_add_co_u32 v0, vcc_lo, v0, 4
	v_add_co_ci_u32_e32 v1, vcc_lo, 0, v1, vcc_lo
	s_delay_alu instid0(VALU_DEP_3) | instskip(SKIP_3) | instid1(VALU_DEP_3)
	v_cndmask_b32_e64 v14, 0xff800000, v14, s1
	v_cmp_ne_u32_e64 s1, 11, v27
	v_add_co_u32 v2, vcc_lo, v2, 4
	v_add_co_ci_u32_e32 v3, vcc_lo, 0, v3, vcc_lo
	v_cndmask_b32_e64 v15, 0xff800000, v15, s1
	v_cmp_ne_u32_e64 s1, 10, v27
	v_cmp_ngt_f32_e32 vcc_lo, 0xc2ce8ed0, v11
	v_add_nc_u32_e32 v10, s14, v10
	s_cmp_eq_u32 s3, 0
	s_delay_alu instid0(VALU_DEP_3) | instskip(SKIP_1) | instid1(VALU_DEP_1)
	v_cndmask_b32_e64 v16, 0xff800000, v16, s1
	v_cmp_ne_u32_e64 s1, 9, v27
	v_cndmask_b32_e64 v17, 0xff800000, v17, s1
	v_cmp_ne_u32_e64 s1, 8, v27
	s_delay_alu instid0(VALU_DEP_1) | instskip(SKIP_1) | instid1(VALU_DEP_1)
	v_cndmask_b32_e64 v18, 0xff800000, v18, s1
	v_cmp_ne_u32_e64 s1, 7, v27
	v_cndmask_b32_e64 v19, 0xff800000, v19, s1
	v_cmp_ne_u32_e64 s1, 6, v27
	s_delay_alu instid0(VALU_DEP_1) | instskip(SKIP_1) | instid1(VALU_DEP_1)
	v_cndmask_b32_e64 v20, 0xff800000, v20, s1
	v_cmp_ne_u32_e64 s1, 5, v27
	v_cndmask_b32_e64 v21, 0xff800000, v21, s1
	v_cmp_ne_u32_e64 s1, 4, v27
	s_delay_alu instid0(VALU_DEP_1) | instskip(SKIP_1) | instid1(VALU_DEP_1)
	v_cndmask_b32_e64 v22, 0xff800000, v22, s1
	v_cmp_ne_u32_e64 s1, 3, v27
	v_cndmask_b32_e64 v23, 0xff800000, v23, s1
	v_cmp_ne_u32_e64 s1, 2, v27
	s_delay_alu instid0(VALU_DEP_1) | instskip(SKIP_1) | instid1(VALU_DEP_1)
	v_cndmask_b32_e64 v24, 0xff800000, v24, s1
	v_cmp_ne_u32_e64 s1, 1, v27
	v_cndmask_b32_e64 v25, 0xff800000, v25, s1
	v_cmp_ne_u32_e64 s1, 0, v27
	v_fma_f32 v27, 0x3fb8aa3b, v11, -v28
	v_sub_f32_e32 v28, v28, v30
	v_cvt_i32_f32_e32 v30, v30
	s_delay_alu instid0(VALU_DEP_4) | instskip(NEXT) | instid1(VALU_DEP_4)
	v_cndmask_b32_e64 v26, 0xff800000, v26, s1
	v_fmac_f32_e32 v27, 0x32a5705f, v11
	s_delay_alu instid0(VALU_DEP_1) | instskip(NEXT) | instid1(VALU_DEP_1)
	v_add_f32_e32 v27, v28, v27
	v_exp_f32_e32 v27, v27
	s_waitcnt_depctr 0xfff
	v_ldexp_f32 v27, v27, v30
	s_delay_alu instid0(VALU_DEP_1) | instskip(SKIP_1) | instid1(VALU_DEP_2)
	v_cndmask_b32_e32 v27, 0, v27, vcc_lo
	v_cmp_nlt_f32_e32 vcc_lo, 0x42b17218, v11
	v_cndmask_b32_e32 v11, 0x7f800000, v27, vcc_lo
	global_store_b32 v[4:5], v11, off
	v_add_co_u32 v4, vcc_lo, v4, 4
	v_add_f32_e32 v13, v13, v11
	v_add_co_ci_u32_e32 v5, vcc_lo, 0, v5, vcc_lo
	s_cbranch_scc0 .LBB254_7
.LBB254_8:
	s_delay_alu instid0(VALU_DEP_2)
	v_cmp_neq_f32_e32 vcc_lo, 0, v13
	s_and_b32 exec_lo, exec_lo, vcc_lo
	s_cbranch_execz .LBB254_12
; %bb.9:
	s_and_not1_b32 vcc_lo, exec_lo, s2
	s_cbranch_vccnz .LBB254_12
; %bb.10:
	s_waitcnt vmcnt(1)
	v_div_scale_f32 v0, null, v13, v13, 1.0
	v_div_scale_f32 v3, vcc_lo, 1.0, v13, 1.0
	v_ashrrev_i32_e32 v9, 31, v8
	s_delay_alu instid0(VALU_DEP_3) | instskip(SKIP_2) | instid1(VALU_DEP_1)
	v_rcp_f32_e32 v1, v0
	s_waitcnt_depctr 0xfff
	v_fma_f32 v2, -v0, v1, 1.0
	v_fmac_f32_e32 v1, v2, v1
	s_delay_alu instid0(VALU_DEP_1) | instskip(SKIP_1) | instid1(VALU_DEP_1)
	v_mul_f32_e32 v2, v3, v1
	s_waitcnt vmcnt(0)
	v_fma_f32 v4, -v0, v2, v3
	s_delay_alu instid0(VALU_DEP_1) | instskip(NEXT) | instid1(VALU_DEP_1)
	v_fmac_f32_e32 v2, v4, v1
	v_fma_f32 v0, -v0, v2, v3
	s_delay_alu instid0(VALU_DEP_1) | instskip(SKIP_1) | instid1(VALU_DEP_2)
	v_div_fmas_f32 v2, v0, v1, v2
	v_lshlrev_b64 v[0:1], 2, v[8:9]
	v_div_fixup_f32 v2, v2, v13, 1.0
	s_delay_alu instid0(VALU_DEP_2) | instskip(NEXT) | instid1(VALU_DEP_3)
	v_add_co_u32 v0, vcc_lo, s12, v0
	v_add_co_ci_u32_e32 v1, vcc_lo, s13, v1, vcc_lo
.LBB254_11:                             ; =>This Inner Loop Header: Depth=1
	global_load_b32 v3, v[0:1], off
	s_add_i32 s8, s8, -1
	s_delay_alu instid0(SALU_CYCLE_1)
	s_cmp_lg_u32 s8, 0
	s_waitcnt vmcnt(0)
	v_mul_f32_e32 v3, v2, v3
	global_store_b32 v[0:1], v3, off
	v_add_co_u32 v0, vcc_lo, v0, 4
	v_add_co_ci_u32_e32 v1, vcc_lo, 0, v1, vcc_lo
	s_cbranch_scc1 .LBB254_11
.LBB254_12:
	s_nop 0
	s_sendmsg sendmsg(MSG_DEALLOC_VGPRS)
	s_endpgm
	.section	.rodata,"a",@progbits
	.p2align	6, 0x0
	.amdhsa_kernel _ZN4vllm3moe17topkGatingSoftmaxItLi16ELi16ELi8ELi32ELb1ELi4ELNS0_23SharedExpertScoringFuncE1EEEvPKT_PKbPfiPiS9_iiiiii
		.amdhsa_group_segment_fixed_size 0
		.amdhsa_private_segment_fixed_size 0
		.amdhsa_kernarg_size 72
		.amdhsa_user_sgpr_count 15
		.amdhsa_user_sgpr_dispatch_ptr 0
		.amdhsa_user_sgpr_queue_ptr 0
		.amdhsa_user_sgpr_kernarg_segment_ptr 1
		.amdhsa_user_sgpr_dispatch_id 0
		.amdhsa_user_sgpr_private_segment_size 0
		.amdhsa_wavefront_size32 1
		.amdhsa_uses_dynamic_stack 0
		.amdhsa_enable_private_segment 0
		.amdhsa_system_sgpr_workgroup_id_x 1
		.amdhsa_system_sgpr_workgroup_id_y 0
		.amdhsa_system_sgpr_workgroup_id_z 0
		.amdhsa_system_sgpr_workgroup_info 0
		.amdhsa_system_vgpr_workitem_id 1
		.amdhsa_next_free_vgpr 38
		.amdhsa_next_free_sgpr 17
		.amdhsa_reserve_vcc 1
		.amdhsa_float_round_mode_32 0
		.amdhsa_float_round_mode_16_64 0
		.amdhsa_float_denorm_mode_32 3
		.amdhsa_float_denorm_mode_16_64 3
		.amdhsa_dx10_clamp 1
		.amdhsa_ieee_mode 1
		.amdhsa_fp16_overflow 0
		.amdhsa_workgroup_processor_mode 1
		.amdhsa_memory_ordered 1
		.amdhsa_forward_progress 0
		.amdhsa_shared_vgpr_count 0
		.amdhsa_exception_fp_ieee_invalid_op 0
		.amdhsa_exception_fp_denorm_src 0
		.amdhsa_exception_fp_ieee_div_zero 0
		.amdhsa_exception_fp_ieee_overflow 0
		.amdhsa_exception_fp_ieee_underflow 0
		.amdhsa_exception_fp_ieee_inexact 0
		.amdhsa_exception_int_div_zero 0
	.end_amdhsa_kernel
	.section	.text._ZN4vllm3moe17topkGatingSoftmaxItLi16ELi16ELi8ELi32ELb1ELi4ELNS0_23SharedExpertScoringFuncE1EEEvPKT_PKbPfiPiS9_iiiiii,"axG",@progbits,_ZN4vllm3moe17topkGatingSoftmaxItLi16ELi16ELi8ELi32ELb1ELi4ELNS0_23SharedExpertScoringFuncE1EEEvPKT_PKbPfiPiS9_iiiiii,comdat
.Lfunc_end254:
	.size	_ZN4vllm3moe17topkGatingSoftmaxItLi16ELi16ELi8ELi32ELb1ELi4ELNS0_23SharedExpertScoringFuncE1EEEvPKT_PKbPfiPiS9_iiiiii, .Lfunc_end254-_ZN4vllm3moe17topkGatingSoftmaxItLi16ELi16ELi8ELi32ELb1ELi4ELNS0_23SharedExpertScoringFuncE1EEEvPKT_PKbPfiPiS9_iiiiii
                                        ; -- End function
	.section	.AMDGPU.csdata,"",@progbits
; Kernel info:
; codeLenInByte = 3240
; NumSgprs: 19
; NumVgprs: 38
; ScratchSize: 0
; MemoryBound: 0
; FloatMode: 240
; IeeeMode: 1
; LDSByteSize: 0 bytes/workgroup (compile time only)
; SGPRBlocks: 2
; VGPRBlocks: 4
; NumSGPRsForWavesPerEU: 19
; NumVGPRsForWavesPerEU: 38
; Occupancy: 16
; WaveLimiterHint : 0
; COMPUTE_PGM_RSRC2:SCRATCH_EN: 0
; COMPUTE_PGM_RSRC2:USER_SGPR: 15
; COMPUTE_PGM_RSRC2:TRAP_HANDLER: 0
; COMPUTE_PGM_RSRC2:TGID_X_EN: 1
; COMPUTE_PGM_RSRC2:TGID_Y_EN: 0
; COMPUTE_PGM_RSRC2:TGID_Z_EN: 0
; COMPUTE_PGM_RSRC2:TIDIG_COMP_CNT: 1
	.section	.text._ZN4vllm3moe17topkGatingSoftmaxItLi16ELi16ELi8ELi32ELb0ELi4ELNS0_23SharedExpertScoringFuncE1EEEvPKT_PKbPfiPiS9_iiiiii,"axG",@progbits,_ZN4vllm3moe17topkGatingSoftmaxItLi16ELi16ELi8ELi32ELb0ELi4ELNS0_23SharedExpertScoringFuncE1EEEvPKT_PKbPfiPiS9_iiiiii,comdat
	.protected	_ZN4vllm3moe17topkGatingSoftmaxItLi16ELi16ELi8ELi32ELb0ELi4ELNS0_23SharedExpertScoringFuncE1EEEvPKT_PKbPfiPiS9_iiiiii ; -- Begin function _ZN4vllm3moe17topkGatingSoftmaxItLi16ELi16ELi8ELi32ELb0ELi4ELNS0_23SharedExpertScoringFuncE1EEEvPKT_PKbPfiPiS9_iiiiii
	.globl	_ZN4vllm3moe17topkGatingSoftmaxItLi16ELi16ELi8ELi32ELb0ELi4ELNS0_23SharedExpertScoringFuncE1EEEvPKT_PKbPfiPiS9_iiiiii
	.p2align	8
	.type	_ZN4vllm3moe17topkGatingSoftmaxItLi16ELi16ELi8ELi32ELb0ELi4ELNS0_23SharedExpertScoringFuncE1EEEvPKT_PKbPfiPiS9_iiiiii,@function
_ZN4vllm3moe17topkGatingSoftmaxItLi16ELi16ELi8ELi32ELb0ELi4ELNS0_23SharedExpertScoringFuncE1EEEvPKT_PKbPfiPiS9_iiiiii: ; @_ZN4vllm3moe17topkGatingSoftmaxItLi16ELi16ELi8ELi32ELb0ELi4ELNS0_23SharedExpertScoringFuncE1EEEvPKT_PKbPfiPiS9_iiiiii
; %bb.0:
	s_load_b32 s19, s[0:1], 0x18
	v_bfe_u32 v1, v0, 10, 10
	v_and_b32_e32 v26, 0x3ff, v0
	s_lshl_b32 s29, s15, 8
	s_mov_b32 s2, exec_lo
	s_delay_alu instid0(VALU_DEP_2) | instskip(NEXT) | instid1(VALU_DEP_1)
	v_lshlrev_b32_e32 v25, 5, v1
	v_add3_u32 v27, v25, v26, s29
	s_waitcnt lgkmcnt(0)
	s_delay_alu instid0(VALU_DEP_1)
	v_cmpx_gt_i32_e64 s19, v27
	s_cbranch_execz .LBB255_12
; %bb.1:
	s_clause 0x1
	s_load_b128 s[4:7], s[0:1], 0x0
	s_load_b64 s[24:25], s[0:1], 0x10
	s_waitcnt lgkmcnt(0)
	s_cmp_eq_u64 s[6:7], 0
	s_cbranch_scc1 .LBB255_3
; %bb.2:
	v_ashrrev_i32_e32 v1, 31, v27
	v_add_co_u32 v0, vcc_lo, s6, v27
	s_delay_alu instid0(VALU_DEP_2) | instskip(SKIP_3) | instid1(VALU_DEP_1)
	v_add_co_ci_u32_e32 v1, vcc_lo, s7, v1, vcc_lo
	global_load_u8 v0, v[0:1], off
	s_waitcnt vmcnt(0)
	v_and_b32_e32 v0, 1, v0
	v_cmp_eq_u32_e32 vcc_lo, 1, v0
	s_xor_b32 s2, vcc_lo, -1
	s_delay_alu instid0(SALU_CYCLE_1)
	s_or_not1_b32 s28, s2, exec_lo
	s_branch .LBB255_4
.LBB255_3:
	s_mov_b32 s28, -1
.LBB255_4:
	s_clause 0x1
	s_load_b64 s[26:27], s[0:1], 0x40
	s_load_b128 s[20:23], s[0:1], 0x30
	s_waitcnt lgkmcnt(0)
	v_mul_lo_u32 v0, v27, s27
	s_cmp_gt_i32 s20, 0
	s_delay_alu instid0(VALU_DEP_1) | instskip(NEXT) | instid1(VALU_DEP_1)
	v_ashrrev_i32_e32 v1, 31, v0
	v_lshlrev_b64 v[0:1], 1, v[0:1]
	s_delay_alu instid0(VALU_DEP_1) | instskip(NEXT) | instid1(VALU_DEP_2)
	v_add_co_u32 v9, vcc_lo, s4, v0
	v_add_co_ci_u32_e32 v10, vcc_lo, s5, v1, vcc_lo
	v_mul_lo_u32 v0, v27, s23
	s_clause 0x2
	global_load_b128 v[1:4], v[9:10], off
	global_load_b128 v[5:8], v[9:10], off offset:16
	global_load_b64 v[9:10], v[9:10], off offset:32
	v_add_nc_u32_e32 v11, s20, v0
	s_delay_alu instid0(VALU_DEP_1) | instskip(NEXT) | instid1(VALU_DEP_1)
	v_ashrrev_i32_e32 v12, 31, v11
	v_lshlrev_b64 v[11:12], 2, v[11:12]
	s_delay_alu instid0(VALU_DEP_1) | instskip(NEXT) | instid1(VALU_DEP_2)
	v_add_co_u32 v28, vcc_lo, s24, v11
	v_add_co_ci_u32_e32 v29, vcc_lo, s25, v12, vcc_lo
	s_waitcnt vmcnt(2)
	v_lshrrev_b32_e32 v12, 16, v2
	v_and_b32_e32 v2, 0xffff, v2
	s_waitcnt vmcnt(0)
	v_lshrrev_b32_e32 v33, 16, v9
	v_lshrrev_b32_e32 v19, 16, v6
	v_and_b32_e32 v6, 0xffff, v6
	v_lshrrev_b32_e32 v14, 16, v4
	v_cvt_f32_u32_e32 v22, v2
	v_cvt_f32_u32_e32 v2, v33
	v_and_b32_e32 v4, 0xffff, v4
	v_lshrrev_b32_e32 v34, 16, v10
	v_cvt_f32_u32_e32 v21, v12
	v_cvt_f32_u32_e32 v12, v6
	v_mul_f32_e32 v6, 0xbfb8aa3b, v2
	v_lshrrev_b32_e32 v11, 16, v1
	v_and_b32_e32 v9, 0xffff, v9
	v_cvt_f32_u32_e32 v17, v4
	v_cvt_f32_u32_e32 v4, v34
	v_rndne_f32_e32 v34, v6
	v_and_b32_e32 v1, 0xffff, v1
	v_lshrrev_b32_e32 v15, 16, v5
	v_and_b32_e32 v5, 0xffff, v5
	v_fma_f32 v33, 0xbfb8aa3b, v2, -v6
	v_sub_f32_e32 v6, v6, v34
	v_cvt_f32_u32_e32 v24, v1
	v_cvt_f32_u32_e32 v1, v9
	v_lshrrev_b32_e32 v30, 16, v7
	v_and_b32_e32 v7, 0xffff, v7
	v_lshrrev_b32_e32 v31, 16, v8
	v_cvt_f32_u32_e32 v16, v14
	v_cvt_f32_u32_e32 v14, v5
	v_mul_f32_e32 v5, 0xbfb8aa3b, v1
	v_and_b32_e32 v35, 0xffff, v10
	v_cvt_f32_u32_e32 v10, v7
	v_cvt_f32_u32_e32 v7, v31
	;; [unrolled: 1-line block ×3, first 2 shown]
	v_fma_f32 v31, 0xbfb8aa3b, v1, -v5
	v_lshrrev_b32_e32 v13, 16, v3
	v_fmac_f32_e32 v33, 0xb2a5705f, v2
	v_and_b32_e32 v3, 0xffff, v3
	v_cmp_lt_f32_e64 s2, v24, v23
	v_fmac_f32_e32 v31, 0xb2a5705f, v1
	v_and_b32_e32 v32, 0xffff, v8
	v_cvt_f32_u32_e32 v8, v30
	v_add_f32_e32 v6, v6, v33
	v_cndmask_b32_e64 v30, v24, v23, s2
	v_cvt_f32_u32_e32 v20, v3
	v_cvt_f32_u32_e32 v9, v32
	v_rndne_f32_e32 v32, v5
	v_cvt_f32_u32_e32 v3, v35
	v_cmp_lt_f32_e64 s3, v30, v22
	v_cvt_f32_u32_e32 v18, v13
	v_cvt_f32_u32_e32 v13, v15
	v_sub_f32_e32 v5, v5, v32
	v_mul_f32_e32 v15, 0xbfb8aa3b, v3
	v_cndmask_b32_e64 v30, v30, v22, s3
	v_exp_f32_e32 v6, v6
	v_cvt_f32_u32_e32 v11, v19
	v_add_f32_e32 v5, v5, v31
	v_cvt_i32_f32_e32 v31, v32
	v_cmp_lt_f32_e64 s4, v30, v21
	v_mul_f32_e32 v19, 0xbfb8aa3b, v4
	v_fma_f32 v35, 0xbfb8aa3b, v3, -v15
	v_exp_f32_e32 v5, v5
	v_rndne_f32_e32 v36, v15
	v_cndmask_b32_e64 v30, v30, v21, s4
	v_cvt_i32_f32_e32 v32, v34
	v_cmp_nlt_f32_e32 vcc_lo, 0x42ce8ed0, v1
	v_fma_f32 v37, 0xbfb8aa3b, v4, -v19
	v_rndne_f32_e32 v38, v19
	v_cmp_lt_f32_e64 s6, v30, v20
	v_fmac_f32_e32 v35, 0xb2a5705f, v3
	v_sub_f32_e32 v15, v15, v36
	v_ldexp_f32 v5, v5, v31
	v_ldexp_f32 v6, v6, v32
	v_cndmask_b32_e64 v30, v30, v20, s6
	v_fmac_f32_e32 v37, 0xb2a5705f, v4
	v_sub_f32_e32 v19, v19, v38
	v_cndmask_b32_e32 v5, 0, v5, vcc_lo
	v_cmp_nlt_f32_e32 vcc_lo, 0x42ce8ed0, v2
	v_cmp_lt_f32_e64 s7, v30, v18
	v_cvt_i32_f32_e32 v33, v36
	v_add_f32_e32 v19, v19, v37
	v_cvt_i32_f32_e32 v34, v38
	v_dual_cndmask_b32 v6, 0, v6 :: v_dual_add_f32 v15, v15, v35
	v_cndmask_b32_e64 v30, v30, v18, s7
	s_delay_alu instid0(VALU_DEP_4) | instskip(SKIP_1) | instid1(VALU_DEP_3)
	v_exp_f32_e32 v19, v19
	v_cmp_nlt_f32_e32 vcc_lo, 0x42ce8ed0, v3
	v_exp_f32_e32 v15, v15
	s_delay_alu instid0(VALU_DEP_2) | instskip(NEXT) | instid1(VALU_DEP_1)
	v_cmp_lt_f32_e64 s11, v30, v17
	v_cndmask_b32_e64 v30, v30, v17, s11
	s_waitcnt_depctr 0xfff
	v_ldexp_f32 v19, v19, v34
	v_ldexp_f32 v15, v15, v33
	v_cmp_lt_f32_e64 s5, v30, v16
	s_delay_alu instid0(VALU_DEP_2) | instskip(SKIP_1) | instid1(VALU_DEP_3)
	v_cndmask_b32_e32 v15, 0, v15, vcc_lo
	v_cmp_nlt_f32_e32 vcc_lo, 0x42ce8ed0, v4
	v_cndmask_b32_e64 v30, v30, v16, s5
	v_cndmask_b32_e32 v19, 0, v19, vcc_lo
	v_cmp_ngt_f32_e32 vcc_lo, 0xc2b17218, v1
	s_delay_alu instid0(VALU_DEP_3) | instskip(SKIP_2) | instid1(VALU_DEP_3)
	v_cmp_lt_f32_e64 s8, v30, v14
	v_cndmask_b32_e32 v1, 0x7f800000, v5, vcc_lo
	v_cmp_ngt_f32_e32 vcc_lo, 0xc2b17218, v2
	v_cndmask_b32_e64 v30, v30, v14, s8
	s_delay_alu instid0(VALU_DEP_3) | instskip(SKIP_1) | instid1(VALU_DEP_3)
	v_dual_add_f32 v1, 1.0, v1 :: v_dual_cndmask_b32 v2, 0x7f800000, v6
	v_cmp_ngt_f32_e32 vcc_lo, 0xc2b17218, v3
	v_cmp_lt_f32_e64 s12, v30, v13
	s_delay_alu instid0(VALU_DEP_3) | instskip(SKIP_2) | instid1(VALU_DEP_4)
	v_div_scale_f32 v6, null, v1, v1, 1.0
	v_cndmask_b32_e32 v3, 0x7f800000, v15, vcc_lo
	v_cmp_ngt_f32_e32 vcc_lo, 0xc2b17218, v4
	v_cndmask_b32_e64 v5, v30, v13, s12
	v_add_f32_e32 v2, 1.0, v2
	v_rcp_f32_e32 v31, v6
	v_add_f32_e32 v3, 1.0, v3
	v_cndmask_b32_e32 v4, 0x7f800000, v19, vcc_lo
	v_cmp_lt_f32_e64 s14, v5, v12
	v_div_scale_f32 v15, null, v2, v2, 1.0
	s_delay_alu instid0(VALU_DEP_4) | instskip(NEXT) | instid1(VALU_DEP_4)
	v_div_scale_f32 v19, null, v3, v3, 1.0
	v_add_f32_e32 v4, 1.0, v4
	s_delay_alu instid0(VALU_DEP_4) | instskip(NEXT) | instid1(VALU_DEP_4)
	v_cndmask_b32_e64 v5, v5, v12, s14
	v_rcp_f32_e32 v32, v15
	s_delay_alu instid0(VALU_DEP_3) | instskip(SKIP_4) | instid1(VALU_DEP_3)
	v_rcp_f32_e32 v33, v19
	v_fma_f32 v38, -v6, v31, 1.0
	v_div_scale_f32 v30, null, v4, v4, 1.0
	v_cmp_lt_f32_e64 s15, v5, v11
	v_div_scale_f32 v35, vcc_lo, 1.0, v1, 1.0
	v_rcp_f32_e32 v34, v30
	v_fmac_f32_e32 v31, v38, v31
	s_delay_alu instid0(VALU_DEP_3) | instskip(NEXT) | instid1(TRANS32_DEP_3)
	v_cndmask_b32_e64 v5, v5, v11, s15
	v_fma_f32 v39, -v15, v32, 1.0
	s_delay_alu instid0(TRANS32_DEP_2) | instskip(SKIP_1) | instid1(VALU_DEP_4)
	v_fma_f32 v40, -v19, v33, 1.0
	v_div_scale_f32 v36, s16, 1.0, v2, 1.0
	v_cmp_lt_f32_e64 s13, v5, v10
	s_delay_alu instid0(VALU_DEP_4) | instskip(SKIP_1) | instid1(TRANS32_DEP_1)
	v_fmac_f32_e32 v32, v39, v32
	v_div_scale_f32 v37, s17, 1.0, v3, 1.0
	v_fma_f32 v41, -v30, v34, 1.0
	v_dual_fmac_f32 v33, v40, v33 :: v_dual_mul_f32 v38, v35, v31
	v_div_scale_f32 v42, s18, 1.0, v4, 1.0
	s_delay_alu instid0(VALU_DEP_3) | instskip(SKIP_1) | instid1(VALU_DEP_4)
	v_fmac_f32_e32 v34, v41, v34
	v_cndmask_b32_e64 v5, v5, v10, s13
	v_dual_mul_f32 v39, v36, v32 :: v_dual_mul_f32 v40, v37, v33
	v_fma_f32 v43, -v6, v38, v35
	s_delay_alu instid0(VALU_DEP_4) | instskip(NEXT) | instid1(VALU_DEP_4)
	v_mul_f32_e32 v41, v42, v34
	v_cmp_lt_f32_e64 s10, v5, v8
	s_delay_alu instid0(VALU_DEP_4) | instskip(SKIP_4) | instid1(VALU_DEP_4)
	v_fma_f32 v44, -v15, v39, v36
	v_fma_f32 v45, -v19, v40, v37
	v_fmac_f32_e32 v38, v43, v31
	v_fma_f32 v46, -v30, v41, v42
	v_cndmask_b32_e64 v5, v5, v8, s10
	v_dual_fmac_f32 v39, v44, v32 :: v_dual_fmac_f32 v40, v45, v33
	s_delay_alu instid0(VALU_DEP_4) | instskip(NEXT) | instid1(VALU_DEP_4)
	v_fma_f32 v6, -v6, v38, v35
	v_fmac_f32_e32 v41, v46, v34
	s_delay_alu instid0(VALU_DEP_4) | instskip(NEXT) | instid1(VALU_DEP_4)
	v_cmp_lt_f32_e64 s9, v5, v9
	v_fma_f32 v15, -v15, v39, v36
	v_fma_f32 v19, -v19, v40, v37
	v_div_fmas_f32 v6, v6, v31, v38
	s_mov_b32 vcc_lo, s16
	v_cndmask_b32_e64 v5, v5, v9, s9
	v_fma_f32 v30, -v30, v41, v42
	v_div_fmas_f32 v31, v15, v32, v39
	s_mov_b32 vcc_lo, s17
	v_div_fixup_f32 v1, v6, v1, 1.0
	v_div_fmas_f32 v19, v19, v33, v40
	s_mov_b32 vcc_lo, s18
	v_div_fixup_f32 v2, v31, v2, 1.0
	v_div_fmas_f32 v30, v30, v34, v41
	v_cmp_lt_f32_e32 vcc_lo, v5, v7
	v_div_fixup_f32 v3, v19, v3, 1.0
	v_mov_b32_e32 v19, 0
	s_cselect_b32 s16, -1, 0
	v_div_fixup_f32 v4, v30, v4, 1.0
	v_cndmask_b32_e32 v15, v5, v7, vcc_lo
	s_cmp_lt_i32 s20, 1
	global_store_b128 v[28:29], v[1:4], off
	s_cbranch_scc1 .LBB255_8
; %bb.5:
	v_cndmask_b32_e64 v1, 0, 1, s2
	v_sub_f32_e32 v19, v15, v15
	v_mul_lo_u32 v2, v27, s26
	v_mul_lo_u32 v28, v27, s20
	s_delay_alu instid0(VALU_DEP_4) | instskip(NEXT) | instid1(VALU_DEP_4)
	v_cndmask_b32_e64 v1, v1, 2, s3
	v_mul_f32_e32 v3, 0x3fb8aa3b, v19
	s_delay_alu instid0(VALU_DEP_2) | instskip(NEXT) | instid1(VALU_DEP_2)
	v_cndmask_b32_e64 v1, v1, 3, s4
	v_rndne_f32_e32 v4, v3
	v_fma_f32 v5, 0x3fb8aa3b, v19, -v3
	s_delay_alu instid0(VALU_DEP_3) | instskip(NEXT) | instid1(VALU_DEP_3)
	v_cndmask_b32_e64 v1, v1, 4, s6
	v_sub_f32_e32 v3, v3, v4
	s_delay_alu instid0(VALU_DEP_3) | instskip(SKIP_1) | instid1(VALU_DEP_4)
	v_fmac_f32_e32 v5, 0x32a5705f, v19
	v_cvt_i32_f32_e32 v32, v4
	v_cndmask_b32_e64 v1, v1, 5, s7
	s_delay_alu instid0(VALU_DEP_3) | instskip(SKIP_1) | instid1(VALU_DEP_3)
	v_add_f32_e32 v30, v3, v5
	v_ashrrev_i32_e32 v3, 31, v2
	v_cndmask_b32_e64 v1, v1, 6, s11
	s_delay_alu instid0(VALU_DEP_3) | instskip(NEXT) | instid1(VALU_DEP_1)
	v_exp_f32_e32 v30, v30
	v_cndmask_b32_e64 v1, v1, 7, s5
	s_load_b128 s[4:7], s[0:1], 0x20
	s_delay_alu instid0(VALU_DEP_1) | instskip(SKIP_3) | instid1(VALU_DEP_1)
	v_cndmask_b32_e64 v1, v1, 8, s8
	s_waitcnt_depctr 0xfff
	v_ldexp_f32 v30, v30, v32
	v_cndmask_b32_e64 v1, v1, 9, s12
	v_cndmask_b32_e64 v6, v1, 10, s14
	v_ashrrev_i32_e32 v1, 31, v0
	s_delay_alu instid0(VALU_DEP_2) | instskip(NEXT) | instid1(VALU_DEP_2)
	v_cndmask_b32_e64 v29, v6, 11, s15
	v_lshlrev_b64 v[5:6], 2, v[0:1]
	v_lshlrev_b64 v[1:2], 2, v[2:3]
	s_delay_alu instid0(VALU_DEP_3) | instskip(SKIP_1) | instid1(VALU_DEP_4)
	v_cndmask_b32_e64 v31, v29, 12, s13
	v_ashrrev_i32_e32 v29, 31, v28
	v_add_co_u32 v5, s0, s24, v5
	s_delay_alu instid0(VALU_DEP_1) | instskip(NEXT) | instid1(VALU_DEP_4)
	v_add_co_ci_u32_e64 v6, s0, s25, v6, s0
	v_cndmask_b32_e64 v31, v31, 13, s10
	s_delay_alu instid0(VALU_DEP_4) | instskip(SKIP_2) | instid1(VALU_DEP_1)
	v_lshlrev_b64 v[3:4], 2, v[28:29]
	s_waitcnt lgkmcnt(0)
	v_add_co_u32 v28, s0, s4, v1
	v_add_co_ci_u32_e64 v29, s0, s5, v2, s0
	v_cndmask_b32_e64 v31, v31, 14, s9
	v_cmp_ngt_f32_e64 s0, 0xc2ce8ed0, v19
	s_delay_alu instid0(VALU_DEP_2) | instskip(NEXT) | instid1(VALU_DEP_2)
	v_cndmask_b32_e64 v33, v31, 15, vcc_lo
	v_cndmask_b32_e64 v32, 0, v30, s0
	v_add_co_u32 v30, vcc_lo, s6, v3
	v_add_co_ci_u32_e32 v31, vcc_lo, s7, v4, vcc_lo
	s_delay_alu instid0(VALU_DEP_4) | instskip(SKIP_2) | instid1(VALU_DEP_3)
	v_cmp_ne_u32_e64 s1, 15, v33
	v_cmp_nlt_f32_e32 vcc_lo, 0x42b17218, v19
	v_cmp_gt_i32_e64 s0, s22, v33
	v_cndmask_b32_e64 v7, 0xff800000, v7, s1
	v_cndmask_b32_e32 v19, 0x7f800000, v32, vcc_lo
	v_cmp_ne_u32_e64 s1, 14, v33
	v_cmp_le_i32_e32 vcc_lo, s21, v33
	v_subrev_nc_u32_e32 v32, s21, v33
	global_store_b32 v[5:6], v19, off
	v_cndmask_b32_e64 v9, 0xff800000, v9, s1
	v_cmp_ne_u32_e64 s1, 13, v33
	s_and_b32 s0, vcc_lo, s0
	v_cmp_ne_u32_e32 vcc_lo, 3, v33
	s_delay_alu instid0(VALU_DEP_2)
	v_cndmask_b32_e64 v8, 0xff800000, v8, s1
	v_cmp_ne_u32_e64 s1, 12, v33
	v_cndmask_b32_e32 v21, 0xff800000, v21, vcc_lo
	s_and_b32 vcc_lo, s28, s0
	s_cmp_eq_u32 s20, 1
	v_cndmask_b32_e32 v32, 16, v32, vcc_lo
	v_cndmask_b32_e64 v10, 0xff800000, v10, s1
	v_cmp_ne_u32_e64 s1, 11, v33
	v_cmp_ne_u32_e32 vcc_lo, 2, v33
	global_store_b32 v[28:29], v32, off
	global_store_b32 v[30:31], v27, off
	v_cndmask_b32_e64 v11, 0xff800000, v11, s1
	v_cmp_ne_u32_e64 s1, 10, v33
	v_cndmask_b32_e32 v22, 0xff800000, v22, vcc_lo
	v_cmp_ne_u32_e32 vcc_lo, 1, v33
	s_delay_alu instid0(VALU_DEP_3) | instskip(SKIP_3) | instid1(VALU_DEP_3)
	v_cndmask_b32_e64 v12, 0xff800000, v12, s1
	v_cmp_ne_u32_e64 s1, 9, v33
	v_cndmask_b32_e32 v23, 0xff800000, v23, vcc_lo
	v_cmp_ne_u32_e32 vcc_lo, 0, v33
	v_cndmask_b32_e64 v13, 0xff800000, v13, s1
	v_cmp_ne_u32_e64 s1, 8, v33
	v_cndmask_b32_e32 v24, 0xff800000, v24, vcc_lo
	s_delay_alu instid0(VALU_DEP_2) | instskip(SKIP_1) | instid1(VALU_DEP_1)
	v_cndmask_b32_e64 v14, 0xff800000, v14, s1
	v_cmp_ne_u32_e64 s1, 7, v33
	v_cndmask_b32_e64 v16, 0xff800000, v16, s1
	v_cmp_ne_u32_e64 s1, 6, v33
	s_delay_alu instid0(VALU_DEP_1) | instskip(SKIP_1) | instid1(VALU_DEP_1)
	v_cndmask_b32_e64 v17, 0xff800000, v17, s1
	v_cmp_ne_u32_e64 s1, 5, v33
	v_cndmask_b32_e64 v18, 0xff800000, v18, s1
	v_cmp_ne_u32_e64 s1, 4, v33
	s_delay_alu instid0(VALU_DEP_1)
	v_cndmask_b32_e64 v20, 0xff800000, v20, s1
	s_cbranch_scc1 .LBB255_8
; %bb.6:
	v_add_co_u32 v3, vcc_lo, v3, s6
	v_add_co_ci_u32_e32 v4, vcc_lo, s7, v4, vcc_lo
	v_add_co_u32 v27, vcc_lo, v1, s4
	v_add_co_ci_u32_e32 v28, vcc_lo, s5, v2, vcc_lo
	s_delay_alu instid0(VALU_DEP_4) | instskip(NEXT) | instid1(VALU_DEP_4)
	v_add_co_u32 v1, vcc_lo, v3, 4
	v_add_co_ci_u32_e32 v2, vcc_lo, 0, v4, vcc_lo
	s_delay_alu instid0(VALU_DEP_4) | instskip(NEXT) | instid1(VALU_DEP_4)
	v_add_co_u32 v3, vcc_lo, v27, 4
	v_add_co_ci_u32_e32 v4, vcc_lo, 0, v28, vcc_lo
	s_add_i32 s29, s29, s19
	v_add_co_u32 v5, vcc_lo, v5, 4
	v_add_co_ci_u32_e32 v6, vcc_lo, 0, v6, vcc_lo
	v_add3_u32 v25, s29, v26, v25
	s_add_i32 s2, s20, -1
.LBB255_7:                              ; =>This Inner Loop Header: Depth=1
	v_cmp_gt_f32_e32 vcc_lo, v23, v24
	s_add_i32 s2, s2, -1
	v_cndmask_b32_e32 v26, v24, v23, vcc_lo
	v_cndmask_b32_e64 v27, 0, 1, vcc_lo
	s_delay_alu instid0(VALU_DEP_2) | instskip(SKIP_1) | instid1(VALU_DEP_3)
	v_cmp_gt_f32_e32 vcc_lo, v22, v26
	v_cndmask_b32_e32 v26, v26, v22, vcc_lo
	v_cndmask_b32_e64 v27, v27, 2, vcc_lo
	s_delay_alu instid0(VALU_DEP_2) | instskip(SKIP_1) | instid1(VALU_DEP_3)
	v_cmp_gt_f32_e32 vcc_lo, v21, v26
	;; [unrolled: 4-line block ×13, first 2 shown]
	v_cndmask_b32_e32 v26, v26, v9, vcc_lo
	v_cndmask_b32_e64 v27, v27, 14, vcc_lo
	s_delay_alu instid0(VALU_DEP_2) | instskip(NEXT) | instid1(VALU_DEP_2)
	v_cmp_gt_f32_e32 vcc_lo, v7, v26
	v_cndmask_b32_e64 v27, v27, 15, vcc_lo
	v_cndmask_b32_e32 v26, v26, v7, vcc_lo
	s_delay_alu instid0(VALU_DEP_2) | instskip(NEXT) | instid1(VALU_DEP_2)
	v_cmp_ne_u32_e64 s1, 15, v27
	v_sub_f32_e32 v26, v26, v15
	v_cmp_le_i32_e32 vcc_lo, s21, v27
	v_cmp_gt_i32_e64 s0, s22, v27
	v_subrev_nc_u32_e32 v29, s21, v27
	v_cndmask_b32_e64 v7, 0xff800000, v7, s1
	v_cmp_ne_u32_e64 s1, 14, v27
	v_mul_f32_e32 v28, 0x3fb8aa3b, v26
	s_and_b32 s0, vcc_lo, s0
	s_delay_alu instid0(SALU_CYCLE_1) | instskip(NEXT) | instid1(VALU_DEP_2)
	s_and_b32 vcc_lo, s28, s0
	v_cndmask_b32_e64 v9, 0xff800000, v9, s1
	v_cmp_ne_u32_e64 s1, 13, v27
	v_rndne_f32_e32 v30, v28
	v_cndmask_b32_e32 v29, 16, v29, vcc_lo
	global_store_b32 v[3:4], v29, off
	global_store_b32 v[1:2], v25, off
	v_add_nc_u32_e32 v25, s19, v25
	v_cndmask_b32_e64 v8, 0xff800000, v8, s1
	v_cmp_ne_u32_e64 s1, 12, v27
	v_add_co_u32 v1, vcc_lo, v1, 4
	v_add_co_ci_u32_e32 v2, vcc_lo, 0, v2, vcc_lo
	s_delay_alu instid0(VALU_DEP_3) | instskip(SKIP_3) | instid1(VALU_DEP_3)
	v_cndmask_b32_e64 v10, 0xff800000, v10, s1
	v_cmp_ne_u32_e64 s1, 11, v27
	v_add_co_u32 v3, vcc_lo, v3, 4
	v_add_co_ci_u32_e32 v4, vcc_lo, 0, v4, vcc_lo
	v_cndmask_b32_e64 v11, 0xff800000, v11, s1
	v_cmp_ne_u32_e64 s1, 10, v27
	v_cmp_ngt_f32_e32 vcc_lo, 0xc2ce8ed0, v26
	s_cmp_eq_u32 s2, 0
	s_delay_alu instid0(VALU_DEP_2) | instskip(SKIP_1) | instid1(VALU_DEP_1)
	v_cndmask_b32_e64 v12, 0xff800000, v12, s1
	v_cmp_ne_u32_e64 s1, 9, v27
	v_cndmask_b32_e64 v13, 0xff800000, v13, s1
	v_cmp_ne_u32_e64 s1, 8, v27
	s_delay_alu instid0(VALU_DEP_1) | instskip(SKIP_1) | instid1(VALU_DEP_1)
	v_cndmask_b32_e64 v14, 0xff800000, v14, s1
	v_cmp_ne_u32_e64 s1, 7, v27
	v_cndmask_b32_e64 v16, 0xff800000, v16, s1
	v_cmp_ne_u32_e64 s1, 6, v27
	s_delay_alu instid0(VALU_DEP_1) | instskip(SKIP_1) | instid1(VALU_DEP_1)
	;; [unrolled: 5-line block ×4, first 2 shown]
	v_cndmask_b32_e64 v22, 0xff800000, v22, s1
	v_cmp_ne_u32_e64 s1, 1, v27
	v_cndmask_b32_e64 v23, 0xff800000, v23, s1
	v_cmp_ne_u32_e64 s1, 0, v27
	v_fma_f32 v27, 0x3fb8aa3b, v26, -v28
	v_sub_f32_e32 v28, v28, v30
	v_cvt_i32_f32_e32 v30, v30
	s_delay_alu instid0(VALU_DEP_4) | instskip(NEXT) | instid1(VALU_DEP_4)
	v_cndmask_b32_e64 v24, 0xff800000, v24, s1
	v_fmac_f32_e32 v27, 0x32a5705f, v26
	s_delay_alu instid0(VALU_DEP_1) | instskip(NEXT) | instid1(VALU_DEP_1)
	v_add_f32_e32 v27, v28, v27
	v_exp_f32_e32 v27, v27
	s_waitcnt_depctr 0xfff
	v_ldexp_f32 v27, v27, v30
	s_delay_alu instid0(VALU_DEP_1) | instskip(SKIP_1) | instid1(VALU_DEP_2)
	v_cndmask_b32_e32 v27, 0, v27, vcc_lo
	v_cmp_nlt_f32_e32 vcc_lo, 0x42b17218, v26
	v_cndmask_b32_e32 v26, 0x7f800000, v27, vcc_lo
	global_store_b32 v[5:6], v26, off
	v_add_co_u32 v5, vcc_lo, v5, 4
	v_add_f32_e32 v19, v19, v26
	v_add_co_ci_u32_e32 v6, vcc_lo, 0, v6, vcc_lo
	s_cbranch_scc0 .LBB255_7
.LBB255_8:
	v_sub_f32_e32 v6, v21, v15
	v_sub_f32_e32 v1, v24, v15
	;; [unrolled: 1-line block ×4, first 2 shown]
	s_delay_alu instid0(VALU_DEP_4) | instskip(NEXT) | instid1(VALU_DEP_4)
	v_dual_sub_f32 v17, v17, v15 :: v_dual_mul_f32 v26, 0x3fb8aa3b, v6
	v_dual_sub_f32 v2, v23, v15 :: v_dual_mul_f32 v3, 0x3fb8aa3b, v1
	v_sub_f32_e32 v4, v22, v15
	v_cmp_ngt_f32_e32 vcc_lo, 0xc2ce8ed0, v1
	s_delay_alu instid0(VALU_DEP_4) | instskip(NEXT) | instid1(VALU_DEP_4)
	v_rndne_f32_e32 v29, v26
	v_mul_f32_e32 v5, 0x3fb8aa3b, v2
	v_fma_f32 v21, 0x3fb8aa3b, v1, -v3
	v_rndne_f32_e32 v22, v3
	v_dual_sub_f32 v20, v20, v15 :: v_dual_mul_f32 v25, 0x3fb8aa3b, v4
	s_delay_alu instid0(VALU_DEP_4) | instskip(NEXT) | instid1(VALU_DEP_4)
	v_fma_f32 v23, 0x3fb8aa3b, v2, -v5
	v_fmac_f32_e32 v21, 0x32a5705f, v1
	s_delay_alu instid0(VALU_DEP_4)
	v_sub_f32_e32 v3, v3, v22
	v_rndne_f32_e32 v24, v5
	v_fma_f32 v28, 0x3fb8aa3b, v6, -v26
	v_cvt_i32_f32_e32 v22, v22
	v_sub_f32_e32 v11, v11, v15
	v_add_f32_e32 v3, v3, v21
	s_delay_alu instid0(VALU_DEP_4) | instskip(SKIP_2) | instid1(VALU_DEP_4)
	v_dual_sub_f32 v5, v5, v24 :: v_dual_fmac_f32 v28, 0x32a5705f, v6
	v_cvt_i32_f32_e32 v24, v24
	v_fma_f32 v21, 0x3fb8aa3b, v4, -v25
	v_exp_f32_e32 v3, v3
	v_sub_f32_e32 v12, v12, v15
	v_sub_f32_e32 v9, v9, v15
	s_delay_alu instid0(VALU_DEP_3) | instskip(SKIP_4) | instid1(VALU_DEP_1)
	v_dual_sub_f32 v8, v8, v15 :: v_dual_fmac_f32 v21, 0x32a5705f, v4
	v_sub_f32_e32 v7, v7, v15
	s_waitcnt_depctr 0xfff
	v_ldexp_f32 v3, v3, v22
	v_dual_sub_f32 v22, v26, v29 :: v_dual_fmac_f32 v23, 0x32a5705f, v2
	v_dual_cndmask_b32 v3, 0, v3 :: v_dual_add_f32 v22, v22, v28
	s_delay_alu instid0(VALU_DEP_2) | instskip(SKIP_2) | instid1(VALU_DEP_4)
	v_add_f32_e32 v5, v5, v23
	v_cmp_ngt_f32_e32 vcc_lo, 0xc2ce8ed0, v2
	v_rndne_f32_e32 v23, v25
	v_exp_f32_e32 v22, v22
	s_delay_alu instid0(VALU_DEP_3) | instskip(SKIP_2) | instid1(VALU_DEP_1)
	v_exp_f32_e32 v5, v5
	s_waitcnt_depctr 0xfff
	v_ldexp_f32 v5, v5, v24
	v_cndmask_b32_e32 v5, 0, v5, vcc_lo
	v_cmp_nlt_f32_e32 vcc_lo, 0x42b17218, v1
	v_cndmask_b32_e32 v1, 0x7f800000, v3, vcc_lo
	v_cmp_nlt_f32_e32 vcc_lo, 0x42b17218, v2
	v_sub_f32_e32 v25, v25, v23
	v_cvt_i32_f32_e32 v23, v23
	v_cndmask_b32_e32 v2, 0x7f800000, v5, vcc_lo
	s_delay_alu instid0(VALU_DEP_3) | instskip(SKIP_1) | instid1(VALU_DEP_3)
	v_add_f32_e32 v21, v25, v21
	v_cmp_ngt_f32_e32 vcc_lo, 0xc2ce8ed0, v4
	v_add_f32_e32 v1, v1, v2
	s_delay_alu instid0(VALU_DEP_3) | instskip(SKIP_2) | instid1(VALU_DEP_1)
	v_exp_f32_e32 v21, v21
	s_waitcnt_depctr 0xfff
	v_ldexp_f32 v5, v21, v23
	v_dual_mul_f32 v27, 0x3fb8aa3b, v20 :: v_dual_cndmask_b32 v2, 0, v5
	v_cvt_i32_f32_e32 v5, v29
	v_cmp_nlt_f32_e32 vcc_lo, 0x42b17218, v4
	s_delay_alu instid0(VALU_DEP_3) | instskip(SKIP_1) | instid1(VALU_DEP_4)
	v_fma_f32 v3, 0x3fb8aa3b, v20, -v27
	v_rndne_f32_e32 v21, v27
	v_ldexp_f32 v4, v22, v5
	v_cndmask_b32_e32 v2, 0x7f800000, v2, vcc_lo
	v_cmp_ngt_f32_e32 vcc_lo, 0xc2ce8ed0, v6
	v_fmac_f32_e32 v3, 0x32a5705f, v20
	v_mul_f32_e32 v5, 0x3fb8aa3b, v18
	s_delay_alu instid0(VALU_DEP_4) | instskip(SKIP_2) | instid1(VALU_DEP_4)
	v_dual_add_f32 v1, v1, v2 :: v_dual_cndmask_b32 v2, 0, v4
	v_cmp_nlt_f32_e32 vcc_lo, 0x42b17218, v6
	v_sub_f32_e32 v23, v27, v21
	v_fma_f32 v4, 0x3fb8aa3b, v18, -v5
	v_rndne_f32_e32 v22, v5
	v_cvt_i32_f32_e32 v6, v21
	s_delay_alu instid0(VALU_DEP_4) | instskip(NEXT) | instid1(VALU_DEP_4)
	v_dual_cndmask_b32 v2, 0x7f800000, v2 :: v_dual_add_f32 v3, v23, v3
	v_fmac_f32_e32 v4, 0x32a5705f, v18
	s_delay_alu instid0(VALU_DEP_4) | instskip(SKIP_1) | instid1(VALU_DEP_4)
	v_sub_f32_e32 v5, v5, v22
	v_mul_f32_e32 v21, 0x3fb8aa3b, v17
	v_add_f32_e32 v1, v1, v2
	v_exp_f32_e32 v3, v3
	v_cmp_ngt_f32_e32 vcc_lo, 0xc2ce8ed0, v20
	s_waitcnt_depctr 0xfff
	v_ldexp_f32 v2, v3, v6
	v_add_f32_e32 v3, v5, v4
	v_fma_f32 v4, 0x3fb8aa3b, v17, -v21
	v_rndne_f32_e32 v5, v21
	s_delay_alu instid0(VALU_DEP_4) | instskip(NEXT) | instid1(VALU_DEP_4)
	v_cndmask_b32_e32 v2, 0, v2, vcc_lo
	v_exp_f32_e32 v3, v3
	s_delay_alu instid0(VALU_DEP_3) | instskip(NEXT) | instid1(VALU_DEP_3)
	v_fmac_f32_e32 v4, 0x32a5705f, v17
	v_sub_f32_e32 v6, v21, v5
	v_cmp_nlt_f32_e32 vcc_lo, 0x42b17218, v20
	v_cvt_i32_f32_e32 v20, v22
	v_cvt_i32_f32_e32 v5, v5
	s_delay_alu instid0(VALU_DEP_4) | instskip(SKIP_3) | instid1(VALU_DEP_3)
	v_add_f32_e32 v4, v6, v4
	v_cndmask_b32_e32 v2, 0x7f800000, v2, vcc_lo
	v_mul_f32_e32 v6, 0x3fb8aa3b, v16
	v_cmp_ngt_f32_e32 vcc_lo, 0xc2ce8ed0, v18
	v_add_f32_e32 v1, v1, v2
	v_ldexp_f32 v2, v3, v20
	v_exp_f32_e32 v3, v4
	v_fma_f32 v4, 0x3fb8aa3b, v16, -v6
	v_rndne_f32_e32 v20, v6
	s_delay_alu instid0(VALU_DEP_3) | instskip(SKIP_1) | instid1(VALU_DEP_4)
	v_cndmask_b32_e32 v2, 0, v2, vcc_lo
	v_cmp_nlt_f32_e32 vcc_lo, 0x42b17218, v18
	v_fmac_f32_e32 v4, 0x32a5705f, v16
	s_delay_alu instid0(VALU_DEP_4) | instskip(NEXT) | instid1(VALU_DEP_4)
	v_sub_f32_e32 v6, v6, v20
	v_cndmask_b32_e32 v2, 0x7f800000, v2, vcc_lo
	s_delay_alu instid0(TRANS32_DEP_1) | instskip(SKIP_1) | instid1(VALU_DEP_3)
	v_ldexp_f32 v3, v3, v5
	v_cmp_ngt_f32_e32 vcc_lo, 0xc2ce8ed0, v17
	v_dual_add_f32 v4, v6, v4 :: v_dual_add_f32 v1, v1, v2
	s_delay_alu instid0(VALU_DEP_3) | instskip(SKIP_2) | instid1(VALU_DEP_4)
	v_cndmask_b32_e32 v2, 0, v3, vcc_lo
	v_cmp_nlt_f32_e32 vcc_lo, 0x42b17218, v17
	v_sub_f32_e32 v5, v14, v15
	v_exp_f32_e32 v3, v4
	s_delay_alu instid0(VALU_DEP_3) | instskip(NEXT) | instid1(VALU_DEP_2)
	v_cndmask_b32_e32 v2, 0x7f800000, v2, vcc_lo
	v_mul_f32_e32 v4, 0x3fb8aa3b, v5
	v_cmp_ngt_f32_e32 vcc_lo, 0xc2ce8ed0, v16
	s_delay_alu instid0(VALU_DEP_2)
	v_fma_f32 v14, 0x3fb8aa3b, v5, -v4
	v_rndne_f32_e32 v17, v4
	v_sub_f32_e32 v6, v13, v15
	v_cvt_i32_f32_e32 v13, v20
	v_mul_f32_e32 v20, 0x3fb8aa3b, v11
	v_dual_fmac_f32 v14, 0x32a5705f, v5 :: v_dual_add_f32 v1, v1, v2
	s_delay_alu instid0(VALU_DEP_3) | instskip(SKIP_2) | instid1(VALU_DEP_3)
	v_ldexp_f32 v2, v3, v13
	v_dual_sub_f32 v3, v4, v17 :: v_dual_mul_f32 v18, 0x3fb8aa3b, v6
	v_cvt_i32_f32_e32 v17, v17
	v_cndmask_b32_e32 v2, 0, v2, vcc_lo
	v_cmp_nlt_f32_e32 vcc_lo, 0x42b17218, v16
	s_delay_alu instid0(VALU_DEP_4) | instskip(SKIP_3) | instid1(VALU_DEP_4)
	v_rndne_f32_e32 v13, v18
	v_add_f32_e32 v3, v3, v14
	v_fma_f32 v4, 0x3fb8aa3b, v6, -v18
	v_cndmask_b32_e32 v2, 0x7f800000, v2, vcc_lo
	v_sub_f32_e32 v14, v18, v13
	s_delay_alu instid0(VALU_DEP_4) | instskip(SKIP_3) | instid1(VALU_DEP_3)
	v_exp_f32_e32 v3, v3
	v_mul_f32_e32 v18, 0x3fb8aa3b, v12
	v_cmp_ngt_f32_e32 vcc_lo, 0xc2ce8ed0, v5
	v_add_f32_e32 v1, v1, v2
	v_rndne_f32_e32 v16, v18
	s_waitcnt_depctr 0xfff
	v_ldexp_f32 v2, v3, v17
	v_cvt_i32_f32_e32 v3, v13
	s_delay_alu instid0(VALU_DEP_2) | instskip(SKIP_2) | instid1(VALU_DEP_3)
	v_cndmask_b32_e32 v2, 0, v2, vcc_lo
	v_cmp_nlt_f32_e32 vcc_lo, 0x42b17218, v5
	v_cvt_i32_f32_e32 v5, v16
	v_cndmask_b32_e32 v2, 0x7f800000, v2, vcc_lo
	v_cmp_ngt_f32_e32 vcc_lo, 0xc2ce8ed0, v6
	v_fmac_f32_e32 v4, 0x32a5705f, v6
	s_delay_alu instid0(VALU_DEP_1) | instskip(SKIP_1) | instid1(VALU_DEP_2)
	v_dual_add_f32 v1, v1, v2 :: v_dual_add_f32 v4, v14, v4
	v_fma_f32 v14, 0x3fb8aa3b, v12, -v18
	v_exp_f32_e32 v4, v4
	s_delay_alu instid0(VALU_DEP_1) | instskip(SKIP_2) | instid1(VALU_DEP_1)
	v_fmac_f32_e32 v14, 0x32a5705f, v12
	s_waitcnt_depctr 0xfff
	v_ldexp_f32 v3, v4, v3
	v_cndmask_b32_e32 v3, 0, v3, vcc_lo
	v_cmp_nlt_f32_e32 vcc_lo, 0x42b17218, v6
	s_delay_alu instid0(VALU_DEP_2) | instskip(NEXT) | instid1(VALU_DEP_1)
	v_dual_sub_f32 v18, v18, v16 :: v_dual_cndmask_b32 v3, 0x7f800000, v3
	v_add_f32_e32 v13, v18, v14
	v_cmp_ngt_f32_e32 vcc_lo, 0xc2ce8ed0, v12
	v_fma_f32 v14, 0x3fb8aa3b, v11, -v20
	v_rndne_f32_e32 v17, v20
	v_add_f32_e32 v1, v1, v3
	v_exp_f32_e32 v4, v13
	s_delay_alu instid0(VALU_DEP_2) | instskip(SKIP_3) | instid1(VALU_DEP_1)
	v_sub_f32_e32 v13, v20, v17
	v_cvt_i32_f32_e32 v3, v17
	s_waitcnt_depctr 0xfff
	v_ldexp_f32 v2, v4, v5
	v_dual_sub_f32 v5, v10, v15 :: v_dual_cndmask_b32 v2, 0, v2
	v_cmp_nlt_f32_e32 vcc_lo, 0x42b17218, v12
	s_delay_alu instid0(VALU_DEP_2) | instskip(NEXT) | instid1(VALU_DEP_3)
	v_mul_f32_e32 v6, 0x3fb8aa3b, v5
	v_cndmask_b32_e32 v2, 0x7f800000, v2, vcc_lo
	v_fmac_f32_e32 v14, 0x32a5705f, v11
	v_cmp_ngt_f32_e32 vcc_lo, 0xc2ce8ed0, v11
	s_delay_alu instid0(VALU_DEP_3) | instskip(NEXT) | instid1(VALU_DEP_3)
	v_add_f32_e32 v1, v1, v2
	v_add_f32_e32 v13, v13, v14
	v_fma_f32 v2, 0x3fb8aa3b, v5, -v6
	s_delay_alu instid0(VALU_DEP_2) | instskip(SKIP_3) | instid1(VALU_DEP_2)
	v_exp_f32_e32 v4, v13
	s_waitcnt_depctr 0xfff
	v_ldexp_f32 v3, v4, v3
	v_rndne_f32_e32 v4, v6
	v_cndmask_b32_e32 v3, 0, v3, vcc_lo
	v_cmp_nlt_f32_e32 vcc_lo, 0x42b17218, v11
	s_delay_alu instid0(VALU_DEP_3)
	v_dual_sub_f32 v6, v6, v4 :: v_dual_mul_f32 v11, 0x3fb8aa3b, v9
	v_mul_f32_e32 v10, 0x3fb8aa3b, v8
	v_cvt_i32_f32_e32 v4, v4
	v_cndmask_b32_e32 v3, 0x7f800000, v3, vcc_lo
	v_cmp_ngt_f32_e32 vcc_lo, 0xc2ce8ed0, v5
	v_rndne_f32_e32 v13, v11
	v_fma_f32 v12, 0x3fb8aa3b, v9, -v11
	s_delay_alu instid0(VALU_DEP_4) | instskip(SKIP_3) | instid1(VALU_DEP_3)
	v_add_f32_e32 v1, v1, v3
	v_fma_f32 v3, 0x3fb8aa3b, v8, -v10
	v_fmac_f32_e32 v2, 0x32a5705f, v5
	v_mul_f32_e32 v14, 0x3fb8aa3b, v7
	v_dual_fmac_f32 v12, 0x32a5705f, v9 :: v_dual_fmac_f32 v3, 0x32a5705f, v8
	s_delay_alu instid0(VALU_DEP_3) | instskip(SKIP_1) | instid1(VALU_DEP_1)
	v_add_f32_e32 v2, v6, v2
	v_rndne_f32_e32 v6, v10
	v_sub_f32_e32 v10, v10, v6
	v_cvt_i32_f32_e32 v6, v6
	s_delay_alu instid0(VALU_DEP_2) | instskip(SKIP_1) | instid1(VALU_DEP_2)
	v_dual_add_f32 v3, v10, v3 :: v_dual_sub_f32 v10, v11, v13
	v_fma_f32 v11, 0x3fb8aa3b, v7, -v14
	v_exp_f32_e32 v3, v3
	s_delay_alu instid0(VALU_DEP_1) | instskip(SKIP_4) | instid1(VALU_DEP_1)
	v_fmac_f32_e32 v11, 0x32a5705f, v7
	v_exp_f32_e32 v2, v2
	s_waitcnt_depctr 0xfff
	v_ldexp_f32 v3, v3, v6
	v_ldexp_f32 v2, v2, v4
	v_cndmask_b32_e32 v2, 0, v2, vcc_lo
	v_cmp_nlt_f32_e32 vcc_lo, 0x42b17218, v5
	v_cvt_i32_f32_e32 v5, v13
	s_delay_alu instid0(VALU_DEP_3) | instskip(SKIP_1) | instid1(VALU_DEP_2)
	v_cndmask_b32_e32 v2, 0x7f800000, v2, vcc_lo
	v_cmp_ngt_f32_e32 vcc_lo, 0xc2ce8ed0, v8
	v_add_f32_e32 v1, v1, v2
	v_cndmask_b32_e32 v3, 0, v3, vcc_lo
	v_cmp_nlt_f32_e32 vcc_lo, 0x42b17218, v8
	v_rndne_f32_e32 v15, v14
	s_delay_alu instid0(VALU_DEP_3) | instskip(SKIP_1) | instid1(VALU_DEP_2)
	v_cndmask_b32_e32 v3, 0x7f800000, v3, vcc_lo
	v_cmp_ngt_f32_e32 vcc_lo, 0xc2ce8ed0, v9
	v_dual_add_f32 v1, v1, v3 :: v_dual_add_f32 v4, v10, v12
	s_delay_alu instid0(VALU_DEP_1) | instskip(SKIP_3) | instid1(VALU_DEP_2)
	v_exp_f32_e32 v4, v4
	s_waitcnt_depctr 0xfff
	v_ldexp_f32 v2, v4, v5
	v_cvt_i32_f32_e32 v4, v15
	v_cndmask_b32_e32 v2, 0, v2, vcc_lo
	v_cmp_nlt_f32_e32 vcc_lo, 0x42b17218, v9
	s_delay_alu instid0(VALU_DEP_2) | instskip(SKIP_1) | instid1(VALU_DEP_2)
	v_cndmask_b32_e32 v2, 0x7f800000, v2, vcc_lo
	v_cmp_ngt_f32_e32 vcc_lo, 0xc2ce8ed0, v7
	v_dual_sub_f32 v10, v14, v15 :: v_dual_add_f32 v1, v1, v2
	s_delay_alu instid0(VALU_DEP_1) | instskip(NEXT) | instid1(VALU_DEP_1)
	v_add_f32_e32 v10, v10, v11
	v_exp_f32_e32 v6, v10
	s_waitcnt_depctr 0xfff
	v_ldexp_f32 v4, v6, v4
	s_delay_alu instid0(VALU_DEP_1) | instskip(SKIP_1) | instid1(VALU_DEP_2)
	v_cndmask_b32_e32 v3, 0, v4, vcc_lo
	v_cmp_nlt_f32_e32 vcc_lo, 0x42b17218, v7
	v_cndmask_b32_e32 v2, 0x7f800000, v3, vcc_lo
	s_delay_alu instid0(VALU_DEP_1) | instskip(NEXT) | instid1(VALU_DEP_1)
	v_add_f32_e32 v1, v1, v2
	v_add_f32_e32 v2, v19, v1
	s_delay_alu instid0(VALU_DEP_1)
	v_cmp_neq_f32_e32 vcc_lo, 0, v2
	s_and_b32 exec_lo, exec_lo, vcc_lo
	s_cbranch_execz .LBB255_12
; %bb.9:
	s_and_not1_b32 vcc_lo, exec_lo, s16
	s_cbranch_vccnz .LBB255_12
; %bb.10:
	v_div_scale_f32 v1, null, v2, v2, 1.0
	v_div_scale_f32 v5, vcc_lo, 1.0, v2, 1.0
	s_delay_alu instid0(VALU_DEP_2) | instskip(SKIP_2) | instid1(VALU_DEP_1)
	v_rcp_f32_e32 v3, v1
	s_waitcnt_depctr 0xfff
	v_fma_f32 v4, -v1, v3, 1.0
	v_fmac_f32_e32 v3, v4, v3
	s_delay_alu instid0(VALU_DEP_1) | instskip(NEXT) | instid1(VALU_DEP_1)
	v_mul_f32_e32 v4, v5, v3
	v_fma_f32 v6, -v1, v4, v5
	s_delay_alu instid0(VALU_DEP_1) | instskip(NEXT) | instid1(VALU_DEP_1)
	v_fmac_f32_e32 v4, v6, v3
	v_fma_f32 v5, -v1, v4, v5
	v_ashrrev_i32_e32 v1, 31, v0
	s_delay_alu instid0(VALU_DEP_2) | instskip(NEXT) | instid1(VALU_DEP_2)
	v_div_fmas_f32 v3, v5, v3, v4
	v_lshlrev_b64 v[0:1], 2, v[0:1]
	s_delay_alu instid0(VALU_DEP_2) | instskip(NEXT) | instid1(VALU_DEP_2)
	v_div_fixup_f32 v2, v3, v2, 1.0
	v_add_co_u32 v0, vcc_lo, s24, v0
	s_delay_alu instid0(VALU_DEP_3)
	v_add_co_ci_u32_e32 v1, vcc_lo, s25, v1, vcc_lo
.LBB255_11:                             ; =>This Inner Loop Header: Depth=1
	global_load_b32 v3, v[0:1], off
	s_add_i32 s20, s20, -1
	s_delay_alu instid0(SALU_CYCLE_1)
	s_cmp_lg_u32 s20, 0
	s_waitcnt vmcnt(0)
	v_mul_f32_e32 v3, v2, v3
	global_store_b32 v[0:1], v3, off
	v_add_co_u32 v0, vcc_lo, v0, 4
	v_add_co_ci_u32_e32 v1, vcc_lo, 0, v1, vcc_lo
	s_cbranch_scc1 .LBB255_11
.LBB255_12:
	s_nop 0
	s_sendmsg sendmsg(MSG_DEALLOC_VGPRS)
	s_endpgm
	.section	.rodata,"a",@progbits
	.p2align	6, 0x0
	.amdhsa_kernel _ZN4vllm3moe17topkGatingSoftmaxItLi16ELi16ELi8ELi32ELb0ELi4ELNS0_23SharedExpertScoringFuncE1EEEvPKT_PKbPfiPiS9_iiiiii
		.amdhsa_group_segment_fixed_size 0
		.amdhsa_private_segment_fixed_size 0
		.amdhsa_kernarg_size 72
		.amdhsa_user_sgpr_count 15
		.amdhsa_user_sgpr_dispatch_ptr 0
		.amdhsa_user_sgpr_queue_ptr 0
		.amdhsa_user_sgpr_kernarg_segment_ptr 1
		.amdhsa_user_sgpr_dispatch_id 0
		.amdhsa_user_sgpr_private_segment_size 0
		.amdhsa_wavefront_size32 1
		.amdhsa_uses_dynamic_stack 0
		.amdhsa_enable_private_segment 0
		.amdhsa_system_sgpr_workgroup_id_x 1
		.amdhsa_system_sgpr_workgroup_id_y 0
		.amdhsa_system_sgpr_workgroup_id_z 0
		.amdhsa_system_sgpr_workgroup_info 0
		.amdhsa_system_vgpr_workitem_id 1
		.amdhsa_next_free_vgpr 47
		.amdhsa_next_free_sgpr 30
		.amdhsa_reserve_vcc 1
		.amdhsa_float_round_mode_32 0
		.amdhsa_float_round_mode_16_64 0
		.amdhsa_float_denorm_mode_32 3
		.amdhsa_float_denorm_mode_16_64 3
		.amdhsa_dx10_clamp 1
		.amdhsa_ieee_mode 1
		.amdhsa_fp16_overflow 0
		.amdhsa_workgroup_processor_mode 1
		.amdhsa_memory_ordered 1
		.amdhsa_forward_progress 0
		.amdhsa_shared_vgpr_count 0
		.amdhsa_exception_fp_ieee_invalid_op 0
		.amdhsa_exception_fp_denorm_src 0
		.amdhsa_exception_fp_ieee_div_zero 0
		.amdhsa_exception_fp_ieee_overflow 0
		.amdhsa_exception_fp_ieee_underflow 0
		.amdhsa_exception_fp_ieee_inexact 0
		.amdhsa_exception_int_div_zero 0
	.end_amdhsa_kernel
	.section	.text._ZN4vllm3moe17topkGatingSoftmaxItLi16ELi16ELi8ELi32ELb0ELi4ELNS0_23SharedExpertScoringFuncE1EEEvPKT_PKbPfiPiS9_iiiiii,"axG",@progbits,_ZN4vllm3moe17topkGatingSoftmaxItLi16ELi16ELi8ELi32ELb0ELi4ELNS0_23SharedExpertScoringFuncE1EEEvPKT_PKbPfiPiS9_iiiiii,comdat
.Lfunc_end255:
	.size	_ZN4vllm3moe17topkGatingSoftmaxItLi16ELi16ELi8ELi32ELb0ELi4ELNS0_23SharedExpertScoringFuncE1EEEvPKT_PKbPfiPiS9_iiiiii, .Lfunc_end255-_ZN4vllm3moe17topkGatingSoftmaxItLi16ELi16ELi8ELi32ELb0ELi4ELNS0_23SharedExpertScoringFuncE1EEEvPKT_PKbPfiPiS9_iiiiii
                                        ; -- End function
	.section	.AMDGPU.csdata,"",@progbits
; Kernel info:
; codeLenInByte = 5088
; NumSgprs: 32
; NumVgprs: 47
; ScratchSize: 0
; MemoryBound: 0
; FloatMode: 240
; IeeeMode: 1
; LDSByteSize: 0 bytes/workgroup (compile time only)
; SGPRBlocks: 3
; VGPRBlocks: 5
; NumSGPRsForWavesPerEU: 32
; NumVGPRsForWavesPerEU: 47
; Occupancy: 16
; WaveLimiterHint : 0
; COMPUTE_PGM_RSRC2:SCRATCH_EN: 0
; COMPUTE_PGM_RSRC2:USER_SGPR: 15
; COMPUTE_PGM_RSRC2:TRAP_HANDLER: 0
; COMPUTE_PGM_RSRC2:TGID_X_EN: 1
; COMPUTE_PGM_RSRC2:TGID_Y_EN: 0
; COMPUTE_PGM_RSRC2:TGID_Z_EN: 0
; COMPUTE_PGM_RSRC2:TIDIG_COMP_CNT: 1
	.section	.text._ZN4vllm3moe17topkGatingSoftmaxItLi16ELi16ELi8ELi32ELb1ELi8ELNS0_23SharedExpertScoringFuncE1EEEvPKT_PKbPfiPiS9_iiiiii,"axG",@progbits,_ZN4vllm3moe17topkGatingSoftmaxItLi16ELi16ELi8ELi32ELb1ELi8ELNS0_23SharedExpertScoringFuncE1EEEvPKT_PKbPfiPiS9_iiiiii,comdat
	.protected	_ZN4vllm3moe17topkGatingSoftmaxItLi16ELi16ELi8ELi32ELb1ELi8ELNS0_23SharedExpertScoringFuncE1EEEvPKT_PKbPfiPiS9_iiiiii ; -- Begin function _ZN4vllm3moe17topkGatingSoftmaxItLi16ELi16ELi8ELi32ELb1ELi8ELNS0_23SharedExpertScoringFuncE1EEEvPKT_PKbPfiPiS9_iiiiii
	.globl	_ZN4vllm3moe17topkGatingSoftmaxItLi16ELi16ELi8ELi32ELb1ELi8ELNS0_23SharedExpertScoringFuncE1EEEvPKT_PKbPfiPiS9_iiiiii
	.p2align	8
	.type	_ZN4vllm3moe17topkGatingSoftmaxItLi16ELi16ELi8ELi32ELb1ELi8ELNS0_23SharedExpertScoringFuncE1EEEvPKT_PKbPfiPiS9_iiiiii,@function
_ZN4vllm3moe17topkGatingSoftmaxItLi16ELi16ELi8ELi32ELb1ELi8ELNS0_23SharedExpertScoringFuncE1EEEvPKT_PKbPfiPiS9_iiiiii: ; @_ZN4vllm3moe17topkGatingSoftmaxItLi16ELi16ELi8ELi32ELb1ELi8ELNS0_23SharedExpertScoringFuncE1EEEvPKT_PKbPfiPiS9_iiiiii
; %bb.0:
	s_load_b32 s9, s[0:1], 0x18
	v_bfe_u32 v1, v0, 10, 10
	v_and_b32_e32 v11, 0x3ff, v0
	s_lshl_b32 s19, s15, 8
	s_mov_b32 s2, exec_lo
	s_delay_alu instid0(VALU_DEP_2) | instskip(NEXT) | instid1(VALU_DEP_1)
	v_lshlrev_b32_e32 v10, 5, v1
	v_add3_u32 v12, v10, v11, s19
	s_waitcnt lgkmcnt(0)
	s_delay_alu instid0(VALU_DEP_1)
	v_cmpx_gt_i32_e64 s9, v12
	s_cbranch_execz .LBB256_12
; %bb.1:
	s_clause 0x1
	s_load_b128 s[4:7], s[0:1], 0x0
	s_load_b64 s[10:11], s[0:1], 0x10
	s_waitcnt lgkmcnt(0)
	s_cmp_eq_u64 s[6:7], 0
	s_cbranch_scc1 .LBB256_3
; %bb.2:
	v_ashrrev_i32_e32 v1, 31, v12
	v_add_co_u32 v0, vcc_lo, s6, v12
	s_delay_alu instid0(VALU_DEP_2) | instskip(SKIP_3) | instid1(VALU_DEP_1)
	v_add_co_ci_u32_e32 v1, vcc_lo, s7, v1, vcc_lo
	global_load_u8 v0, v[0:1], off
	s_waitcnt vmcnt(0)
	v_and_b32_e32 v0, 1, v0
	v_cmp_eq_u32_e32 vcc_lo, 1, v0
	s_xor_b32 s2, vcc_lo, -1
	s_delay_alu instid0(SALU_CYCLE_1)
	s_or_not1_b32 s18, s2, exec_lo
	s_branch .LBB256_4
.LBB256_3:
	s_mov_b32 s18, -1
.LBB256_4:
	s_clause 0x1
	s_load_b64 s[16:17], s[0:1], 0x40
	s_load_b128 s[12:15], s[0:1], 0x30
	s_waitcnt lgkmcnt(0)
	v_mul_lo_u32 v0, v12, s17
	v_mul_lo_u32 v8, v12, s15
	s_cmp_gt_i32 s12, 0
	s_delay_alu instid0(VALU_DEP_2) | instskip(NEXT) | instid1(VALU_DEP_1)
	v_ashrrev_i32_e32 v1, 31, v0
	v_lshlrev_b64 v[0:1], 1, v[0:1]
	s_delay_alu instid0(VALU_DEP_1) | instskip(NEXT) | instid1(VALU_DEP_2)
	v_add_co_u32 v4, vcc_lo, s4, v0
	v_add_co_ci_u32_e32 v5, vcc_lo, s5, v1, vcc_lo
	s_clause 0x2
	global_load_b128 v[13:16], v[4:5], off offset:32
	global_load_b128 v[0:3], v[4:5], off offset:16
	global_load_b128 v[4:7], v[4:5], off
	s_waitcnt vmcnt(2)
	v_lshrrev_b32_e32 v9, 16, v13
	v_and_b32_e32 v13, 0xffff, v13
	v_lshrrev_b32_e32 v19, 16, v16
	s_delay_alu instid0(VALU_DEP_3) | instskip(NEXT) | instid1(VALU_DEP_3)
	v_cvt_f32_u32_e32 v9, v9
	v_cvt_f32_u32_e32 v13, v13
	v_add_nc_u32_e32 v17, s12, v8
	s_delay_alu instid0(VALU_DEP_4) | instskip(NEXT) | instid1(VALU_DEP_4)
	v_cvt_f32_u32_e32 v19, v19
	v_mul_f32_e32 v21, 0xbfb8aa3b, v9
	s_delay_alu instid0(VALU_DEP_4) | instskip(NEXT) | instid1(VALU_DEP_4)
	v_mul_f32_e32 v20, 0xbfb8aa3b, v13
	v_ashrrev_i32_e32 v18, 31, v17
	s_delay_alu instid0(VALU_DEP_3) | instskip(SKIP_1) | instid1(VALU_DEP_3)
	v_fma_f32 v32, 0xbfb8aa3b, v9, -v21
	v_rndne_f32_e32 v33, v21
	v_lshlrev_b64 v[17:18], 2, v[17:18]
	v_fma_f32 v30, 0xbfb8aa3b, v13, -v20
	v_rndne_f32_e32 v31, v20
	v_fmac_f32_e32 v32, 0xb2a5705f, v9
	v_sub_f32_e32 v21, v21, v33
	v_cvt_i32_f32_e32 v33, v33
	v_add_co_u32 v22, vcc_lo, s10, v17
	v_lshrrev_b32_e32 v17, 16, v14
	v_and_b32_e32 v14, 0xffff, v14
	v_add_co_ci_u32_e32 v23, vcc_lo, s11, v18, vcc_lo
	v_lshrrev_b32_e32 v18, 16, v15
	s_delay_alu instid0(VALU_DEP_4)
	v_cvt_f32_u32_e32 v17, v17
	v_dual_fmac_f32 v30, 0xb2a5705f, v13 :: v_dual_add_f32 v21, v21, v32
	v_sub_f32_e32 v20, v20, v31
	v_and_b32_e32 v15, 0xffff, v15
	v_cvt_f32_u32_e32 v14, v14
	v_cvt_f32_u32_e32 v18, v18
	v_cvt_i32_f32_e32 v31, v31
	v_add_f32_e32 v20, v20, v30
	v_cvt_f32_u32_e32 v15, v15
	v_dual_mul_f32 v25, 0xbfb8aa3b, v17 :: v_dual_mul_f32 v24, 0xbfb8aa3b, v14
	v_exp_f32_e32 v21, v21
	s_delay_alu instid0(VALU_DEP_3) | instskip(NEXT) | instid1(VALU_DEP_2)
	v_exp_f32_e32 v20, v20
	v_mul_f32_e32 v26, 0xbfb8aa3b, v15
	s_delay_alu instid0(VALU_DEP_2)
	v_rndne_f32_e32 v37, v25
	v_and_b32_e32 v16, 0xffff, v16
	v_fma_f32 v34, 0xbfb8aa3b, v14, -v24
	v_rndne_f32_e32 v35, v24
	v_fma_f32 v36, 0xbfb8aa3b, v17, -v25
	v_sub_f32_e32 v25, v25, v37
	v_cvt_f32_u32_e32 v16, v16
	s_delay_alu instid0(VALU_DEP_4) | instskip(SKIP_2) | instid1(VALU_DEP_4)
	v_dual_mul_f32 v27, 0xbfb8aa3b, v18 :: v_dual_sub_f32 v24, v24, v35
	v_ldexp_f32 v20, v20, v31
	v_cmp_nlt_f32_e32 vcc_lo, 0x42ce8ed0, v13
	v_mul_f32_e32 v28, 0xbfb8aa3b, v16
	s_delay_alu instid0(VALU_DEP_4)
	v_rndne_f32_e32 v41, v27
	v_fmac_f32_e32 v34, 0xb2a5705f, v14
	v_fma_f32 v40, 0xbfb8aa3b, v18, -v27
	v_rndne_f32_e32 v39, v26
	v_cvt_i32_f32_e32 v35, v35
	v_sub_f32_e32 v27, v27, v41
	v_dual_mul_f32 v29, 0xbfb8aa3b, v19 :: v_dual_add_f32 v24, v24, v34
	v_ldexp_f32 v21, v21, v33
	v_cndmask_b32_e32 v20, 0, v20, vcc_lo
	v_cmp_nlt_f32_e32 vcc_lo, 0x42ce8ed0, v9
	v_fma_f32 v38, 0xbfb8aa3b, v15, -v26
	v_exp_f32_e32 v24, v24
	v_sub_f32_e32 v26, v26, v39
	v_fma_f32 v44, 0xbfb8aa3b, v19, -v29
	v_cndmask_b32_e32 v21, 0, v21, vcc_lo
	v_cmp_nlt_f32_e32 vcc_lo, 0x42ce8ed0, v14
	v_rndne_f32_e32 v45, v29
	v_cvt_i32_f32_e32 v37, v37
	v_fmac_f32_e32 v44, 0xb2a5705f, v19
	v_cvt_i32_f32_e32 v39, v39
	v_fma_f32 v42, 0xbfb8aa3b, v16, -v28
	v_ldexp_f32 v24, v24, v35
	v_dual_sub_f32 v29, v29, v45 :: v_dual_fmac_f32 v38, 0xb2a5705f, v15
	v_rndne_f32_e32 v43, v28
	v_cvt_i32_f32_e32 v41, v41
	s_delay_alu instid0(VALU_DEP_4)
	v_cndmask_b32_e32 v24, 0, v24, vcc_lo
	v_cmp_nlt_f32_e32 vcc_lo, 0x42ce8ed0, v17
	v_fmac_f32_e32 v40, 0xb2a5705f, v18
	v_dual_fmac_f32 v36, 0xb2a5705f, v17 :: v_dual_add_f32 v29, v29, v44
	v_add_f32_e32 v26, v26, v38
	v_cvt_i32_f32_e32 v32, v45
	s_delay_alu instid0(VALU_DEP_4) | instskip(NEXT) | instid1(VALU_DEP_4)
	v_add_f32_e32 v27, v27, v40
	v_add_f32_e32 v25, v25, v36
	v_exp_f32_e32 v29, v29
	v_exp_f32_e32 v26, v26
	v_cvt_i32_f32_e32 v30, v43
	v_exp_f32_e32 v27, v27
	v_exp_f32_e32 v25, v25
	v_ldexp_f32 v29, v29, v32
	s_delay_alu instid0(TRANS32_DEP_3) | instskip(SKIP_4) | instid1(VALU_DEP_1)
	v_ldexp_f32 v26, v26, v39
	v_sub_f32_e32 v28, v28, v43
	s_waitcnt_depctr 0xfff
	v_ldexp_f32 v27, v27, v41
	v_ldexp_f32 v25, v25, v37
	v_cndmask_b32_e32 v25, 0, v25, vcc_lo
	v_cmp_nlt_f32_e32 vcc_lo, 0x42ce8ed0, v15
	v_cndmask_b32_e32 v26, 0, v26, vcc_lo
	v_cmp_nlt_f32_e32 vcc_lo, 0x42ce8ed0, v18
	v_dual_fmac_f32 v42, 0xb2a5705f, v16 :: v_dual_cndmask_b32 v27, 0, v27
	s_delay_alu instid0(VALU_DEP_1) | instskip(SKIP_1) | instid1(VALU_DEP_2)
	v_add_f32_e32 v28, v28, v42
	v_cmp_nlt_f32_e32 vcc_lo, 0x42ce8ed0, v16
	v_exp_f32_e32 v28, v28
	s_waitcnt_depctr 0xfff
	v_ldexp_f32 v28, v28, v30
	s_delay_alu instid0(VALU_DEP_1)
	v_cndmask_b32_e32 v28, 0, v28, vcc_lo
	v_cmp_nlt_f32_e32 vcc_lo, 0x42ce8ed0, v19
	v_cndmask_b32_e32 v29, 0, v29, vcc_lo
	v_cmp_ngt_f32_e32 vcc_lo, 0xc2b17218, v13
	v_cndmask_b32_e32 v13, 0x7f800000, v20, vcc_lo
	v_cmp_ngt_f32_e32 vcc_lo, 0xc2b17218, v9
	s_delay_alu instid0(VALU_DEP_2) | instskip(SKIP_2) | instid1(VALU_DEP_2)
	v_add_f32_e32 v13, 1.0, v13
	v_cndmask_b32_e32 v9, 0x7f800000, v21, vcc_lo
	v_cmp_ngt_f32_e32 vcc_lo, 0xc2b17218, v14
	v_dual_add_f32 v9, 1.0, v9 :: v_dual_cndmask_b32 v14, 0x7f800000, v24
	v_cmp_ngt_f32_e32 vcc_lo, 0xc2b17218, v17
	s_delay_alu instid0(VALU_DEP_2) | instskip(SKIP_2) | instid1(VALU_DEP_3)
	v_dual_add_f32 v20, 1.0, v14 :: v_dual_cndmask_b32 v17, 0x7f800000, v25
	v_div_scale_f32 v14, null, v13, v13, 1.0
	v_cmp_ngt_f32_e32 vcc_lo, 0xc2b17218, v15
	v_add_f32_e32 v17, 1.0, v17
	s_delay_alu instid0(VALU_DEP_3)
	v_rcp_f32_e32 v37, v14
	v_cndmask_b32_e32 v15, 0x7f800000, v26, vcc_lo
	v_cmp_ngt_f32_e32 vcc_lo, 0xc2b17218, v18
	v_cndmask_b32_e32 v18, 0x7f800000, v27, vcc_lo
	v_cmp_ngt_f32_e32 vcc_lo, 0xc2b17218, v16
	s_waitcnt_depctr 0xfff
	v_fma_f32 v46, -v14, v37, 1.0
	v_div_scale_f32 v27, s3, 1.0, v20, 1.0
	s_delay_alu instid0(VALU_DEP_2) | instskip(SKIP_3) | instid1(VALU_DEP_2)
	v_dual_fmac_f32 v37, v46, v37 :: v_dual_cndmask_b32 v16, 0x7f800000, v28
	v_cmp_ngt_f32_e32 vcc_lo, 0xc2b17218, v19
	v_div_scale_f32 v28, null, v17, v17, 1.0
	v_cndmask_b32_e32 v19, 0x7f800000, v29, vcc_lo
	v_rcp_f32_e32 v40, v28
	v_div_scale_f32 v29, s4, 1.0, v17, 1.0
	s_delay_alu instid0(VALU_DEP_2) | instskip(SKIP_3) | instid1(VALU_DEP_3)
	v_add_f32_e32 v26, 1.0, v19
	v_add_f32_e32 v21, 1.0, v15
	v_div_scale_f32 v19, null, v20, v20, 1.0
	v_div_scale_f32 v15, vcc_lo, 1.0, v13, 1.0
	v_div_scale_f32 v30, null, v21, v21, 1.0
	v_div_scale_f32 v36, null, v26, v26, 1.0
	s_delay_alu instid0(VALU_DEP_4) | instskip(NEXT) | instid1(VALU_DEP_2)
	v_rcp_f32_e32 v39, v19
	v_rcp_f32_e32 v41, v30
	v_fma_f32 v49, -v28, v40, 1.0
	s_delay_alu instid0(VALU_DEP_2) | instskip(SKIP_2) | instid1(TRANS32_DEP_3)
	v_rcp_f32_e32 v44, v36
	v_div_scale_f32 v45, s8, 1.0, v26, 1.0
	v_div_scale_f32 v31, s5, 1.0, v21, 1.0
	v_fma_f32 v48, -v19, v39, 1.0
	s_waitcnt_depctr 0xfff
	v_fma_f32 v50, -v30, v41, 1.0
	v_fma_f32 v53, -v36, v44, 1.0
	v_fmac_f32_e32 v39, v48, v39
	s_delay_alu instid0(VALU_DEP_3) | instskip(SKIP_3) | instid1(VALU_DEP_3)
	v_fmac_f32_e32 v41, v50, v41
	v_dual_add_f32 v25, 1.0, v16 :: v_dual_add_f32 v24, 1.0, v18
	v_div_scale_f32 v16, null, v9, v9, 1.0
	v_div_scale_f32 v18, s2, 1.0, v9, 1.0
	v_div_scale_f32 v34, null, v25, v25, 1.0
	s_delay_alu instid0(VALU_DEP_3) | instskip(SKIP_1) | instid1(VALU_DEP_2)
	v_rcp_f32_e32 v38, v16
	v_div_scale_f32 v32, null, v24, v24, 1.0
	v_rcp_f32_e32 v43, v34
	v_div_scale_f32 v33, s6, 1.0, v24, 1.0
	s_delay_alu instid0(VALU_DEP_2) | instskip(SKIP_1) | instid1(TRANS32_DEP_3)
	v_rcp_f32_e32 v42, v32
	v_div_scale_f32 v35, s7, 1.0, v25, 1.0
	v_fma_f32 v47, -v16, v38, 1.0
	s_waitcnt_depctr 0xfff
	v_fma_f32 v52, -v34, v43, 1.0
	v_fmac_f32_e32 v38, v47, v38
	v_fma_f32 v51, -v32, v42, 1.0
	s_delay_alu instid0(VALU_DEP_3) | instskip(NEXT) | instid1(VALU_DEP_3)
	v_dual_fmac_f32 v43, v52, v43 :: v_dual_fmac_f32 v40, v49, v40
	v_mul_f32_e32 v47, v18, v38
	s_delay_alu instid0(VALU_DEP_2) | instskip(NEXT) | instid1(VALU_DEP_2)
	v_dual_fmac_f32 v42, v51, v42 :: v_dual_mul_f32 v49, v29, v40
	v_fma_f32 v55, -v16, v47, v18
	s_delay_alu instid0(VALU_DEP_2) | instskip(SKIP_1) | instid1(VALU_DEP_4)
	v_dual_mul_f32 v46, v15, v37 :: v_dual_mul_f32 v51, v33, v42
	v_fmac_f32_e32 v44, v53, v44
	v_fma_f32 v57, -v28, v49, v29
	s_delay_alu instid0(VALU_DEP_4) | instskip(SKIP_4) | instid1(VALU_DEP_4)
	v_fmac_f32_e32 v47, v55, v38
	v_mul_f32_e32 v48, v27, v39
	v_fma_f32 v54, -v14, v46, v15
	v_dual_mul_f32 v53, v45, v44 :: v_dual_mul_f32 v50, v31, v41
	v_fmac_f32_e32 v49, v57, v40
	v_fma_f32 v56, -v19, v48, v27
	v_fma_f32 v59, -v32, v51, v33
	v_fmac_f32_e32 v46, v54, v37
	v_fma_f32 v61, -v36, v53, v45
	v_mul_f32_e32 v52, v35, v43
	v_fma_f32 v58, -v30, v50, v31
	v_dual_fmac_f32 v48, v56, v39 :: v_dual_fmac_f32 v51, v59, v42
	v_fma_f32 v14, -v14, v46, v15
	v_fmac_f32_e32 v53, v61, v44
	v_fma_f32 v60, -v34, v52, v35
	v_fma_f32 v15, -v16, v47, v18
	v_fmac_f32_e32 v50, v58, v41
	v_fma_f32 v16, -v19, v48, v27
	v_div_fmas_f32 v14, v14, v37, v46
	s_mov_b32 vcc_lo, s2
	v_fma_f32 v18, -v28, v49, v29
	v_fmac_f32_e32 v52, v60, v43
	v_div_fmas_f32 v15, v15, v38, v47
	s_mov_b32 vcc_lo, s3
	v_fma_f32 v19, -v30, v50, v31
	v_div_fmas_f32 v16, v16, v39, v48
	s_mov_b32 vcc_lo, s4
	v_fma_f32 v27, -v32, v51, v33
	v_div_fixup_f32 v14, v14, v13, 1.0
	v_div_fmas_f32 v13, v18, v40, v49
	s_mov_b32 vcc_lo, s5
	v_fma_f32 v28, -v34, v52, v35
	v_div_fixup_f32 v15, v15, v9, 1.0
	v_div_fmas_f32 v9, v19, v41, v50
	s_mov_b32 vcc_lo, s6
	v_fma_f32 v29, -v36, v53, v45
	v_div_fmas_f32 v19, v27, v42, v51
	s_mov_b32 vcc_lo, s7
	v_div_fixup_f32 v16, v16, v20, 1.0
	v_div_fmas_f32 v20, v28, v43, v52
	s_mov_b32 vcc_lo, s8
	v_div_fixup_f32 v17, v13, v17, 1.0
	v_mov_b32_e32 v13, 0
	v_div_fmas_f32 v27, v29, v44, v53
	v_div_fixup_f32 v18, v9, v21, 1.0
	v_div_fixup_f32 v19, v19, v24, 1.0
	;; [unrolled: 1-line block ×3, first 2 shown]
	s_cselect_b32 s2, -1, 0
	v_div_fixup_f32 v21, v27, v26, 1.0
	s_cmp_lt_i32 s12, 1
	s_clause 0x1
	global_store_b128 v[22:23], v[14:17], off
	global_store_b128 v[22:23], v[18:21], off offset:16
	s_cbranch_scc1 .LBB256_8
; %bb.5:
	s_waitcnt vmcnt(0)
	v_lshrrev_b32_e32 v9, 16, v4
	s_load_b128 s[4:7], s[0:1], 0x20
	s_delay_alu instid0(VALU_DEP_1) | instskip(SKIP_1) | instid1(VALU_DEP_1)
	v_cvt_f32_u32_e32 v25, v9
	v_and_b32_e32 v4, 0xffff, v4
	v_cvt_f32_u32_e32 v26, v4
	s_delay_alu instid0(VALU_DEP_1) | instskip(SKIP_3) | instid1(VALU_DEP_2)
	v_cmp_lt_f32_e32 vcc_lo, v26, v25
	v_cndmask_b32_e32 v9, v26, v25, vcc_lo
	v_and_b32_e32 v4, 0xffff, v5
	v_lshrrev_b32_e32 v5, 16, v5
	v_cvt_f32_u32_e32 v24, v4
	v_cndmask_b32_e64 v4, 0, 1, vcc_lo
	s_delay_alu instid0(VALU_DEP_3) | instskip(NEXT) | instid1(VALU_DEP_3)
	v_cvt_f32_u32_e32 v23, v5
	v_cmp_lt_f32_e32 vcc_lo, v9, v24
	v_cndmask_b32_e32 v5, v9, v24, vcc_lo
	v_and_b32_e32 v9, 0xffff, v6
	v_lshrrev_b32_e32 v6, 16, v6
	v_cndmask_b32_e64 v4, v4, 2, vcc_lo
	s_delay_alu instid0(VALU_DEP_4) | instskip(NEXT) | instid1(VALU_DEP_4)
	v_cmp_lt_f32_e32 vcc_lo, v5, v23
	v_cvt_f32_u32_e32 v22, v9
	s_delay_alu instid0(VALU_DEP_4) | instskip(SKIP_4) | instid1(VALU_DEP_4)
	v_cvt_f32_u32_e32 v21, v6
	v_and_b32_e32 v6, 0xffff, v7
	v_ashrrev_i32_e32 v9, 31, v8
	v_cndmask_b32_e32 v5, v5, v23, vcc_lo
	v_cndmask_b32_e64 v4, v4, 3, vcc_lo
	v_cvt_f32_u32_e32 v20, v6
	v_lshrrev_b32_e32 v6, 16, v7
	s_delay_alu instid0(VALU_DEP_1) | instskip(SKIP_3) | instid1(VALU_DEP_3)
	v_cvt_f32_u32_e32 v19, v6
	v_and_b32_e32 v6, 0xffff, v0
	v_cmp_lt_f32_e32 vcc_lo, v5, v22
	v_lshrrev_b32_e32 v0, 16, v0
	v_cvt_f32_u32_e32 v18, v6
	v_cndmask_b32_e32 v5, v5, v22, vcc_lo
	v_cndmask_b32_e64 v4, v4, 4, vcc_lo
	s_delay_alu instid0(VALU_DEP_4) | instskip(NEXT) | instid1(VALU_DEP_3)
	v_cvt_f32_u32_e32 v17, v0
	v_cmp_lt_f32_e32 vcc_lo, v5, v21
	v_cndmask_b32_e32 v5, v5, v21, vcc_lo
	s_delay_alu instid0(VALU_DEP_4) | instskip(NEXT) | instid1(VALU_DEP_2)
	v_cndmask_b32_e64 v4, v4, 5, vcc_lo
	v_cmp_lt_f32_e32 vcc_lo, v5, v20
	v_cndmask_b32_e32 v5, v5, v20, vcc_lo
	s_delay_alu instid0(VALU_DEP_3) | instskip(NEXT) | instid1(VALU_DEP_2)
	v_cndmask_b32_e64 v4, v4, 6, vcc_lo
	v_cmp_lt_f32_e32 vcc_lo, v5, v19
	v_cndmask_b32_e32 v5, v5, v19, vcc_lo
	s_delay_alu instid0(VALU_DEP_3) | instskip(NEXT) | instid1(VALU_DEP_2)
	v_cndmask_b32_e64 v4, v4, 7, vcc_lo
	v_cmp_lt_f32_e32 vcc_lo, v5, v18
	s_delay_alu instid0(VALU_DEP_2) | instskip(SKIP_2) | instid1(VALU_DEP_2)
	v_cndmask_b32_e64 v0, v4, 8, vcc_lo
	v_dual_cndmask_b32 v4, v5, v18 :: v_dual_and_b32 v5, 0xffff, v1
	v_lshrrev_b32_e32 v1, 16, v1
	v_cmp_lt_f32_e32 vcc_lo, v4, v17
	s_delay_alu instid0(VALU_DEP_3) | instskip(NEXT) | instid1(VALU_DEP_3)
	v_cvt_f32_u32_e32 v16, v5
	v_cvt_f32_u32_e32 v15, v1
	v_cndmask_b32_e32 v4, v4, v17, vcc_lo
	v_cndmask_b32_e64 v0, v0, 9, vcc_lo
	s_delay_alu instid0(VALU_DEP_2) | instskip(SKIP_1) | instid1(VALU_DEP_3)
	v_cmp_lt_f32_e32 vcc_lo, v4, v16
	v_cndmask_b32_e32 v1, v4, v16, vcc_lo
	v_cndmask_b32_e64 v0, v0, 10, vcc_lo
	v_and_b32_e32 v4, 0xffff, v2
	v_lshrrev_b32_e32 v2, 16, v2
	s_delay_alu instid0(VALU_DEP_4) | instskip(NEXT) | instid1(VALU_DEP_3)
	v_cmp_lt_f32_e32 vcc_lo, v1, v15
	v_cvt_f32_u32_e32 v14, v4
	s_delay_alu instid0(VALU_DEP_3) | instskip(SKIP_4) | instid1(VALU_DEP_4)
	v_cvt_f32_u32_e32 v28, v2
	v_and_b32_e32 v2, 0xffff, v3
	v_cndmask_b32_e32 v1, v1, v15, vcc_lo
	v_cndmask_b32_e64 v0, v0, 11, vcc_lo
	v_lshlrev_b64 v[4:5], 2, v[8:9]
	v_cvt_f32_u32_e32 v29, v2
	s_delay_alu instid0(VALU_DEP_4) | instskip(SKIP_3) | instid1(VALU_DEP_3)
	v_cmp_lt_f32_e32 vcc_lo, v1, v14
	v_lshrrev_b32_e32 v2, 16, v3
	v_cndmask_b32_e32 v1, v1, v14, vcc_lo
	v_cndmask_b32_e64 v0, v0, 12, vcc_lo
	v_cvt_f32_u32_e32 v7, v2
	v_mul_lo_u32 v2, v12, s12
	s_delay_alu instid0(VALU_DEP_4) | instskip(SKIP_2) | instid1(VALU_DEP_2)
	v_cmp_lt_f32_e32 vcc_lo, v1, v28
	v_cndmask_b32_e32 v1, v1, v28, vcc_lo
	v_cndmask_b32_e64 v0, v0, 13, vcc_lo
	v_cmp_lt_f32_e32 vcc_lo, v1, v29
	v_cndmask_b32_e32 v1, v1, v29, vcc_lo
	s_delay_alu instid0(VALU_DEP_3) | instskip(NEXT) | instid1(VALU_DEP_2)
	v_cndmask_b32_e64 v0, v0, 14, vcc_lo
	v_cmp_lt_f32_e32 vcc_lo, v1, v7
	v_cndmask_b32_e32 v6, v1, v7, vcc_lo
	s_delay_alu instid0(VALU_DEP_3) | instskip(SKIP_2) | instid1(VALU_DEP_4)
	v_cndmask_b32_e64 v27, v0, 15, vcc_lo
	v_add_co_u32 v4, vcc_lo, s10, v4
	v_add_co_ci_u32_e32 v5, vcc_lo, s11, v5, vcc_lo
	v_sub_f32_e32 v13, v6, v6
	s_delay_alu instid0(VALU_DEP_4) | instskip(SKIP_2) | instid1(VALU_DEP_4)
	v_cmp_le_i32_e32 vcc_lo, s13, v27
	v_cmp_gt_i32_e64 s0, s14, v27
	v_subrev_nc_u32_e32 v32, s13, v27
	v_mul_f32_e32 v0, 0x3fb8aa3b, v13
	s_delay_alu instid0(VALU_DEP_3) | instskip(SKIP_1) | instid1(VALU_DEP_2)
	s_and_b32 s0, vcc_lo, s0
	v_cmp_ngt_f32_e32 vcc_lo, 0xc2ce8ed0, v13
	v_fma_f32 v1, 0x3fb8aa3b, v13, -v0
	v_rndne_f32_e32 v30, v0
	s_delay_alu instid0(VALU_DEP_2) | instskip(NEXT) | instid1(VALU_DEP_2)
	v_fmac_f32_e32 v1, 0x32a5705f, v13
	v_sub_f32_e32 v3, v0, v30
	v_mul_lo_u32 v0, v12, s16
	v_cvt_i32_f32_e32 v30, v30
	s_delay_alu instid0(VALU_DEP_3) | instskip(NEXT) | instid1(VALU_DEP_3)
	v_add_f32_e32 v3, v3, v1
	v_ashrrev_i32_e32 v1, 31, v0
	s_delay_alu instid0(VALU_DEP_2) | instskip(SKIP_1) | instid1(VALU_DEP_2)
	v_exp_f32_e32 v9, v3
	v_ashrrev_i32_e32 v3, 31, v2
	v_lshlrev_b64 v[0:1], 2, v[0:1]
	s_delay_alu instid0(VALU_DEP_2) | instskip(SKIP_2) | instid1(VALU_DEP_1)
	v_lshlrev_b64 v[2:3], 2, v[2:3]
	s_waitcnt_depctr 0xfff
	v_ldexp_f32 v9, v9, v30
	v_cndmask_b32_e32 v9, 0, v9, vcc_lo
	s_waitcnt lgkmcnt(0)
	v_add_co_u32 v30, vcc_lo, s4, v0
	v_add_co_ci_u32_e32 v31, vcc_lo, s5, v1, vcc_lo
	s_and_b32 vcc_lo, s18, s0
	s_cmp_eq_u32 s12, 1
	v_cndmask_b32_e32 v34, 16, v32, vcc_lo
	v_cmp_nlt_f32_e32 vcc_lo, 0x42b17218, v13
	v_cndmask_b32_e32 v13, 0x7f800000, v9, vcc_lo
	v_add_co_u32 v32, vcc_lo, s6, v2
	v_add_co_ci_u32_e32 v33, vcc_lo, s7, v3, vcc_lo
	global_store_b32 v[30:31], v34, off
	global_store_b32 v[4:5], v13, off
	;; [unrolled: 1-line block ×3, first 2 shown]
	s_cbranch_scc1 .LBB256_8
; %bb.6:
	v_cmp_ne_u32_e32 vcc_lo, 15, v27
	s_add_i32 s19, s19, s9
	s_add_i32 s3, s12, -1
	v_add3_u32 v10, s19, v11, v10
	v_cndmask_b32_e32 v7, 0xff800000, v7, vcc_lo
	v_cmp_ne_u32_e32 vcc_lo, 14, v27
	v_cndmask_b32_e32 v9, 0xff800000, v29, vcc_lo
	v_cmp_ne_u32_e32 vcc_lo, 13, v27
	;; [unrolled: 2-line block ×15, first 2 shown]
	v_cndmask_b32_e32 v26, 0xff800000, v26, vcc_lo
	v_add_co_u32 v2, vcc_lo, v2, s6
	v_add_co_ci_u32_e32 v3, vcc_lo, s7, v3, vcc_lo
	v_add_co_u32 v27, vcc_lo, v0, s4
	v_add_co_ci_u32_e32 v28, vcc_lo, s5, v1, vcc_lo
	s_delay_alu instid0(VALU_DEP_4) | instskip(NEXT) | instid1(VALU_DEP_4)
	v_add_co_u32 v0, vcc_lo, v2, 4
	v_add_co_ci_u32_e32 v1, vcc_lo, 0, v3, vcc_lo
	s_delay_alu instid0(VALU_DEP_4) | instskip(NEXT) | instid1(VALU_DEP_4)
	v_add_co_u32 v2, vcc_lo, v27, 4
	v_add_co_ci_u32_e32 v3, vcc_lo, 0, v28, vcc_lo
	v_add_co_u32 v4, vcc_lo, v4, 4
	v_add_co_ci_u32_e32 v5, vcc_lo, 0, v5, vcc_lo
.LBB256_7:                              ; =>This Inner Loop Header: Depth=1
	v_cmp_gt_f32_e32 vcc_lo, v25, v26
	s_add_i32 s3, s3, -1
	v_cndmask_b32_e32 v11, v26, v25, vcc_lo
	v_cndmask_b32_e64 v27, 0, 1, vcc_lo
	s_delay_alu instid0(VALU_DEP_2) | instskip(SKIP_1) | instid1(VALU_DEP_3)
	v_cmp_gt_f32_e32 vcc_lo, v24, v11
	v_cndmask_b32_e32 v11, v11, v24, vcc_lo
	v_cndmask_b32_e64 v27, v27, 2, vcc_lo
	s_delay_alu instid0(VALU_DEP_2) | instskip(SKIP_1) | instid1(VALU_DEP_3)
	v_cmp_gt_f32_e32 vcc_lo, v23, v11
	;; [unrolled: 4-line block ×13, first 2 shown]
	v_cndmask_b32_e32 v11, v11, v9, vcc_lo
	v_cndmask_b32_e64 v27, v27, 14, vcc_lo
	s_delay_alu instid0(VALU_DEP_2) | instskip(NEXT) | instid1(VALU_DEP_2)
	v_cmp_gt_f32_e32 vcc_lo, v7, v11
	v_cndmask_b32_e64 v27, v27, 15, vcc_lo
	v_cndmask_b32_e32 v11, v11, v7, vcc_lo
	s_delay_alu instid0(VALU_DEP_2) | instskip(SKIP_2) | instid1(VALU_DEP_4)
	v_cmp_ne_u32_e64 s1, 15, v27
	v_cmp_le_i32_e32 vcc_lo, s13, v27
	v_cmp_gt_i32_e64 s0, s14, v27
	v_sub_f32_e32 v11, v11, v6
	v_subrev_nc_u32_e32 v29, s13, v27
	v_cndmask_b32_e64 v7, 0xff800000, v7, s1
	v_cmp_ne_u32_e64 s1, 14, v27
	s_and_b32 s0, vcc_lo, s0
	s_delay_alu instid0(SALU_CYCLE_1) | instskip(SKIP_1) | instid1(VALU_DEP_2)
	s_and_b32 vcc_lo, s18, s0
	v_dual_mul_f32 v28, 0x3fb8aa3b, v11 :: v_dual_cndmask_b32 v29, 16, v29
	v_cndmask_b32_e64 v9, 0xff800000, v9, s1
	v_cmp_ne_u32_e64 s1, 13, v27
	global_store_b32 v[2:3], v29, off
	global_store_b32 v[0:1], v10, off
	v_rndne_f32_e32 v30, v28
	v_cndmask_b32_e64 v12, 0xff800000, v12, s1
	v_cmp_ne_u32_e64 s1, 12, v27
	v_add_co_u32 v0, vcc_lo, v0, 4
	v_add_co_ci_u32_e32 v1, vcc_lo, 0, v1, vcc_lo
	s_delay_alu instid0(VALU_DEP_3) | instskip(SKIP_3) | instid1(VALU_DEP_3)
	v_cndmask_b32_e64 v14, 0xff800000, v14, s1
	v_cmp_ne_u32_e64 s1, 11, v27
	v_add_co_u32 v2, vcc_lo, v2, 4
	v_add_co_ci_u32_e32 v3, vcc_lo, 0, v3, vcc_lo
	v_cndmask_b32_e64 v15, 0xff800000, v15, s1
	v_cmp_ne_u32_e64 s1, 10, v27
	v_cmp_ngt_f32_e32 vcc_lo, 0xc2ce8ed0, v11
	v_add_nc_u32_e32 v10, s9, v10
	s_cmp_eq_u32 s3, 0
	s_delay_alu instid0(VALU_DEP_3) | instskip(SKIP_1) | instid1(VALU_DEP_1)
	v_cndmask_b32_e64 v16, 0xff800000, v16, s1
	v_cmp_ne_u32_e64 s1, 9, v27
	v_cndmask_b32_e64 v17, 0xff800000, v17, s1
	v_cmp_ne_u32_e64 s1, 8, v27
	s_delay_alu instid0(VALU_DEP_1) | instskip(SKIP_1) | instid1(VALU_DEP_1)
	v_cndmask_b32_e64 v18, 0xff800000, v18, s1
	v_cmp_ne_u32_e64 s1, 7, v27
	v_cndmask_b32_e64 v19, 0xff800000, v19, s1
	v_cmp_ne_u32_e64 s1, 6, v27
	s_delay_alu instid0(VALU_DEP_1) | instskip(SKIP_1) | instid1(VALU_DEP_1)
	;; [unrolled: 5-line block ×4, first 2 shown]
	v_cndmask_b32_e64 v24, 0xff800000, v24, s1
	v_cmp_ne_u32_e64 s1, 1, v27
	v_cndmask_b32_e64 v25, 0xff800000, v25, s1
	v_cmp_ne_u32_e64 s1, 0, v27
	v_fma_f32 v27, 0x3fb8aa3b, v11, -v28
	v_sub_f32_e32 v28, v28, v30
	v_cvt_i32_f32_e32 v30, v30
	s_delay_alu instid0(VALU_DEP_4) | instskip(NEXT) | instid1(VALU_DEP_4)
	v_cndmask_b32_e64 v26, 0xff800000, v26, s1
	v_fmac_f32_e32 v27, 0x32a5705f, v11
	s_delay_alu instid0(VALU_DEP_1) | instskip(NEXT) | instid1(VALU_DEP_1)
	v_add_f32_e32 v27, v28, v27
	v_exp_f32_e32 v27, v27
	s_waitcnt_depctr 0xfff
	v_ldexp_f32 v27, v27, v30
	s_delay_alu instid0(VALU_DEP_1) | instskip(SKIP_1) | instid1(VALU_DEP_2)
	v_cndmask_b32_e32 v27, 0, v27, vcc_lo
	v_cmp_nlt_f32_e32 vcc_lo, 0x42b17218, v11
	v_cndmask_b32_e32 v11, 0x7f800000, v27, vcc_lo
	global_store_b32 v[4:5], v11, off
	v_add_co_u32 v4, vcc_lo, v4, 4
	v_add_f32_e32 v13, v13, v11
	v_add_co_ci_u32_e32 v5, vcc_lo, 0, v5, vcc_lo
	s_cbranch_scc0 .LBB256_7
.LBB256_8:
	s_delay_alu instid0(VALU_DEP_2)
	v_cmp_neq_f32_e32 vcc_lo, 0, v13
	s_and_b32 exec_lo, exec_lo, vcc_lo
	s_cbranch_execz .LBB256_12
; %bb.9:
	s_and_not1_b32 vcc_lo, exec_lo, s2
	s_cbranch_vccnz .LBB256_12
; %bb.10:
	s_waitcnt vmcnt(1)
	v_div_scale_f32 v0, null, v13, v13, 1.0
	v_div_scale_f32 v3, vcc_lo, 1.0, v13, 1.0
	v_ashrrev_i32_e32 v9, 31, v8
	s_delay_alu instid0(VALU_DEP_3) | instskip(SKIP_2) | instid1(VALU_DEP_1)
	v_rcp_f32_e32 v1, v0
	s_waitcnt_depctr 0xfff
	v_fma_f32 v2, -v0, v1, 1.0
	v_fmac_f32_e32 v1, v2, v1
	s_delay_alu instid0(VALU_DEP_1) | instskip(SKIP_1) | instid1(VALU_DEP_1)
	v_mul_f32_e32 v2, v3, v1
	s_waitcnt vmcnt(0)
	v_fma_f32 v4, -v0, v2, v3
	s_delay_alu instid0(VALU_DEP_1) | instskip(NEXT) | instid1(VALU_DEP_1)
	v_fmac_f32_e32 v2, v4, v1
	v_fma_f32 v0, -v0, v2, v3
	s_delay_alu instid0(VALU_DEP_1) | instskip(SKIP_1) | instid1(VALU_DEP_2)
	v_div_fmas_f32 v2, v0, v1, v2
	v_lshlrev_b64 v[0:1], 2, v[8:9]
	v_div_fixup_f32 v2, v2, v13, 1.0
	s_delay_alu instid0(VALU_DEP_2) | instskip(NEXT) | instid1(VALU_DEP_3)
	v_add_co_u32 v0, vcc_lo, s10, v0
	v_add_co_ci_u32_e32 v1, vcc_lo, s11, v1, vcc_lo
.LBB256_11:                             ; =>This Inner Loop Header: Depth=1
	global_load_b32 v3, v[0:1], off
	s_add_i32 s12, s12, -1
	s_delay_alu instid0(SALU_CYCLE_1)
	s_cmp_lg_u32 s12, 0
	s_waitcnt vmcnt(0)
	v_mul_f32_e32 v3, v2, v3
	global_store_b32 v[0:1], v3, off
	v_add_co_u32 v0, vcc_lo, v0, 4
	v_add_co_ci_u32_e32 v1, vcc_lo, 0, v1, vcc_lo
	s_cbranch_scc1 .LBB256_11
.LBB256_12:
	s_nop 0
	s_sendmsg sendmsg(MSG_DEALLOC_VGPRS)
	s_endpgm
	.section	.rodata,"a",@progbits
	.p2align	6, 0x0
	.amdhsa_kernel _ZN4vllm3moe17topkGatingSoftmaxItLi16ELi16ELi8ELi32ELb1ELi8ELNS0_23SharedExpertScoringFuncE1EEEvPKT_PKbPfiPiS9_iiiiii
		.amdhsa_group_segment_fixed_size 0
		.amdhsa_private_segment_fixed_size 0
		.amdhsa_kernarg_size 72
		.amdhsa_user_sgpr_count 15
		.amdhsa_user_sgpr_dispatch_ptr 0
		.amdhsa_user_sgpr_queue_ptr 0
		.amdhsa_user_sgpr_kernarg_segment_ptr 1
		.amdhsa_user_sgpr_dispatch_id 0
		.amdhsa_user_sgpr_private_segment_size 0
		.amdhsa_wavefront_size32 1
		.amdhsa_uses_dynamic_stack 0
		.amdhsa_enable_private_segment 0
		.amdhsa_system_sgpr_workgroup_id_x 1
		.amdhsa_system_sgpr_workgroup_id_y 0
		.amdhsa_system_sgpr_workgroup_id_z 0
		.amdhsa_system_sgpr_workgroup_info 0
		.amdhsa_system_vgpr_workitem_id 1
		.amdhsa_next_free_vgpr 62
		.amdhsa_next_free_sgpr 20
		.amdhsa_reserve_vcc 1
		.amdhsa_float_round_mode_32 0
		.amdhsa_float_round_mode_16_64 0
		.amdhsa_float_denorm_mode_32 3
		.amdhsa_float_denorm_mode_16_64 3
		.amdhsa_dx10_clamp 1
		.amdhsa_ieee_mode 1
		.amdhsa_fp16_overflow 0
		.amdhsa_workgroup_processor_mode 1
		.amdhsa_memory_ordered 1
		.amdhsa_forward_progress 0
		.amdhsa_shared_vgpr_count 0
		.amdhsa_exception_fp_ieee_invalid_op 0
		.amdhsa_exception_fp_denorm_src 0
		.amdhsa_exception_fp_ieee_div_zero 0
		.amdhsa_exception_fp_ieee_overflow 0
		.amdhsa_exception_fp_ieee_underflow 0
		.amdhsa_exception_fp_ieee_inexact 0
		.amdhsa_exception_int_div_zero 0
	.end_amdhsa_kernel
	.section	.text._ZN4vllm3moe17topkGatingSoftmaxItLi16ELi16ELi8ELi32ELb1ELi8ELNS0_23SharedExpertScoringFuncE1EEEvPKT_PKbPfiPiS9_iiiiii,"axG",@progbits,_ZN4vllm3moe17topkGatingSoftmaxItLi16ELi16ELi8ELi32ELb1ELi8ELNS0_23SharedExpertScoringFuncE1EEEvPKT_PKbPfiPiS9_iiiiii,comdat
.Lfunc_end256:
	.size	_ZN4vllm3moe17topkGatingSoftmaxItLi16ELi16ELi8ELi32ELb1ELi8ELNS0_23SharedExpertScoringFuncE1EEEvPKT_PKbPfiPiS9_iiiiii, .Lfunc_end256-_ZN4vllm3moe17topkGatingSoftmaxItLi16ELi16ELi8ELi32ELb1ELi8ELNS0_23SharedExpertScoringFuncE1EEEvPKT_PKbPfiPiS9_iiiiii
                                        ; -- End function
	.section	.AMDGPU.csdata,"",@progbits
; Kernel info:
; codeLenInByte = 3956
; NumSgprs: 22
; NumVgprs: 62
; ScratchSize: 0
; MemoryBound: 0
; FloatMode: 240
; IeeeMode: 1
; LDSByteSize: 0 bytes/workgroup (compile time only)
; SGPRBlocks: 2
; VGPRBlocks: 7
; NumSGPRsForWavesPerEU: 22
; NumVGPRsForWavesPerEU: 62
; Occupancy: 16
; WaveLimiterHint : 0
; COMPUTE_PGM_RSRC2:SCRATCH_EN: 0
; COMPUTE_PGM_RSRC2:USER_SGPR: 15
; COMPUTE_PGM_RSRC2:TRAP_HANDLER: 0
; COMPUTE_PGM_RSRC2:TGID_X_EN: 1
; COMPUTE_PGM_RSRC2:TGID_Y_EN: 0
; COMPUTE_PGM_RSRC2:TGID_Z_EN: 0
; COMPUTE_PGM_RSRC2:TIDIG_COMP_CNT: 1
	.section	.text._ZN4vllm3moe17topkGatingSoftmaxItLi16ELi16ELi8ELi32ELb0ELi8ELNS0_23SharedExpertScoringFuncE1EEEvPKT_PKbPfiPiS9_iiiiii,"axG",@progbits,_ZN4vllm3moe17topkGatingSoftmaxItLi16ELi16ELi8ELi32ELb0ELi8ELNS0_23SharedExpertScoringFuncE1EEEvPKT_PKbPfiPiS9_iiiiii,comdat
	.protected	_ZN4vllm3moe17topkGatingSoftmaxItLi16ELi16ELi8ELi32ELb0ELi8ELNS0_23SharedExpertScoringFuncE1EEEvPKT_PKbPfiPiS9_iiiiii ; -- Begin function _ZN4vllm3moe17topkGatingSoftmaxItLi16ELi16ELi8ELi32ELb0ELi8ELNS0_23SharedExpertScoringFuncE1EEEvPKT_PKbPfiPiS9_iiiiii
	.globl	_ZN4vllm3moe17topkGatingSoftmaxItLi16ELi16ELi8ELi32ELb0ELi8ELNS0_23SharedExpertScoringFuncE1EEEvPKT_PKbPfiPiS9_iiiiii
	.p2align	8
	.type	_ZN4vllm3moe17topkGatingSoftmaxItLi16ELi16ELi8ELi32ELb0ELi8ELNS0_23SharedExpertScoringFuncE1EEEvPKT_PKbPfiPiS9_iiiiii,@function
_ZN4vllm3moe17topkGatingSoftmaxItLi16ELi16ELi8ELi32ELb0ELi8ELNS0_23SharedExpertScoringFuncE1EEEvPKT_PKbPfiPiS9_iiiiii: ; @_ZN4vllm3moe17topkGatingSoftmaxItLi16ELi16ELi8ELi32ELb0ELi8ELNS0_23SharedExpertScoringFuncE1EEEvPKT_PKbPfiPiS9_iiiiii
; %bb.0:
	s_load_b32 s33, s[0:1], 0x18
	v_bfe_u32 v1, v0, 10, 10
	v_and_b32_e32 v26, 0x3ff, v0
	s_lshl_b32 s35, s15, 8
	s_mov_b32 s2, exec_lo
	s_delay_alu instid0(VALU_DEP_2) | instskip(NEXT) | instid1(VALU_DEP_1)
	v_lshlrev_b32_e32 v25, 5, v1
	v_add3_u32 v27, v25, v26, s35
	s_waitcnt lgkmcnt(0)
	s_delay_alu instid0(VALU_DEP_1)
	v_cmpx_gt_i32_e64 s33, v27
	s_cbranch_execz .LBB257_12
; %bb.1:
	s_clause 0x1
	s_load_b128 s[4:7], s[0:1], 0x0
	s_load_b64 s[28:29], s[0:1], 0x10
	s_waitcnt lgkmcnt(0)
	s_cmp_eq_u64 s[6:7], 0
	s_cbranch_scc1 .LBB257_3
; %bb.2:
	v_ashrrev_i32_e32 v1, 31, v27
	v_add_co_u32 v0, vcc_lo, s6, v27
	s_delay_alu instid0(VALU_DEP_2) | instskip(SKIP_3) | instid1(VALU_DEP_1)
	v_add_co_ci_u32_e32 v1, vcc_lo, s7, v1, vcc_lo
	global_load_u8 v0, v[0:1], off
	s_waitcnt vmcnt(0)
	v_and_b32_e32 v0, 1, v0
	v_cmp_eq_u32_e32 vcc_lo, 1, v0
	s_xor_b32 s2, vcc_lo, -1
	s_delay_alu instid0(SALU_CYCLE_1)
	s_or_not1_b32 s34, s2, exec_lo
	s_branch .LBB257_4
.LBB257_3:
	s_mov_b32 s34, -1
.LBB257_4:
	s_clause 0x1
	s_load_b64 s[30:31], s[0:1], 0x40
	s_load_b128 s[24:27], s[0:1], 0x30
	s_waitcnt lgkmcnt(0)
	v_mul_lo_u32 v0, v27, s31
	s_cmp_gt_i32 s24, 0
	s_delay_alu instid0(VALU_DEP_1) | instskip(NEXT) | instid1(VALU_DEP_1)
	v_ashrrev_i32_e32 v1, 31, v0
	v_lshlrev_b64 v[0:1], 1, v[0:1]
	s_delay_alu instid0(VALU_DEP_1) | instskip(NEXT) | instid1(VALU_DEP_2)
	v_add_co_u32 v0, vcc_lo, s4, v0
	v_add_co_ci_u32_e32 v1, vcc_lo, s5, v1, vcc_lo
	s_clause 0x2
	global_load_b128 v[3:6], v[0:1], off
	global_load_b128 v[7:10], v[0:1], off offset:16
	global_load_b128 v[11:14], v[0:1], off offset:32
	v_mul_lo_u32 v0, v27, s27
	s_waitcnt vmcnt(2)
	v_lshrrev_b32_e32 v15, 16, v3
	s_waitcnt vmcnt(1)
	v_lshrrev_b32_e32 v23, 16, v7
	;; [unrolled: 2-line block ×3, first 2 shown]
	v_and_b32_e32 v39, 0xffff, v13
	v_lshrrev_b32_e32 v28, 16, v8
	v_lshrrev_b32_e32 v29, 16, v9
	v_cvt_f32_u32_e32 v13, v23
	v_cvt_f32_u32_e32 v23, v35
	v_lshrrev_b32_e32 v33, 16, v11
	v_lshrrev_b32_e32 v36, 16, v14
	v_and_b32_e32 v37, 0xffff, v11
	v_cvt_f32_u32_e32 v11, v28
	v_mul_f32_e32 v35, 0xbfb8aa3b, v23
	v_and_b32_e32 v3, 0xffff, v3
	v_lshrrev_b32_e32 v16, 16, v4
	v_and_b32_e32 v4, 0xffff, v4
	v_lshrrev_b32_e32 v17, 16, v5
	v_fma_f32 v49, 0xbfb8aa3b, v23, -v35
	v_rndne_f32_e32 v50, v35
	v_and_b32_e32 v30, 0xffff, v9
	v_cvt_f32_u32_e32 v9, v29
	v_cvt_f32_u32_e32 v29, v36
	v_fmac_f32_e32 v49, 0xb2a5705f, v23
	v_sub_f32_e32 v35, v35, v50
	v_and_b32_e32 v40, 0xffff, v14
	v_cvt_f32_u32_e32 v24, v3
	v_and_b32_e32 v5, 0xffff, v5
	v_and_b32_e32 v7, 0xffff, v7
	v_add_f32_e32 v35, v35, v49
	v_cvt_f32_u32_e32 v28, v40
	v_lshrrev_b32_e32 v31, 16, v10
	v_cvt_f32_u32_e32 v21, v4
	v_cvt_f32_u32_e32 v4, v33
	;; [unrolled: 1-line block ×3, first 2 shown]
	v_mul_f32_e32 v36, 0xbfb8aa3b, v28
	v_cvt_f32_u32_e32 v14, v7
	v_cvt_f32_u32_e32 v7, v31
	v_lshrrev_b32_e32 v18, 16, v6
	v_lshrrev_b32_e32 v34, 16, v12
	v_rndne_f32_e32 v52, v36
	v_fma_f32 v51, 0xbfb8aa3b, v28, -v36
	v_cvt_f32_u32_e32 v20, v16
	v_cvt_f32_u32_e32 v22, v15
	v_cvt_f32_u32_e32 v15, v18
	v_sub_f32_e32 v36, v36, v52
	v_cvt_f32_u32_e32 v3, v37
	v_mul_f32_e32 v37, 0xbfb8aa3b, v29
	v_fmac_f32_e32 v51, 0xb2a5705f, v28
	v_cvt_i32_f32_e32 v52, v52
	v_add_nc_u32_e32 v1, s24, v0
	v_cmp_lt_f32_e64 s2, v24, v22
	v_rndne_f32_e32 v54, v37
	v_and_b32_e32 v38, 0xffff, v12
	v_fma_f32 v53, 0xbfb8aa3b, v29, -v37
	v_exp_f32_e32 v35, v35
	v_cvt_i32_f32_e32 v50, v50
	v_sub_f32_e32 v37, v37, v54
	v_cvt_f32_u32_e32 v5, v38
	v_mul_f32_e32 v31, 0xbfb8aa3b, v4
	v_fmac_f32_e32 v53, 0xb2a5705f, v29
	v_cndmask_b32_e64 v38, v24, v22, s2
	v_cvt_i32_f32_e32 v54, v54
	v_add_f32_e32 v36, v36, v51
	v_fma_f32 v41, 0xbfb8aa3b, v4, -v31
	v_rndne_f32_e32 v42, v31
	v_cmp_lt_f32_e64 s3, v38, v21
	v_ldexp_f32 v35, v35, v50
	v_exp_f32_e32 v36, v36
	v_fmac_f32_e32 v41, 0xb2a5705f, v4
	v_sub_f32_e32 v31, v31, v42
	v_and_b32_e32 v6, 0xffff, v6
	v_cvt_i32_f32_e32 v42, v42
	v_cndmask_b32_e64 v38, v38, v21, s3
	v_cvt_f32_u32_e32 v17, v17
	v_add_f32_e32 v31, v31, v41
	v_cvt_f32_u32_e32 v16, v6
	v_cvt_f32_u32_e32 v6, v34
	v_ldexp_f32 v36, v36, v52
	v_cmp_lt_f32_e64 s4, v38, v20
	v_exp_f32_e32 v31, v31
	v_add_f32_e32 v37, v37, v53
	v_mul_f32_e32 v33, 0xbfb8aa3b, v6
	s_delay_alu instid0(VALU_DEP_3) | instskip(NEXT) | instid1(VALU_DEP_3)
	v_cndmask_b32_e64 v38, v38, v20, s4
	v_exp_f32_e32 v37, v37
	s_delay_alu instid0(VALU_DEP_2) | instskip(SKIP_2) | instid1(TRANS32_DEP_2)
	v_fma_f32 v45, 0xbfb8aa3b, v6, -v33
	v_rndne_f32_e32 v46, v33
	v_and_b32_e32 v8, 0xffff, v8
	v_ldexp_f32 v31, v31, v42
	v_cmp_lt_f32_e64 s5, v38, v19
	v_fmac_f32_e32 v45, 0xb2a5705f, v6
	v_sub_f32_e32 v33, v33, v46
	v_and_b32_e32 v32, 0xffff, v10
	v_cvt_f32_u32_e32 v12, v8
	v_cvt_f32_u32_e32 v10, v30
	s_delay_alu instid0(VALU_DEP_4) | instskip(NEXT) | instid1(VALU_DEP_4)
	v_dual_mul_f32 v30, 0xbfb8aa3b, v3 :: v_dual_add_f32 v33, v33, v45
	v_cvt_f32_u32_e32 v8, v32
	v_mul_f32_e32 v32, 0xbfb8aa3b, v5
	v_ashrrev_i32_e32 v2, 31, v1
	s_delay_alu instid0(VALU_DEP_4)
	v_rndne_f32_e32 v40, v30
	v_exp_f32_e32 v33, v33
	v_cvt_i32_f32_e32 v46, v46
	v_fma_f32 v43, 0xbfb8aa3b, v5, -v32
	v_rndne_f32_e32 v44, v32
	v_lshlrev_b64 v[1:2], 2, v[1:2]
	v_cndmask_b32_e64 v38, v38, v19, s5
	v_ldexp_f32 v37, v37, v54
	s_delay_alu instid0(VALU_DEP_4) | instskip(SKIP_3) | instid1(VALU_DEP_4)
	v_dual_fmac_f32 v43, 0xb2a5705f, v5 :: v_dual_sub_f32 v32, v32, v44
	v_cvt_i32_f32_e32 v44, v44
	v_add_co_u32 v1, vcc_lo, s28, v1
	v_add_co_ci_u32_e32 v2, vcc_lo, s29, v2, vcc_lo
	v_add_f32_e32 v32, v32, v43
	v_cvt_f32_u32_e32 v18, v39
	v_fma_f32 v39, 0xbfb8aa3b, v3, -v30
	v_sub_f32_e32 v30, v30, v40
	v_cmp_nlt_f32_e32 vcc_lo, 0x42ce8ed0, v3
	v_cvt_i32_f32_e32 v40, v40
	v_mul_f32_e32 v34, 0xbfb8aa3b, v18
	v_fmac_f32_e32 v39, 0xb2a5705f, v3
	v_exp_f32_e32 v32, v32
	v_ldexp_f32 v33, v33, v46
	v_cmp_lt_f32_e64 s7, v38, v17
	v_fma_f32 v47, 0xbfb8aa3b, v18, -v34
	v_add_f32_e32 v30, v30, v39
	v_rndne_f32_e32 v48, v34
	s_delay_alu instid0(VALU_DEP_4) | instskip(NEXT) | instid1(VALU_DEP_4)
	v_cndmask_b32_e64 v38, v38, v17, s7
	v_fmac_f32_e32 v47, 0xb2a5705f, v18
	s_delay_alu instid0(VALU_DEP_4) | instskip(NEXT) | instid1(VALU_DEP_3)
	v_exp_f32_e32 v30, v30
	v_sub_f32_e32 v34, v34, v48
	v_ldexp_f32 v32, v32, v44
	v_cvt_i32_f32_e32 v48, v48
	v_cmp_lt_f32_e64 s8, v38, v16
	s_delay_alu instid0(VALU_DEP_4) | instskip(NEXT) | instid1(VALU_DEP_2)
	v_add_f32_e32 v34, v34, v47
	v_cndmask_b32_e64 v38, v38, v16, s8
	s_delay_alu instid0(TRANS32_DEP_1) | instskip(NEXT) | instid1(VALU_DEP_3)
	v_ldexp_f32 v30, v30, v40
	v_exp_f32_e32 v34, v34
	s_delay_alu instid0(VALU_DEP_2) | instskip(NEXT) | instid1(VALU_DEP_2)
	v_cmp_lt_f32_e64 s6, v38, v15
	v_cndmask_b32_e32 v30, 0, v30, vcc_lo
	v_cmp_nlt_f32_e32 vcc_lo, 0x42ce8ed0, v4
	s_delay_alu instid0(VALU_DEP_3) | instskip(SKIP_2) | instid1(TRANS32_DEP_1)
	v_cndmask_b32_e64 v38, v38, v15, s6
	v_cndmask_b32_e32 v31, 0, v31, vcc_lo
	v_cmp_nlt_f32_e32 vcc_lo, 0x42ce8ed0, v5
	v_ldexp_f32 v34, v34, v48
	s_delay_alu instid0(VALU_DEP_4) | instskip(SKIP_2) | instid1(VALU_DEP_3)
	v_cmp_lt_f32_e64 s9, v38, v14
	v_cndmask_b32_e32 v32, 0, v32, vcc_lo
	v_cmp_nlt_f32_e32 vcc_lo, 0x42ce8ed0, v6
	v_cndmask_b32_e64 v38, v38, v14, s9
	v_cndmask_b32_e32 v33, 0, v33, vcc_lo
	v_cmp_nlt_f32_e32 vcc_lo, 0x42ce8ed0, v18
	s_delay_alu instid0(VALU_DEP_3)
	v_cmp_lt_f32_e64 s12, v38, v13
	v_cndmask_b32_e32 v34, 0, v34, vcc_lo
	v_cmp_nlt_f32_e32 vcc_lo, 0x42ce8ed0, v23
	v_cndmask_b32_e32 v35, 0, v35, vcc_lo
	v_cmp_nlt_f32_e32 vcc_lo, 0x42ce8ed0, v28
	;; [unrolled: 2-line block ×3, first 2 shown]
	v_cndmask_b32_e32 v37, 0, v37, vcc_lo
	v_cmp_ngt_f32_e32 vcc_lo, 0xc2b17218, v3
	v_cndmask_b32_e32 v3, 0x7f800000, v30, vcc_lo
	v_cmp_ngt_f32_e32 vcc_lo, 0xc2b17218, v4
	v_cndmask_b32_e64 v30, v38, v13, s12
	v_cndmask_b32_e32 v4, 0x7f800000, v31, vcc_lo
	v_cmp_ngt_f32_e32 vcc_lo, 0xc2b17218, v5
	s_delay_alu instid0(VALU_DEP_3) | instskip(SKIP_4) | instid1(VALU_DEP_2)
	v_cmp_lt_f32_e64 s15, v30, v12
	v_cndmask_b32_e32 v5, 0x7f800000, v32, vcc_lo
	v_cmp_ngt_f32_e32 vcc_lo, 0xc2b17218, v6
	v_cndmask_b32_e32 v6, 0x7f800000, v33, vcc_lo
	v_cmp_ngt_f32_e32 vcc_lo, 0xc2b17218, v18
	v_add_f32_e32 v6, 1.0, v6
	v_cndmask_b32_e32 v18, 0x7f800000, v34, vcc_lo
	v_cmp_ngt_f32_e32 vcc_lo, 0xc2b17218, v23
	s_delay_alu instid0(VALU_DEP_3) | instskip(SKIP_2) | instid1(VALU_DEP_2)
	v_div_scale_f32 v38, s19, 1.0, v6, 1.0
	v_cndmask_b32_e32 v23, 0x7f800000, v35, vcc_lo
	v_cmp_ngt_f32_e32 vcc_lo, 0xc2b17218, v28
	v_dual_add_f32 v23, 1.0, v23 :: v_dual_cndmask_b32 v28, 0x7f800000, v36
	v_add_f32_e32 v31, 1.0, v18
	v_cmp_ngt_f32_e32 vcc_lo, 0xc2b17218, v29
	v_cndmask_b32_e64 v18, v30, v12, s15
	s_delay_alu instid0(VALU_DEP_4) | instskip(SKIP_2) | instid1(VALU_DEP_3)
	v_div_scale_f32 v41, null, v23, v23, 1.0
	v_dual_add_f32 v32, 1.0, v28 :: v_dual_cndmask_b32 v29, 0x7f800000, v37
	v_div_scale_f32 v37, null, v6, v6, 1.0
	v_rcp_f32_e32 v52, v41
	v_div_scale_f32 v39, null, v31, v31, 1.0
	s_delay_alu instid0(VALU_DEP_2) | instskip(SKIP_1) | instid1(VALU_DEP_2)
	v_rcp_f32_e32 v50, v37
	v_div_scale_f32 v43, null, v32, v32, 1.0
	v_rcp_f32_e32 v51, v39
	v_div_scale_f32 v42, s21, 1.0, v23, 1.0
	s_delay_alu instid0(VALU_DEP_2) | instskip(SKIP_3) | instid1(TRANS32_DEP_3)
	v_rcp_f32_e32 v53, v43
	v_fma_f32 v60, -v41, v52, 1.0
	v_cmp_lt_f32_e64 s16, v18, v11
	v_div_scale_f32 v40, s20, 1.0, v31, 1.0
	v_fma_f32 v58, -v37, v50, 1.0
	s_delay_alu instid0(VALU_DEP_4) | instskip(NEXT) | instid1(VALU_DEP_4)
	v_fmac_f32_e32 v52, v60, v52
	v_cndmask_b32_e64 v18, v18, v11, s16
	s_delay_alu instid0(TRANS32_DEP_2)
	v_fma_f32 v59, -v39, v51, 1.0
	v_div_scale_f32 v44, s22, 1.0, v32, 1.0
	v_fmac_f32_e32 v50, v58, v50
	v_mul_f32_e32 v60, v42, v52
	v_fma_f32 v61, -v43, v53, 1.0
	v_cmp_lt_f32_e64 s13, v18, v10
	s_delay_alu instid0(VALU_DEP_4) | instskip(SKIP_3) | instid1(VALU_DEP_4)
	v_dual_mul_f32 v58, v38, v50 :: v_dual_add_f32 v5, 1.0, v5
	v_add_f32_e32 v4, 1.0, v4
	v_fma_f32 v68, -v41, v60, v42
	v_fmac_f32_e32 v53, v61, v53
	v_fma_f32 v66, -v37, v58, v38
	v_div_scale_f32 v35, null, v5, v5, 1.0
	v_div_scale_f32 v30, null, v4, v4, 1.0
	v_div_scale_f32 v34, s17, 1.0, v4, 1.0
	s_delay_alu instid0(VALU_DEP_3) | instskip(NEXT) | instid1(VALU_DEP_2)
	v_rcp_f32_e32 v49, v35
	v_rcp_f32_e32 v48, v30
	v_div_scale_f32 v36, s18, 1.0, v5, 1.0
	v_fmac_f32_e32 v60, v68, v52
	v_cndmask_b32_e64 v18, v18, v10, s13
	v_dual_mul_f32 v61, v44, v53 :: v_dual_fmac_f32 v58, v66, v50
	s_waitcnt_depctr 0xfff
	v_fma_f32 v57, -v35, v49, 1.0
	v_fma_f32 v56, -v30, v48, 1.0
	v_cmp_lt_f32_e64 s10, v18, v9
	v_fma_f32 v69, -v43, v61, v44
	s_delay_alu instid0(VALU_DEP_3) | instskip(NEXT) | instid1(VALU_DEP_3)
	v_dual_fmac_f32 v49, v57, v49 :: v_dual_fmac_f32 v48, v56, v48
	v_cndmask_b32_e64 v18, v18, v9, s10
	s_delay_alu instid0(VALU_DEP_3) | instskip(NEXT) | instid1(VALU_DEP_3)
	v_fmac_f32_e32 v61, v69, v53
	v_dual_mul_f32 v57, v36, v49 :: v_dual_mul_f32 v56, v34, v48
	v_add_f32_e32 v3, 1.0, v3
	s_delay_alu instid0(VALU_DEP_4) | instskip(NEXT) | instid1(VALU_DEP_3)
	v_cmp_lt_f32_e64 s11, v18, v8
	v_fma_f32 v65, -v35, v57, v36
	s_delay_alu instid0(VALU_DEP_4) | instskip(SKIP_3) | instid1(VALU_DEP_4)
	v_fma_f32 v64, -v30, v56, v34
	v_add_f32_e32 v33, 1.0, v29
	v_div_scale_f32 v28, null, v3, v3, 1.0
	v_div_scale_f32 v29, vcc_lo, 1.0, v3, 1.0
	v_fmac_f32_e32 v56, v64, v48
	s_delay_alu instid0(VALU_DEP_4) | instskip(NEXT) | instid1(VALU_DEP_4)
	v_div_scale_f32 v45, null, v33, v33, 1.0
	v_rcp_f32_e32 v47, v28
	v_div_scale_f32 v46, s23, 1.0, v33, 1.0
	s_delay_alu instid0(VALU_DEP_2)
	v_rcp_f32_e32 v54, v45
	v_fmac_f32_e32 v57, v65, v49
	v_cndmask_b32_e64 v18, v18, v8, s11
	s_waitcnt_depctr 0xfff
	v_fma_f32 v55, -v28, v47, 1.0
	v_cmp_lt_f32_e64 s14, v18, v7
	v_fma_f32 v62, -v45, v54, 1.0
	s_delay_alu instid0(VALU_DEP_3) | instskip(NEXT) | instid1(VALU_DEP_3)
	v_fmac_f32_e32 v47, v55, v47
	v_cndmask_b32_e64 v18, v18, v7, s14
	s_delay_alu instid0(VALU_DEP_2) | instskip(NEXT) | instid1(VALU_DEP_1)
	v_dual_fmac_f32 v54, v62, v54 :: v_dual_mul_f32 v55, v29, v47
	v_mul_f32_e32 v62, v46, v54
	s_delay_alu instid0(VALU_DEP_2) | instskip(NEXT) | instid1(VALU_DEP_2)
	v_fma_f32 v63, -v28, v55, v29
	v_fma_f32 v70, -v45, v62, v46
	v_fmac_f32_e32 v51, v59, v51
	s_delay_alu instid0(VALU_DEP_2) | instskip(NEXT) | instid1(VALU_DEP_2)
	v_dual_fmac_f32 v55, v63, v47 :: v_dual_fmac_f32 v62, v70, v54
	v_mul_f32_e32 v59, v40, v51
	s_delay_alu instid0(VALU_DEP_2)
	v_fma_f32 v28, -v28, v55, v29
	v_fma_f32 v29, -v30, v56, v34
	;; [unrolled: 1-line block ×5, first 2 shown]
	v_div_fmas_f32 v28, v28, v47, v55
	s_mov_b32 vcc_lo, s17
	v_fma_f32 v36, -v41, v60, v42
	v_div_fmas_f32 v29, v29, v48, v56
	v_fmac_f32_e32 v59, v67, v51
	s_mov_b32 vcc_lo, s18
	v_div_fixup_f32 v3, v28, v3, 1.0
	v_div_fmas_f32 v30, v30, v49, v57
	s_mov_b32 vcc_lo, s19
	v_fma_f32 v35, -v39, v59, v40
	v_div_fmas_f32 v28, v34, v50, v58
	s_mov_b32 vcc_lo, s20
	v_fma_f32 v37, -v43, v61, v44
	v_div_fixup_f32 v4, v29, v4, 1.0
	v_div_fmas_f32 v29, v35, v51, v59
	s_mov_b32 vcc_lo, s21
	v_fma_f32 v38, -v45, v62, v46
	v_div_fixup_f32 v5, v30, v5, 1.0
	v_div_fmas_f32 v30, v36, v52, v60
	s_mov_b32 vcc_lo, s22
	v_div_fixup_f32 v6, v28, v6, 1.0
	v_div_fmas_f32 v34, v37, v53, v61
	s_mov_b32 vcc_lo, s23
	v_div_fixup_f32 v28, v29, v31, 1.0
	v_div_fmas_f32 v35, v38, v54, v62
	v_div_fixup_f32 v29, v30, v23, 1.0
	v_mov_b32_e32 v23, 0
	v_div_fixup_f32 v30, v34, v32, 1.0
	s_cselect_b32 s17, -1, 0
	v_div_fixup_f32 v31, v35, v33, 1.0
	s_cmp_lt_i32 s24, 1
	s_clause 0x1
	global_store_b128 v[1:2], v[3:6], off
	global_store_b128 v[1:2], v[28:31], off offset:16
	s_cbranch_scc1 .LBB257_8
; %bb.5:
	v_cndmask_b32_e64 v1, 0, 1, s2
	v_sub_f32_e32 v23, v18, v18
	v_mul_lo_u32 v2, v27, s30
	v_mul_lo_u32 v28, v27, s24
	s_delay_alu instid0(VALU_DEP_4) | instskip(NEXT) | instid1(VALU_DEP_4)
	v_cndmask_b32_e64 v1, v1, 2, s3
	v_mul_f32_e32 v3, 0x3fb8aa3b, v23
	s_delay_alu instid0(VALU_DEP_2) | instskip(NEXT) | instid1(VALU_DEP_2)
	v_cndmask_b32_e64 v1, v1, 3, s4
	v_rndne_f32_e32 v4, v3
	v_fma_f32 v5, 0x3fb8aa3b, v23, -v3
	s_delay_alu instid0(VALU_DEP_3) | instskip(NEXT) | instid1(VALU_DEP_3)
	v_cndmask_b32_e64 v1, v1, 4, s5
	v_sub_f32_e32 v3, v3, v4
	s_delay_alu instid0(VALU_DEP_3) | instskip(SKIP_1) | instid1(VALU_DEP_4)
	v_fmac_f32_e32 v5, 0x32a5705f, v23
	v_cvt_i32_f32_e32 v32, v4
	v_cndmask_b32_e64 v1, v1, 5, s7
	s_delay_alu instid0(VALU_DEP_3) | instskip(SKIP_1) | instid1(VALU_DEP_3)
	v_add_f32_e32 v30, v3, v5
	v_ashrrev_i32_e32 v3, 31, v2
	v_cndmask_b32_e64 v1, v1, 6, s8
	s_delay_alu instid0(VALU_DEP_3) | instskip(NEXT) | instid1(VALU_DEP_1)
	v_exp_f32_e32 v30, v30
	v_cndmask_b32_e64 v1, v1, 7, s6
	s_load_b128 s[4:7], s[0:1], 0x20
	s_delay_alu instid0(VALU_DEP_1) | instskip(SKIP_3) | instid1(VALU_DEP_1)
	v_cndmask_b32_e64 v1, v1, 8, s9
	s_waitcnt_depctr 0xfff
	v_ldexp_f32 v30, v30, v32
	v_cndmask_b32_e64 v1, v1, 9, s12
	v_cndmask_b32_e64 v6, v1, 10, s15
	v_ashrrev_i32_e32 v1, 31, v0
	s_delay_alu instid0(VALU_DEP_2) | instskip(NEXT) | instid1(VALU_DEP_2)
	v_cndmask_b32_e64 v29, v6, 11, s16
	v_lshlrev_b64 v[5:6], 2, v[0:1]
	v_lshlrev_b64 v[1:2], 2, v[2:3]
	s_delay_alu instid0(VALU_DEP_3) | instskip(SKIP_1) | instid1(VALU_DEP_4)
	v_cndmask_b32_e64 v31, v29, 12, s13
	v_ashrrev_i32_e32 v29, 31, v28
	v_add_co_u32 v5, vcc_lo, s28, v5
	v_add_co_ci_u32_e32 v6, vcc_lo, s29, v6, vcc_lo
	s_delay_alu instid0(VALU_DEP_4) | instskip(NEXT) | instid1(VALU_DEP_4)
	v_cndmask_b32_e64 v31, v31, 13, s10
	v_lshlrev_b64 v[3:4], 2, v[28:29]
	s_waitcnt lgkmcnt(0)
	v_add_co_u32 v28, vcc_lo, s4, v1
	v_add_co_ci_u32_e32 v29, vcc_lo, s5, v2, vcc_lo
	v_cndmask_b32_e64 v31, v31, 14, s11
	v_cmp_ngt_f32_e32 vcc_lo, 0xc2ce8ed0, v23
	s_delay_alu instid0(VALU_DEP_2) | instskip(SKIP_3) | instid1(VALU_DEP_4)
	v_cndmask_b32_e64 v33, v31, 15, s14
	v_cndmask_b32_e32 v32, 0, v30, vcc_lo
	v_add_co_u32 v30, vcc_lo, s6, v3
	v_add_co_ci_u32_e32 v31, vcc_lo, s7, v4, vcc_lo
	v_cmp_ne_u32_e64 s1, 15, v33
	v_cmp_nlt_f32_e32 vcc_lo, 0x42b17218, v23
	v_cmp_gt_i32_e64 s0, s26, v33
	s_delay_alu instid0(VALU_DEP_3) | instskip(SKIP_4) | instid1(VALU_DEP_4)
	v_cndmask_b32_e64 v7, 0xff800000, v7, s1
	v_cmp_ne_u32_e64 s1, 14, v33
	v_cndmask_b32_e32 v23, 0x7f800000, v32, vcc_lo
	v_cmp_le_i32_e32 vcc_lo, s25, v33
	v_subrev_nc_u32_e32 v32, s25, v33
	v_cndmask_b32_e64 v8, 0xff800000, v8, s1
	v_cmp_ne_u32_e64 s1, 13, v33
	s_and_b32 s0, vcc_lo, s0
	v_cmp_ne_u32_e32 vcc_lo, 3, v33
	global_store_b32 v[5:6], v23, off
	v_cndmask_b32_e64 v9, 0xff800000, v9, s1
	v_cmp_ne_u32_e64 s1, 12, v33
	v_cndmask_b32_e32 v20, 0xff800000, v20, vcc_lo
	s_and_b32 vcc_lo, s34, s0
	s_cmp_eq_u32 s24, 1
	v_cndmask_b32_e32 v32, 16, v32, vcc_lo
	v_cndmask_b32_e64 v10, 0xff800000, v10, s1
	v_cmp_ne_u32_e64 s1, 11, v33
	v_cmp_ne_u32_e32 vcc_lo, 2, v33
	global_store_b32 v[28:29], v32, off
	global_store_b32 v[30:31], v27, off
	v_cndmask_b32_e64 v11, 0xff800000, v11, s1
	v_cmp_ne_u32_e64 s1, 10, v33
	v_cndmask_b32_e32 v21, 0xff800000, v21, vcc_lo
	v_cmp_ne_u32_e32 vcc_lo, 1, v33
	s_delay_alu instid0(VALU_DEP_3) | instskip(SKIP_3) | instid1(VALU_DEP_3)
	v_cndmask_b32_e64 v12, 0xff800000, v12, s1
	v_cmp_ne_u32_e64 s1, 9, v33
	v_cndmask_b32_e32 v22, 0xff800000, v22, vcc_lo
	v_cmp_ne_u32_e32 vcc_lo, 0, v33
	v_cndmask_b32_e64 v13, 0xff800000, v13, s1
	v_cmp_ne_u32_e64 s1, 8, v33
	v_cndmask_b32_e32 v24, 0xff800000, v24, vcc_lo
	s_delay_alu instid0(VALU_DEP_2) | instskip(SKIP_1) | instid1(VALU_DEP_1)
	v_cndmask_b32_e64 v14, 0xff800000, v14, s1
	v_cmp_ne_u32_e64 s1, 7, v33
	v_cndmask_b32_e64 v15, 0xff800000, v15, s1
	v_cmp_ne_u32_e64 s1, 6, v33
	s_delay_alu instid0(VALU_DEP_1) | instskip(SKIP_1) | instid1(VALU_DEP_1)
	v_cndmask_b32_e64 v16, 0xff800000, v16, s1
	v_cmp_ne_u32_e64 s1, 5, v33
	v_cndmask_b32_e64 v17, 0xff800000, v17, s1
	v_cmp_ne_u32_e64 s1, 4, v33
	s_delay_alu instid0(VALU_DEP_1)
	v_cndmask_b32_e64 v19, 0xff800000, v19, s1
	s_cbranch_scc1 .LBB257_8
; %bb.6:
	v_add_co_u32 v3, vcc_lo, v3, s6
	v_add_co_ci_u32_e32 v4, vcc_lo, s7, v4, vcc_lo
	v_add_co_u32 v27, vcc_lo, v1, s4
	v_add_co_ci_u32_e32 v28, vcc_lo, s5, v2, vcc_lo
	s_delay_alu instid0(VALU_DEP_4) | instskip(NEXT) | instid1(VALU_DEP_4)
	v_add_co_u32 v1, vcc_lo, v3, 4
	v_add_co_ci_u32_e32 v2, vcc_lo, 0, v4, vcc_lo
	s_delay_alu instid0(VALU_DEP_4) | instskip(NEXT) | instid1(VALU_DEP_4)
	v_add_co_u32 v3, vcc_lo, v27, 4
	v_add_co_ci_u32_e32 v4, vcc_lo, 0, v28, vcc_lo
	s_add_i32 s35, s35, s33
	v_add_co_u32 v5, vcc_lo, v5, 4
	v_add_co_ci_u32_e32 v6, vcc_lo, 0, v6, vcc_lo
	v_add3_u32 v25, s35, v26, v25
	s_add_i32 s2, s24, -1
.LBB257_7:                              ; =>This Inner Loop Header: Depth=1
	v_cmp_gt_f32_e32 vcc_lo, v22, v24
	s_add_i32 s2, s2, -1
	v_cndmask_b32_e32 v26, v24, v22, vcc_lo
	v_cndmask_b32_e64 v27, 0, 1, vcc_lo
	s_delay_alu instid0(VALU_DEP_2) | instskip(SKIP_1) | instid1(VALU_DEP_3)
	v_cmp_gt_f32_e32 vcc_lo, v21, v26
	v_cndmask_b32_e32 v26, v26, v21, vcc_lo
	v_cndmask_b32_e64 v27, v27, 2, vcc_lo
	s_delay_alu instid0(VALU_DEP_2) | instskip(SKIP_1) | instid1(VALU_DEP_3)
	v_cmp_gt_f32_e32 vcc_lo, v20, v26
	;; [unrolled: 4-line block ×13, first 2 shown]
	v_cndmask_b32_e32 v26, v26, v8, vcc_lo
	v_cndmask_b32_e64 v27, v27, 14, vcc_lo
	s_delay_alu instid0(VALU_DEP_2) | instskip(NEXT) | instid1(VALU_DEP_2)
	v_cmp_gt_f32_e32 vcc_lo, v7, v26
	v_cndmask_b32_e64 v27, v27, 15, vcc_lo
	v_cndmask_b32_e32 v26, v26, v7, vcc_lo
	s_delay_alu instid0(VALU_DEP_2) | instskip(NEXT) | instid1(VALU_DEP_2)
	v_cmp_ne_u32_e64 s1, 15, v27
	v_sub_f32_e32 v26, v26, v18
	v_cmp_le_i32_e32 vcc_lo, s25, v27
	v_cmp_gt_i32_e64 s0, s26, v27
	v_subrev_nc_u32_e32 v29, s25, v27
	v_cndmask_b32_e64 v7, 0xff800000, v7, s1
	v_cmp_ne_u32_e64 s1, 14, v27
	v_mul_f32_e32 v28, 0x3fb8aa3b, v26
	s_and_b32 s0, vcc_lo, s0
	s_delay_alu instid0(SALU_CYCLE_1) | instskip(NEXT) | instid1(VALU_DEP_2)
	s_and_b32 vcc_lo, s34, s0
	v_cndmask_b32_e64 v8, 0xff800000, v8, s1
	v_cmp_ne_u32_e64 s1, 13, v27
	v_rndne_f32_e32 v30, v28
	v_cndmask_b32_e32 v29, 16, v29, vcc_lo
	global_store_b32 v[3:4], v29, off
	global_store_b32 v[1:2], v25, off
	v_cndmask_b32_e64 v9, 0xff800000, v9, s1
	v_cmp_ne_u32_e64 s1, 12, v27
	v_add_co_u32 v1, vcc_lo, v1, 4
	v_add_co_ci_u32_e32 v2, vcc_lo, 0, v2, vcc_lo
	s_delay_alu instid0(VALU_DEP_3) | instskip(SKIP_3) | instid1(VALU_DEP_3)
	v_cndmask_b32_e64 v10, 0xff800000, v10, s1
	v_cmp_ne_u32_e64 s1, 11, v27
	v_add_co_u32 v3, vcc_lo, v3, 4
	v_add_co_ci_u32_e32 v4, vcc_lo, 0, v4, vcc_lo
	v_cndmask_b32_e64 v11, 0xff800000, v11, s1
	v_cmp_ne_u32_e64 s1, 10, v27
	v_cmp_ngt_f32_e32 vcc_lo, 0xc2ce8ed0, v26
	v_add_nc_u32_e32 v25, s33, v25
	s_cmp_eq_u32 s2, 0
	s_delay_alu instid0(VALU_DEP_3) | instskip(SKIP_1) | instid1(VALU_DEP_1)
	v_cndmask_b32_e64 v12, 0xff800000, v12, s1
	v_cmp_ne_u32_e64 s1, 9, v27
	v_cndmask_b32_e64 v13, 0xff800000, v13, s1
	v_cmp_ne_u32_e64 s1, 8, v27
	s_delay_alu instid0(VALU_DEP_1) | instskip(SKIP_1) | instid1(VALU_DEP_1)
	v_cndmask_b32_e64 v14, 0xff800000, v14, s1
	v_cmp_ne_u32_e64 s1, 7, v27
	v_cndmask_b32_e64 v15, 0xff800000, v15, s1
	v_cmp_ne_u32_e64 s1, 6, v27
	s_delay_alu instid0(VALU_DEP_1) | instskip(SKIP_1) | instid1(VALU_DEP_1)
	;; [unrolled: 5-line block ×4, first 2 shown]
	v_cndmask_b32_e64 v21, 0xff800000, v21, s1
	v_cmp_ne_u32_e64 s1, 1, v27
	v_cndmask_b32_e64 v22, 0xff800000, v22, s1
	v_cmp_ne_u32_e64 s1, 0, v27
	v_fma_f32 v27, 0x3fb8aa3b, v26, -v28
	v_sub_f32_e32 v28, v28, v30
	v_cvt_i32_f32_e32 v30, v30
	s_delay_alu instid0(VALU_DEP_4) | instskip(NEXT) | instid1(VALU_DEP_4)
	v_cndmask_b32_e64 v24, 0xff800000, v24, s1
	v_fmac_f32_e32 v27, 0x32a5705f, v26
	s_delay_alu instid0(VALU_DEP_1) | instskip(NEXT) | instid1(VALU_DEP_1)
	v_add_f32_e32 v27, v28, v27
	v_exp_f32_e32 v27, v27
	s_waitcnt_depctr 0xfff
	v_ldexp_f32 v27, v27, v30
	s_delay_alu instid0(VALU_DEP_1) | instskip(SKIP_1) | instid1(VALU_DEP_2)
	v_cndmask_b32_e32 v27, 0, v27, vcc_lo
	v_cmp_nlt_f32_e32 vcc_lo, 0x42b17218, v26
	v_cndmask_b32_e32 v26, 0x7f800000, v27, vcc_lo
	global_store_b32 v[5:6], v26, off
	v_add_co_u32 v5, vcc_lo, v5, 4
	v_add_f32_e32 v23, v23, v26
	v_add_co_ci_u32_e32 v6, vcc_lo, 0, v6, vcc_lo
	s_cbranch_scc0 .LBB257_7
.LBB257_8:
	v_sub_f32_e32 v4, v21, v18
	v_sub_f32_e32 v1, v24, v18
	;; [unrolled: 1-line block ×6, first 2 shown]
	v_mul_f32_e32 v3, 0x3fb8aa3b, v1
	v_sub_f32_e32 v11, v11, v18
	v_sub_f32_e32 v12, v12, v18
	;; [unrolled: 1-line block ×4, first 2 shown]
	v_fma_f32 v20, 0x3fb8aa3b, v1, -v3
	v_rndne_f32_e32 v21, v3
	v_sub_f32_e32 v19, v19, v18
	v_sub_f32_e32 v8, v8, v18
	s_delay_alu instid0(VALU_DEP_4) | instskip(NEXT) | instid1(VALU_DEP_4)
	v_dual_sub_f32 v9, v9, v18 :: v_dual_fmac_f32 v20, 0x32a5705f, v1
	v_sub_f32_e32 v3, v3, v21
	v_dual_mul_f32 v25, 0x3fb8aa3b, v4 :: v_dual_mul_f32 v26, 0x3fb8aa3b, v6
	v_mul_f32_e32 v27, 0x3fb8aa3b, v19
	v_cvt_i32_f32_e32 v21, v21
	s_delay_alu instid0(VALU_DEP_3) | instskip(SKIP_3) | instid1(VALU_DEP_4)
	v_fma_f32 v28, 0x3fb8aa3b, v6, -v26
	v_add_f32_e32 v3, v3, v20
	v_fma_f32 v20, 0x3fb8aa3b, v4, -v25
	v_rndne_f32_e32 v29, v26
	v_fmac_f32_e32 v28, 0x32a5705f, v6
	s_delay_alu instid0(VALU_DEP_4) | instskip(NEXT) | instid1(VALU_DEP_3)
	v_exp_f32_e32 v3, v3
	v_fmac_f32_e32 v20, 0x32a5705f, v4
	v_mul_f32_e32 v5, 0x3fb8aa3b, v2
	v_cmp_ngt_f32_e32 vcc_lo, 0xc2ce8ed0, v1
	s_delay_alu instid0(VALU_DEP_2)
	v_fma_f32 v22, 0x3fb8aa3b, v2, -v5
	v_rndne_f32_e32 v24, v5
	s_waitcnt_depctr 0xfff
	v_ldexp_f32 v3, v3, v21
	v_dual_fmac_f32 v22, 0x32a5705f, v2 :: v_dual_sub_f32 v5, v5, v24
	v_cvt_i32_f32_e32 v24, v24
	s_delay_alu instid0(VALU_DEP_3) | instskip(SKIP_1) | instid1(VALU_DEP_4)
	v_cndmask_b32_e32 v3, 0, v3, vcc_lo
	v_cmp_ngt_f32_e32 vcc_lo, 0xc2ce8ed0, v2
	v_add_f32_e32 v5, v5, v22
	v_rndne_f32_e32 v22, v25
	s_delay_alu instid0(VALU_DEP_2) | instskip(SKIP_2) | instid1(VALU_DEP_1)
	v_exp_f32_e32 v5, v5
	s_waitcnt_depctr 0xfff
	v_ldexp_f32 v5, v5, v24
	v_cndmask_b32_e32 v5, 0, v5, vcc_lo
	v_cmp_nlt_f32_e32 vcc_lo, 0x42b17218, v1
	v_cndmask_b32_e32 v1, 0x7f800000, v3, vcc_lo
	v_cmp_nlt_f32_e32 vcc_lo, 0x42b17218, v2
	v_sub_f32_e32 v25, v25, v22
	v_cvt_i32_f32_e32 v22, v22
	v_fma_f32 v3, 0x3fb8aa3b, v19, -v27
	v_cndmask_b32_e32 v2, 0x7f800000, v5, vcc_lo
	s_delay_alu instid0(VALU_DEP_4) | instskip(SKIP_1) | instid1(VALU_DEP_3)
	v_add_f32_e32 v20, v25, v20
	v_cmp_ngt_f32_e32 vcc_lo, 0xc2ce8ed0, v4
	v_add_f32_e32 v1, v1, v2
	s_delay_alu instid0(VALU_DEP_3) | instskip(SKIP_3) | instid1(VALU_DEP_2)
	v_exp_f32_e32 v20, v20
	s_waitcnt_depctr 0xfff
	v_ldexp_f32 v5, v20, v22
	v_rndne_f32_e32 v20, v27
	v_cndmask_b32_e32 v2, 0, v5, vcc_lo
	v_cmp_nlt_f32_e32 vcc_lo, 0x42b17218, v4
	v_sub_f32_e32 v21, v26, v29
	v_cvt_i32_f32_e32 v5, v29
	v_sub_f32_e32 v22, v27, v20
	s_delay_alu instid0(VALU_DEP_3) | instskip(SKIP_1) | instid1(VALU_DEP_2)
	v_dual_cndmask_b32 v2, 0x7f800000, v2 :: v_dual_add_f32 v21, v21, v28
	v_cmp_ngt_f32_e32 vcc_lo, 0xc2ce8ed0, v6
	v_add_f32_e32 v1, v1, v2
	s_delay_alu instid0(VALU_DEP_3) | instskip(SKIP_2) | instid1(VALU_DEP_1)
	v_exp_f32_e32 v21, v21
	s_waitcnt_depctr 0xfff
	v_ldexp_f32 v4, v21, v5
	v_cndmask_b32_e32 v2, 0, v4, vcc_lo
	v_cmp_nlt_f32_e32 vcc_lo, 0x42b17218, v6
	v_cvt_i32_f32_e32 v6, v20
	v_dual_mul_f32 v20, 0x3fb8aa3b, v16 :: v_dual_mul_f32 v5, 0x3fb8aa3b, v17
	s_delay_alu instid0(VALU_DEP_1)
	v_rndne_f32_e32 v21, v5
	v_cndmask_b32_e32 v2, 0x7f800000, v2, vcc_lo
	v_cmp_ngt_f32_e32 vcc_lo, 0xc2ce8ed0, v19
	v_fmac_f32_e32 v3, 0x32a5705f, v19
	v_fma_f32 v4, 0x3fb8aa3b, v17, -v5
	v_sub_f32_e32 v5, v5, v21
	v_add_f32_e32 v1, v1, v2
	s_delay_alu instid0(VALU_DEP_3) | instskip(NEXT) | instid1(VALU_DEP_1)
	v_dual_add_f32 v3, v22, v3 :: v_dual_fmac_f32 v4, 0x32a5705f, v17
	v_exp_f32_e32 v3, v3
	s_waitcnt_depctr 0xfff
	v_ldexp_f32 v2, v3, v6
	s_delay_alu instid0(VALU_DEP_1)
	v_cndmask_b32_e32 v2, 0, v2, vcc_lo
	v_cmp_nlt_f32_e32 vcc_lo, 0x42b17218, v19
	v_add_f32_e32 v3, v5, v4
	v_fma_f32 v4, 0x3fb8aa3b, v16, -v20
	v_rndne_f32_e32 v5, v20
	v_cvt_i32_f32_e32 v19, v21
	v_cndmask_b32_e32 v2, 0x7f800000, v2, vcc_lo
	v_exp_f32_e32 v3, v3
	v_fmac_f32_e32 v4, 0x32a5705f, v16
	v_sub_f32_e32 v6, v20, v5
	v_cmp_ngt_f32_e32 vcc_lo, 0xc2ce8ed0, v17
	v_add_f32_e32 v1, v1, v2
	v_cvt_i32_f32_e32 v5, v5
	s_delay_alu instid0(VALU_DEP_4) | instskip(SKIP_1) | instid1(TRANS32_DEP_1)
	v_add_f32_e32 v4, v6, v4
	v_mul_f32_e32 v6, 0x3fb8aa3b, v15
	v_ldexp_f32 v2, v3, v19
	s_delay_alu instid0(VALU_DEP_3) | instskip(NEXT) | instid1(VALU_DEP_2)
	v_exp_f32_e32 v3, v4
	v_fma_f32 v4, 0x3fb8aa3b, v15, -v6
	v_rndne_f32_e32 v19, v6
	s_delay_alu instid0(VALU_DEP_3) | instskip(SKIP_1) | instid1(VALU_DEP_3)
	v_cndmask_b32_e32 v2, 0, v2, vcc_lo
	v_cmp_nlt_f32_e32 vcc_lo, 0x42b17218, v17
	v_sub_f32_e32 v6, v6, v19
	v_fmac_f32_e32 v4, 0x32a5705f, v15
	s_delay_alu instid0(VALU_DEP_4) | instskip(NEXT) | instid1(TRANS32_DEP_1)
	v_cndmask_b32_e32 v2, 0x7f800000, v2, vcc_lo
	v_ldexp_f32 v3, v3, v5
	v_cmp_ngt_f32_e32 vcc_lo, 0xc2ce8ed0, v16
	v_sub_f32_e32 v5, v14, v18
	s_delay_alu instid0(VALU_DEP_4) | instskip(SKIP_3) | instid1(VALU_DEP_4)
	v_dual_add_f32 v4, v6, v4 :: v_dual_add_f32 v1, v1, v2
	v_sub_f32_e32 v6, v13, v18
	v_cndmask_b32_e32 v2, 0, v3, vcc_lo
	v_cmp_nlt_f32_e32 vcc_lo, 0x42b17218, v16
	v_exp_f32_e32 v3, v4
	v_mul_f32_e32 v4, 0x3fb8aa3b, v5
	v_cvt_i32_f32_e32 v13, v19
	v_mul_f32_e32 v19, 0x3fb8aa3b, v11
	v_cndmask_b32_e32 v2, 0x7f800000, v2, vcc_lo
	v_mul_f32_e32 v17, 0x3fb8aa3b, v6
	v_fma_f32 v14, 0x3fb8aa3b, v5, -v4
	v_rndne_f32_e32 v16, v4
	v_cmp_ngt_f32_e32 vcc_lo, 0xc2ce8ed0, v15
	v_add_f32_e32 v1, v1, v2
	v_ldexp_f32 v2, v3, v13
	s_delay_alu instid0(VALU_DEP_4) | instskip(SKIP_2) | instid1(VALU_DEP_4)
	v_dual_fmac_f32 v14, 0x32a5705f, v5 :: v_dual_sub_f32 v3, v4, v16
	v_rndne_f32_e32 v13, v17
	v_cvt_i32_f32_e32 v16, v16
	v_cndmask_b32_e32 v2, 0, v2, vcc_lo
	v_cmp_nlt_f32_e32 vcc_lo, 0x42b17218, v15
	s_delay_alu instid0(VALU_DEP_4) | instskip(SKIP_3) | instid1(VALU_DEP_4)
	v_dual_add_f32 v3, v3, v14 :: v_dual_sub_f32 v14, v17, v13
	v_fma_f32 v4, 0x3fb8aa3b, v6, -v17
	v_mul_f32_e32 v17, 0x3fb8aa3b, v12
	v_cndmask_b32_e32 v2, 0x7f800000, v2, vcc_lo
	v_exp_f32_e32 v3, v3
	v_cmp_ngt_f32_e32 vcc_lo, 0xc2ce8ed0, v5
	s_delay_alu instid0(VALU_DEP_3) | instskip(NEXT) | instid1(VALU_DEP_3)
	v_rndne_f32_e32 v15, v17
	v_add_f32_e32 v1, v1, v2
	s_waitcnt_depctr 0xfff
	v_ldexp_f32 v2, v3, v16
	v_cvt_i32_f32_e32 v3, v13
	v_rndne_f32_e32 v16, v19
	s_delay_alu instid0(VALU_DEP_3) | instskip(SKIP_2) | instid1(VALU_DEP_3)
	v_cndmask_b32_e32 v2, 0, v2, vcc_lo
	v_cmp_nlt_f32_e32 vcc_lo, 0x42b17218, v5
	v_cvt_i32_f32_e32 v5, v15
	v_cndmask_b32_e32 v2, 0x7f800000, v2, vcc_lo
	v_cmp_ngt_f32_e32 vcc_lo, 0xc2ce8ed0, v6
	s_delay_alu instid0(VALU_DEP_2) | instskip(SKIP_1) | instid1(VALU_DEP_1)
	v_add_f32_e32 v1, v1, v2
	v_fmac_f32_e32 v4, 0x32a5705f, v6
	v_add_f32_e32 v4, v14, v4
	v_fma_f32 v14, 0x3fb8aa3b, v12, -v17
	v_sub_f32_e32 v17, v17, v15
	s_delay_alu instid0(VALU_DEP_3) | instskip(NEXT) | instid1(VALU_DEP_2)
	v_exp_f32_e32 v4, v4
	v_fmac_f32_e32 v14, 0x32a5705f, v12
	s_delay_alu instid0(VALU_DEP_1)
	v_add_f32_e32 v13, v17, v14
	v_fma_f32 v14, 0x3fb8aa3b, v11, -v19
	s_waitcnt_depctr 0xfff
	v_ldexp_f32 v3, v4, v3
	v_exp_f32_e32 v4, v13
	v_dual_fmac_f32 v14, 0x32a5705f, v11 :: v_dual_sub_f32 v13, v19, v16
	s_delay_alu instid0(VALU_DEP_2)
	v_cndmask_b32_e32 v3, 0, v3, vcc_lo
	v_cmp_nlt_f32_e32 vcc_lo, 0x42b17218, v6
	s_waitcnt_depctr 0xfff
	v_ldexp_f32 v2, v4, v5
	v_cndmask_b32_e32 v3, 0x7f800000, v3, vcc_lo
	v_cmp_ngt_f32_e32 vcc_lo, 0xc2ce8ed0, v12
	v_dual_sub_f32 v5, v10, v18 :: v_dual_mul_f32 v10, 0x3fb8aa3b, v9
	s_delay_alu instid0(VALU_DEP_3) | instskip(SKIP_1) | instid1(VALU_DEP_3)
	v_dual_add_f32 v1, v1, v3 :: v_dual_cndmask_b32 v2, 0, v2
	v_cmp_nlt_f32_e32 vcc_lo, 0x42b17218, v12
	v_mul_f32_e32 v6, 0x3fb8aa3b, v5
	v_cvt_i32_f32_e32 v3, v16
	s_delay_alu instid0(VALU_DEP_4) | instskip(SKIP_1) | instid1(VALU_DEP_2)
	v_cndmask_b32_e32 v2, 0x7f800000, v2, vcc_lo
	v_cmp_ngt_f32_e32 vcc_lo, 0xc2ce8ed0, v11
	v_add_f32_e32 v1, v1, v2
	v_fma_f32 v2, 0x3fb8aa3b, v5, -v6
	v_dual_add_f32 v13, v13, v14 :: v_dual_mul_f32 v14, 0x3fb8aa3b, v7
	s_delay_alu instid0(VALU_DEP_2) | instskip(NEXT) | instid1(VALU_DEP_2)
	v_fmac_f32_e32 v2, 0x32a5705f, v5
	v_exp_f32_e32 v4, v13
	s_delay_alu instid0(VALU_DEP_2) | instskip(SKIP_3) | instid1(VALU_DEP_2)
	v_rndne_f32_e32 v15, v14
	s_waitcnt_depctr 0xfff
	v_ldexp_f32 v3, v4, v3
	v_rndne_f32_e32 v4, v6
	v_cndmask_b32_e32 v3, 0, v3, vcc_lo
	v_cmp_nlt_f32_e32 vcc_lo, 0x42b17218, v11
	v_mul_f32_e32 v11, 0x3fb8aa3b, v8
	s_delay_alu instid0(VALU_DEP_4) | instskip(SKIP_2) | instid1(VALU_DEP_4)
	v_sub_f32_e32 v6, v6, v4
	v_cvt_i32_f32_e32 v4, v4
	v_cndmask_b32_e32 v3, 0x7f800000, v3, vcc_lo
	v_fma_f32 v12, 0x3fb8aa3b, v8, -v11
	s_delay_alu instid0(VALU_DEP_4) | instskip(SKIP_2) | instid1(VALU_DEP_4)
	v_add_f32_e32 v2, v6, v2
	v_rndne_f32_e32 v6, v10
	v_rndne_f32_e32 v13, v11
	v_dual_add_f32 v1, v1, v3 :: v_dual_fmac_f32 v12, 0x32a5705f, v8
	v_fma_f32 v3, 0x3fb8aa3b, v9, -v10
	s_delay_alu instid0(VALU_DEP_4) | instskip(SKIP_4) | instid1(VALU_DEP_1)
	v_sub_f32_e32 v10, v10, v6
	v_exp_f32_e32 v2, v2
	v_cvt_i32_f32_e32 v6, v6
	v_cmp_ngt_f32_e32 vcc_lo, 0xc2ce8ed0, v5
	v_fmac_f32_e32 v3, 0x32a5705f, v9
	v_dual_add_f32 v3, v10, v3 :: v_dual_sub_f32 v10, v11, v13
	s_waitcnt_depctr 0xfff
	v_ldexp_f32 v2, v2, v4
	v_exp_f32_e32 v3, v3
	v_add_f32_e32 v4, v10, v12
	v_fma_f32 v11, 0x3fb8aa3b, v7, -v14
	s_delay_alu instid0(VALU_DEP_2) | instskip(NEXT) | instid1(VALU_DEP_1)
	v_exp_f32_e32 v4, v4
	v_fmac_f32_e32 v11, 0x32a5705f, v7
	s_waitcnt_depctr 0xfff
	v_ldexp_f32 v3, v3, v6
	v_cndmask_b32_e32 v2, 0, v2, vcc_lo
	v_cmp_nlt_f32_e32 vcc_lo, 0x42b17218, v5
	v_cvt_i32_f32_e32 v5, v13
	s_delay_alu instid0(VALU_DEP_3) | instskip(SKIP_1) | instid1(VALU_DEP_2)
	v_cndmask_b32_e32 v2, 0x7f800000, v2, vcc_lo
	v_cmp_ngt_f32_e32 vcc_lo, 0xc2ce8ed0, v9
	v_dual_sub_f32 v10, v14, v15 :: v_dual_add_f32 v1, v1, v2
	v_cndmask_b32_e32 v3, 0, v3, vcc_lo
	v_cmp_nlt_f32_e32 vcc_lo, 0x42b17218, v9
	v_ldexp_f32 v2, v4, v5
	v_cvt_i32_f32_e32 v4, v15
	s_delay_alu instid0(VALU_DEP_4) | instskip(SKIP_1) | instid1(VALU_DEP_2)
	v_cndmask_b32_e32 v3, 0x7f800000, v3, vcc_lo
	v_cmp_ngt_f32_e32 vcc_lo, 0xc2ce8ed0, v8
	v_dual_add_f32 v1, v1, v3 :: v_dual_cndmask_b32 v2, 0, v2
	v_cmp_nlt_f32_e32 vcc_lo, 0x42b17218, v8
	s_delay_alu instid0(VALU_DEP_2) | instskip(SKIP_2) | instid1(VALU_DEP_1)
	v_cndmask_b32_e32 v2, 0x7f800000, v2, vcc_lo
	v_cmp_ngt_f32_e32 vcc_lo, 0xc2ce8ed0, v7
	v_add_f32_e32 v10, v10, v11
	v_exp_f32_e32 v6, v10
	s_waitcnt_depctr 0xfff
	v_ldexp_f32 v4, v6, v4
	s_delay_alu instid0(VALU_DEP_1) | instskip(SKIP_1) | instid1(VALU_DEP_2)
	v_cndmask_b32_e32 v3, 0, v4, vcc_lo
	v_cmp_nlt_f32_e32 vcc_lo, 0x42b17218, v7
	v_dual_add_f32 v1, v1, v2 :: v_dual_cndmask_b32 v2, 0x7f800000, v3
	s_delay_alu instid0(VALU_DEP_1) | instskip(NEXT) | instid1(VALU_DEP_1)
	v_add_f32_e32 v1, v1, v2
	v_add_f32_e32 v2, v23, v1
	s_delay_alu instid0(VALU_DEP_1)
	v_cmp_neq_f32_e32 vcc_lo, 0, v2
	s_and_b32 exec_lo, exec_lo, vcc_lo
	s_cbranch_execz .LBB257_12
; %bb.9:
	s_and_not1_b32 vcc_lo, exec_lo, s17
	s_cbranch_vccnz .LBB257_12
; %bb.10:
	v_div_scale_f32 v1, null, v2, v2, 1.0
	v_div_scale_f32 v5, vcc_lo, 1.0, v2, 1.0
	s_delay_alu instid0(VALU_DEP_2) | instskip(SKIP_2) | instid1(VALU_DEP_1)
	v_rcp_f32_e32 v3, v1
	s_waitcnt_depctr 0xfff
	v_fma_f32 v4, -v1, v3, 1.0
	v_fmac_f32_e32 v3, v4, v3
	s_delay_alu instid0(VALU_DEP_1) | instskip(NEXT) | instid1(VALU_DEP_1)
	v_mul_f32_e32 v4, v5, v3
	v_fma_f32 v6, -v1, v4, v5
	s_delay_alu instid0(VALU_DEP_1) | instskip(NEXT) | instid1(VALU_DEP_1)
	v_fmac_f32_e32 v4, v6, v3
	v_fma_f32 v5, -v1, v4, v5
	v_ashrrev_i32_e32 v1, 31, v0
	s_delay_alu instid0(VALU_DEP_2) | instskip(NEXT) | instid1(VALU_DEP_2)
	v_div_fmas_f32 v3, v5, v3, v4
	v_lshlrev_b64 v[0:1], 2, v[0:1]
	s_delay_alu instid0(VALU_DEP_2) | instskip(NEXT) | instid1(VALU_DEP_2)
	v_div_fixup_f32 v2, v3, v2, 1.0
	v_add_co_u32 v0, vcc_lo, s28, v0
	s_delay_alu instid0(VALU_DEP_3)
	v_add_co_ci_u32_e32 v1, vcc_lo, s29, v1, vcc_lo
.LBB257_11:                             ; =>This Inner Loop Header: Depth=1
	global_load_b32 v3, v[0:1], off
	s_add_i32 s24, s24, -1
	s_delay_alu instid0(SALU_CYCLE_1)
	s_cmp_lg_u32 s24, 0
	s_waitcnt vmcnt(0)
	v_mul_f32_e32 v3, v2, v3
	global_store_b32 v[0:1], v3, off
	v_add_co_u32 v0, vcc_lo, v0, 4
	v_add_co_ci_u32_e32 v1, vcc_lo, 0, v1, vcc_lo
	s_cbranch_scc1 .LBB257_11
.LBB257_12:
	s_nop 0
	s_sendmsg sendmsg(MSG_DEALLOC_VGPRS)
	s_endpgm
	.section	.rodata,"a",@progbits
	.p2align	6, 0x0
	.amdhsa_kernel _ZN4vllm3moe17topkGatingSoftmaxItLi16ELi16ELi8ELi32ELb0ELi8ELNS0_23SharedExpertScoringFuncE1EEEvPKT_PKbPfiPiS9_iiiiii
		.amdhsa_group_segment_fixed_size 0
		.amdhsa_private_segment_fixed_size 0
		.amdhsa_kernarg_size 72
		.amdhsa_user_sgpr_count 15
		.amdhsa_user_sgpr_dispatch_ptr 0
		.amdhsa_user_sgpr_queue_ptr 0
		.amdhsa_user_sgpr_kernarg_segment_ptr 1
		.amdhsa_user_sgpr_dispatch_id 0
		.amdhsa_user_sgpr_private_segment_size 0
		.amdhsa_wavefront_size32 1
		.amdhsa_uses_dynamic_stack 0
		.amdhsa_enable_private_segment 0
		.amdhsa_system_sgpr_workgroup_id_x 1
		.amdhsa_system_sgpr_workgroup_id_y 0
		.amdhsa_system_sgpr_workgroup_id_z 0
		.amdhsa_system_sgpr_workgroup_info 0
		.amdhsa_system_vgpr_workitem_id 1
		.amdhsa_next_free_vgpr 71
		.amdhsa_next_free_sgpr 36
		.amdhsa_reserve_vcc 1
		.amdhsa_float_round_mode_32 0
		.amdhsa_float_round_mode_16_64 0
		.amdhsa_float_denorm_mode_32 3
		.amdhsa_float_denorm_mode_16_64 3
		.amdhsa_dx10_clamp 1
		.amdhsa_ieee_mode 1
		.amdhsa_fp16_overflow 0
		.amdhsa_workgroup_processor_mode 1
		.amdhsa_memory_ordered 1
		.amdhsa_forward_progress 0
		.amdhsa_shared_vgpr_count 0
		.amdhsa_exception_fp_ieee_invalid_op 0
		.amdhsa_exception_fp_denorm_src 0
		.amdhsa_exception_fp_ieee_div_zero 0
		.amdhsa_exception_fp_ieee_overflow 0
		.amdhsa_exception_fp_ieee_underflow 0
		.amdhsa_exception_fp_ieee_inexact 0
		.amdhsa_exception_int_div_zero 0
	.end_amdhsa_kernel
	.section	.text._ZN4vllm3moe17topkGatingSoftmaxItLi16ELi16ELi8ELi32ELb0ELi8ELNS0_23SharedExpertScoringFuncE1EEEvPKT_PKbPfiPiS9_iiiiii,"axG",@progbits,_ZN4vllm3moe17topkGatingSoftmaxItLi16ELi16ELi8ELi32ELb0ELi8ELNS0_23SharedExpertScoringFuncE1EEEvPKT_PKbPfiPiS9_iiiiii,comdat
.Lfunc_end257:
	.size	_ZN4vllm3moe17topkGatingSoftmaxItLi16ELi16ELi8ELi32ELb0ELi8ELNS0_23SharedExpertScoringFuncE1EEEvPKT_PKbPfiPiS9_iiiiii, .Lfunc_end257-_ZN4vllm3moe17topkGatingSoftmaxItLi16ELi16ELi8ELi32ELb0ELi8ELNS0_23SharedExpertScoringFuncE1EEEvPKT_PKbPfiPiS9_iiiiii
                                        ; -- End function
	.section	.AMDGPU.csdata,"",@progbits
; Kernel info:
; codeLenInByte = 5816
; NumSgprs: 38
; NumVgprs: 71
; ScratchSize: 0
; MemoryBound: 0
; FloatMode: 240
; IeeeMode: 1
; LDSByteSize: 0 bytes/workgroup (compile time only)
; SGPRBlocks: 4
; VGPRBlocks: 8
; NumSGPRsForWavesPerEU: 38
; NumVGPRsForWavesPerEU: 71
; Occupancy: 16
; WaveLimiterHint : 0
; COMPUTE_PGM_RSRC2:SCRATCH_EN: 0
; COMPUTE_PGM_RSRC2:USER_SGPR: 15
; COMPUTE_PGM_RSRC2:TRAP_HANDLER: 0
; COMPUTE_PGM_RSRC2:TGID_X_EN: 1
; COMPUTE_PGM_RSRC2:TGID_Y_EN: 0
; COMPUTE_PGM_RSRC2:TGID_Z_EN: 0
; COMPUTE_PGM_RSRC2:TIDIG_COMP_CNT: 1
	.section	.text._ZN4vllm3moe17topkGatingSoftmaxItLi16ELi32ELi8ELi32ELb1ELi0ELNS0_23SharedExpertScoringFuncE0EEEvPKT_PKbPfiPiS9_iiiiii,"axG",@progbits,_ZN4vllm3moe17topkGatingSoftmaxItLi16ELi32ELi8ELi32ELb1ELi0ELNS0_23SharedExpertScoringFuncE0EEEvPKT_PKbPfiPiS9_iiiiii,comdat
	.protected	_ZN4vllm3moe17topkGatingSoftmaxItLi16ELi32ELi8ELi32ELb1ELi0ELNS0_23SharedExpertScoringFuncE0EEEvPKT_PKbPfiPiS9_iiiiii ; -- Begin function _ZN4vllm3moe17topkGatingSoftmaxItLi16ELi32ELi8ELi32ELb1ELi0ELNS0_23SharedExpertScoringFuncE0EEEvPKT_PKbPfiPiS9_iiiiii
	.globl	_ZN4vllm3moe17topkGatingSoftmaxItLi16ELi32ELi8ELi32ELb1ELi0ELNS0_23SharedExpertScoringFuncE0EEEvPKT_PKbPfiPiS9_iiiiii
	.p2align	8
	.type	_ZN4vllm3moe17topkGatingSoftmaxItLi16ELi32ELi8ELi32ELb1ELi0ELNS0_23SharedExpertScoringFuncE0EEEvPKT_PKbPfiPiS9_iiiiii,@function
_ZN4vllm3moe17topkGatingSoftmaxItLi16ELi32ELi8ELi32ELb1ELi0ELNS0_23SharedExpertScoringFuncE0EEEvPKT_PKbPfiPiS9_iiiiii: ; @_ZN4vllm3moe17topkGatingSoftmaxItLi16ELi32ELi8ELi32ELb1ELi0ELNS0_23SharedExpertScoringFuncE0EEEvPKT_PKbPfiPiS9_iiiiii
; %bb.0:
	s_load_b32 s3, s[0:1], 0x18
	v_bfe_u32 v1, v0, 10, 10
	v_and_b32_e32 v0, 0x3ff, v0
	s_lshl_b32 s17, s15, 7
	s_mov_b32 s2, exec_lo
	s_delay_alu instid0(VALU_DEP_2) | instskip(NEXT) | instid1(VALU_DEP_2)
	v_lshlrev_b32_e32 v42, 4, v1
	v_lshrrev_b32_e32 v43, 1, v0
	s_delay_alu instid0(VALU_DEP_1) | instskip(SKIP_1) | instid1(VALU_DEP_1)
	v_add3_u32 v7, s17, v42, v43
	s_waitcnt lgkmcnt(0)
	v_cmpx_gt_i32_e64 s3, v7
	s_cbranch_execz .LBB258_20
; %bb.1:
	s_clause 0x1
	s_load_b128 s[4:7], s[0:1], 0x0
	s_load_b64 s[12:13], s[0:1], 0x10
	s_waitcnt lgkmcnt(0)
	s_cmp_eq_u64 s[6:7], 0
	s_cbranch_scc1 .LBB258_3
; %bb.2:
	v_ashrrev_i32_e32 v2, 31, v7
	v_add_co_u32 v1, vcc_lo, s6, v7
	s_delay_alu instid0(VALU_DEP_2) | instskip(SKIP_3) | instid1(VALU_DEP_1)
	v_add_co_ci_u32_e32 v2, vcc_lo, s7, v2, vcc_lo
	global_load_u8 v1, v[1:2], off
	s_waitcnt vmcnt(0)
	v_and_b32_e32 v1, 1, v1
	v_cmp_eq_u32_e32 vcc_lo, 1, v1
	s_xor_b32 s2, vcc_lo, -1
	s_delay_alu instid0(SALU_CYCLE_1)
	s_or_not1_b32 s16, s2, exec_lo
	s_branch .LBB258_4
.LBB258_3:
	s_mov_b32 s16, -1
.LBB258_4:
	s_load_b64 s[14:15], s[0:1], 0x40
	v_and_b32_e32 v8, 1, v0
	v_mov_b32_e32 v6, 0
	s_waitcnt lgkmcnt(0)
	v_mul_lo_u32 v1, v7, s15
	s_delay_alu instid0(VALU_DEP_1) | instskip(NEXT) | instid1(VALU_DEP_1)
	v_ashrrev_i32_e32 v2, 31, v1
	v_lshlrev_b64 v[0:1], 1, v[1:2]
	v_lshlrev_b32_e32 v2, 5, v8
	s_delay_alu instid0(VALU_DEP_2) | instskip(NEXT) | instid1(VALU_DEP_3)
	v_add_co_u32 v0, vcc_lo, s4, v0
	v_add_co_ci_u32_e32 v1, vcc_lo, s5, v1, vcc_lo
	s_load_b128 s[4:7], s[0:1], 0x30
	s_delay_alu instid0(VALU_DEP_2) | instskip(NEXT) | instid1(VALU_DEP_2)
	v_add_co_u32 v4, vcc_lo, v0, v2
	v_add_co_ci_u32_e32 v5, vcc_lo, 0, v1, vcc_lo
	s_clause 0x1
	global_load_b128 v[0:3], v[4:5], off
	global_load_b128 v[35:38], v[4:5], off offset:16
	s_waitcnt lgkmcnt(0)
	s_cmp_gt_i32 s4, 0
	s_cselect_b32 s15, -1, 0
	s_cmp_lt_i32 s4, 1
	s_waitcnt vmcnt(1)
	v_lshrrev_b32_e32 v4, 16, v0
	v_and_b32_e32 v0, 0xffff, v0
	s_delay_alu instid0(VALU_DEP_2) | instskip(NEXT) | instid1(VALU_DEP_2)
	v_cvt_f32_u32_e32 v10, v4
	v_cvt_f32_u32_e32 v11, v0
	v_and_b32_e32 v0, 0xffff, v1
	v_lshrrev_b32_e32 v1, 16, v1
	s_delay_alu instid0(VALU_DEP_3) | instskip(SKIP_1) | instid1(VALU_DEP_4)
	v_cmp_lt_f32_e32 vcc_lo, v11, v10
	v_lshlrev_b32_e32 v9, 4, v8
	v_cvt_f32_u32_e32 v13, v0
	s_delay_alu instid0(VALU_DEP_4) | instskip(SKIP_1) | instid1(VALU_DEP_4)
	v_cvt_f32_u32_e32 v15, v1
	v_cndmask_b32_e32 v4, v11, v10, vcc_lo
	v_or_b32_e32 v12, 1, v9
	v_or_b32_e32 v14, 2, v9
	;; [unrolled: 1-line block ×5, first 2 shown]
	v_cndmask_b32_e32 v0, v9, v12, vcc_lo
	v_cmp_lt_f32_e32 vcc_lo, v4, v13
	v_or_b32_e32 v22, 6, v9
	v_or_b32_e32 v24, 7, v9
	;; [unrolled: 1-line block ×4, first 2 shown]
	v_dual_cndmask_b32 v1, v4, v13 :: v_dual_and_b32 v4, 0xffff, v2
	v_lshrrev_b32_e32 v2, 16, v2
	v_or_b32_e32 v30, 10, v9
	v_or_b32_e32 v32, 11, v9
	;; [unrolled: 1-line block ×3, first 2 shown]
	v_cvt_f32_u32_e32 v17, v4
	v_cvt_f32_u32_e32 v19, v2
	v_and_b32_e32 v2, 0xffff, v3
	v_or_b32_e32 v40, 15, v9
	s_delay_alu instid0(VALU_DEP_2) | instskip(SKIP_4) | instid1(VALU_DEP_2)
	v_cvt_f32_u32_e32 v21, v2
	v_cndmask_b32_e32 v0, v0, v14, vcc_lo
	v_cmp_lt_f32_e32 vcc_lo, v1, v15
	v_lshrrev_b32_e32 v2, 16, v3
	v_cndmask_b32_e32 v1, v1, v15, vcc_lo
	v_cvt_f32_u32_e32 v23, v2
	s_waitcnt vmcnt(0)
	v_and_b32_e32 v2, 0xffff, v35
	s_delay_alu instid0(VALU_DEP_1) | instskip(SKIP_4) | instid1(VALU_DEP_2)
	v_cvt_f32_u32_e32 v25, v2
	v_cndmask_b32_e32 v0, v0, v16, vcc_lo
	v_cmp_lt_f32_e32 vcc_lo, v1, v17
	v_lshrrev_b32_e32 v2, 16, v35
	v_cndmask_b32_e32 v1, v1, v17, vcc_lo
	v_cvt_f32_u32_e32 v27, v2
	v_cndmask_b32_e32 v0, v0, v18, vcc_lo
	v_and_b32_e32 v2, 0xffff, v36
	s_delay_alu instid0(VALU_DEP_4) | instskip(NEXT) | instid1(VALU_DEP_2)
	v_cmp_lt_f32_e32 vcc_lo, v1, v19
	v_cvt_f32_u32_e32 v29, v2
	v_lshrrev_b32_e32 v2, 16, v36
	v_cndmask_b32_e32 v1, v1, v19, vcc_lo
	v_or_b32_e32 v36, 13, v9
	s_delay_alu instid0(VALU_DEP_3) | instskip(SKIP_1) | instid1(VALU_DEP_4)
	v_cvt_f32_u32_e32 v31, v2
	v_cndmask_b32_e32 v0, v0, v20, vcc_lo
	v_cmp_lt_f32_e32 vcc_lo, v1, v21
	v_and_b32_e32 v2, 0xffff, v37
	v_cndmask_b32_e32 v1, v1, v21, vcc_lo
	s_delay_alu instid0(VALU_DEP_2) | instskip(SKIP_2) | instid1(VALU_DEP_4)
	v_cvt_f32_u32_e32 v33, v2
	v_cndmask_b32_e32 v0, v0, v22, vcc_lo
	v_lshrrev_b32_e32 v2, 16, v37
	v_cmp_lt_f32_e32 vcc_lo, v1, v23
	s_delay_alu instid0(VALU_DEP_2) | instskip(SKIP_2) | instid1(VALU_DEP_2)
	v_cvt_f32_u32_e32 v35, v2
	v_dual_cndmask_b32 v1, v1, v23 :: v_dual_and_b32 v2, 0xffff, v38
	v_cndmask_b32_e32 v0, v0, v24, vcc_lo
	v_cvt_f32_u32_e32 v37, v2
	s_delay_alu instid0(VALU_DEP_3) | instskip(SKIP_3) | instid1(VALU_DEP_3)
	v_cmp_lt_f32_e32 vcc_lo, v1, v25
	v_lshrrev_b32_e32 v2, 16, v38
	v_or_b32_e32 v38, 14, v9
	v_dual_cndmask_b32 v1, v1, v25 :: v_dual_cndmask_b32 v0, v0, v26
	v_cvt_f32_u32_e32 v39, v2
	s_delay_alu instid0(VALU_DEP_2) | instskip(NEXT) | instid1(VALU_DEP_3)
	v_cmp_lt_f32_e32 vcc_lo, v1, v27
	v_dual_cndmask_b32 v1, v1, v27 :: v_dual_cndmask_b32 v0, v0, v28
	s_delay_alu instid0(VALU_DEP_1) | instskip(NEXT) | instid1(VALU_DEP_2)
	v_cmp_lt_f32_e32 vcc_lo, v1, v29
	v_dual_cndmask_b32 v1, v1, v29 :: v_dual_cndmask_b32 v0, v0, v30
	s_delay_alu instid0(VALU_DEP_1) | instskip(NEXT) | instid1(VALU_DEP_2)
	;; [unrolled: 3-line block ×6, first 2 shown]
	v_cmp_lt_f32_e32 vcc_lo, v1, v39
	v_cndmask_b32_e32 v0, v0, v40, vcc_lo
	v_cndmask_b32_e32 v2, v1, v39, vcc_lo
	v_cmp_eq_u32_e32 vcc_lo, 0, v8
	s_delay_alu instid0(VALU_DEP_3) | instskip(NEXT) | instid1(VALU_DEP_3)
	v_mov_b32_dpp v4, v0 quad_perm:[1,0,3,2] row_mask:0xf bank_mask:0xf
	v_mov_b32_dpp v41, v2 quad_perm:[1,0,3,2] row_mask:0xf bank_mask:0xf
	s_cbranch_scc1 .LBB258_16
; %bb.5:
	s_load_b128 s[8:11], s[0:1], 0x20
	s_delay_alu instid0(VALU_DEP_1)
	v_cmp_eq_f32_e64 s0, v2, v41
	v_cmp_lt_i32_e64 s1, v4, v0
	v_cmp_lt_f32_e64 s2, v2, v41
	v_mul_lo_u32 v1, v7, s7
	v_mul_lo_u32 v3, v7, s14
	;; [unrolled: 1-line block ×3, first 2 shown]
	s_and_b32 s0, s0, s1
	v_mov_b32_e32 v6, 0
	s_or_b32 s0, s2, s0
	s_delay_alu instid0(SALU_CYCLE_1)
	v_cndmask_b32_e64 v0, v0, v4, s0
	v_cndmask_b32_e64 v41, v2, v41, s0
	s_and_saveexec_b32 s2, vcc_lo
	s_cbranch_execz .LBB258_7
; %bb.6:
	s_delay_alu instid0(VALU_DEP_1)
	v_sub_f32_e32 v50, v41, v41
	v_cmp_le_i32_e64 s0, s5, v0
	v_cmp_gt_i32_e64 s1, s6, v0
	v_subrev_nc_u32_e32 v51, s5, v0
	v_ashrrev_i32_e32 v6, 31, v5
	v_mul_f32_e32 v2, 0x3fb8aa3b, v50
	s_delay_alu instid0(VALU_DEP_4) | instskip(NEXT) | instid1(SALU_CYCLE_1)
	s_and_b32 s0, s0, s1
	s_and_b32 s0, s16, s0
	s_delay_alu instid0(VALU_DEP_1) | instskip(SKIP_2) | instid1(VALU_DEP_3)
	v_rndne_f32_e32 v46, v2
	v_fma_f32 v4, 0x3fb8aa3b, v50, -v2
	v_lshlrev_b64 v[48:49], 2, v[5:6]
	v_sub_f32_e32 v2, v2, v46
	s_delay_alu instid0(VALU_DEP_3) | instskip(NEXT) | instid1(VALU_DEP_1)
	v_fmamk_f32 v4, v50, 0x32a5705f, v4
	v_add_f32_e32 v4, v2, v4
	v_ashrrev_i32_e32 v2, 31, v1
	s_delay_alu instid0(VALU_DEP_2) | instskip(NEXT) | instid1(VALU_DEP_1)
	v_exp_f32_e32 v52, v4
	v_lshlrev_b64 v[44:45], 2, v[1:2]
	v_ashrrev_i32_e32 v4, 31, v3
	v_cvt_i32_f32_e32 v2, v46
	s_delay_alu instid0(VALU_DEP_2) | instskip(SKIP_2) | instid1(VALU_DEP_1)
	v_lshlrev_b64 v[46:47], 2, v[3:4]
	v_cndmask_b32_e64 v4, 32, v51, s0
	v_add_co_u32 v44, s0, s12, v44
	v_add_co_ci_u32_e64 v45, s0, s13, v45, s0
	s_delay_alu instid0(TRANS32_DEP_1) | instskip(SKIP_1) | instid1(VALU_DEP_1)
	v_ldexp_f32 v2, v52, v2
	v_cmp_ngt_f32_e64 s0, 0xc2ce8ed0, v50
	v_cndmask_b32_e64 v2, 0, v2, s0
	s_waitcnt lgkmcnt(0)
	v_add_co_u32 v46, s0, s8, v46
	s_delay_alu instid0(VALU_DEP_1) | instskip(SKIP_1) | instid1(VALU_DEP_1)
	v_add_co_ci_u32_e64 v47, s0, s9, v47, s0
	v_cmp_nlt_f32_e64 s0, 0x42b17218, v50
	v_cndmask_b32_e64 v6, 0x7f800000, v2, s0
	v_add_co_u32 v48, s0, s10, v48
	s_delay_alu instid0(VALU_DEP_1)
	v_add_co_ci_u32_e64 v49, s0, s11, v49, s0
	global_store_b32 v[46:47], v4, off
	global_store_b32 v[44:45], v6, off
	global_store_b32 v[48:49], v7, off
.LBB258_7:
	s_or_b32 exec_lo, exec_lo, s2
	v_ashrrev_i32_e32 v4, 31, v0
	s_mov_b32 s1, exec_lo
	s_delay_alu instid0(VALU_DEP_1) | instskip(NEXT) | instid1(VALU_DEP_1)
	v_lshrrev_b32_e32 v2, 28, v4
	v_add_nc_u32_e32 v44, v0, v2
	s_delay_alu instid0(VALU_DEP_1) | instskip(SKIP_1) | instid1(VALU_DEP_1)
	v_ashrrev_i32_e32 v2, 4, v44
	v_lshrrev_b32_e32 v44, 31, v44
	v_add_nc_u32_e32 v44, v2, v44
	s_delay_alu instid0(VALU_DEP_1) | instskip(NEXT) | instid1(VALU_DEP_1)
	v_and_b32_e32 v44, -2, v44
	v_sub_nc_u32_e32 v44, v2, v44
	s_delay_alu instid0(VALU_DEP_1)
	v_cmpx_eq_u32_e64 v8, v44
	s_cbranch_execz .LBB258_9
; %bb.8:
	v_lshrrev_b32_e32 v4, 27, v4
	v_lshlrev_b32_e32 v2, 4, v2
	s_delay_alu instid0(VALU_DEP_2) | instskip(NEXT) | instid1(VALU_DEP_2)
	v_add_nc_u32_e32 v4, v0, v4
	v_sub_nc_u32_e32 v0, v0, v2
	s_delay_alu instid0(VALU_DEP_2) | instskip(NEXT) | instid1(VALU_DEP_1)
	v_ashrrev_i32_e32 v2, 5, v4
	v_lshl_add_u32 v0, v2, 4, v0
	s_delay_alu instid0(VALU_DEP_1) | instskip(NEXT) | instid1(VALU_DEP_1)
	v_cmp_ne_u32_e64 s0, 15, v0
	v_cndmask_b32_e64 v39, 0xff800000, v39, s0
	v_cmp_ne_u32_e64 s0, 14, v0
	s_delay_alu instid0(VALU_DEP_1) | instskip(SKIP_1) | instid1(VALU_DEP_1)
	v_cndmask_b32_e64 v37, 0xff800000, v37, s0
	v_cmp_ne_u32_e64 s0, 13, v0
	v_cndmask_b32_e64 v35, 0xff800000, v35, s0
	v_cmp_ne_u32_e64 s0, 12, v0
	s_delay_alu instid0(VALU_DEP_1) | instskip(SKIP_1) | instid1(VALU_DEP_1)
	v_cndmask_b32_e64 v33, 0xff800000, v33, s0
	;; [unrolled: 5-line block ×7, first 2 shown]
	v_cmp_ne_u32_e64 s0, 1, v0
	v_cndmask_b32_e64 v10, 0xff800000, v10, s0
	v_cmp_ne_u32_e64 s0, 0, v0
	s_delay_alu instid0(VALU_DEP_1)
	v_cndmask_b32_e64 v11, 0xff800000, v11, s0
.LBB258_9:
	s_or_b32 exec_lo, exec_lo, s1
	s_cmp_eq_u32 s4, 1
	s_cbranch_scc1 .LBB258_16
; %bb.10:
	s_add_i32 s17, s17, s3
	v_add_nc_u32_e32 v0, 1, v5
	v_add3_u32 v42, s17, v43, v42
	v_add_nc_u32_e32 v2, 1, v3
	v_add_nc_u32_e32 v4, 1, v1
	s_add_i32 s14, s4, -1
	s_branch .LBB258_12
.LBB258_11:                             ;   in Loop: Header=BB258_12 Depth=1
	s_or_b32 exec_lo, exec_lo, s1
	v_add_nc_u32_e32 v42, s3, v42
	v_add_nc_u32_e32 v0, 1, v0
	;; [unrolled: 1-line block ×4, first 2 shown]
	s_add_i32 s14, s14, -1
	s_delay_alu instid0(SALU_CYCLE_1)
	s_cmp_eq_u32 s14, 0
	s_cbranch_scc1 .LBB258_16
.LBB258_12:                             ; =>This Inner Loop Header: Depth=1
	v_cmp_gt_f32_e64 s0, v10, v11
	s_delay_alu instid0(VALU_DEP_1) | instskip(SKIP_1) | instid1(VALU_DEP_2)
	v_cndmask_b32_e64 v3, v11, v10, s0
	v_cndmask_b32_e64 v1, v9, v12, s0
	v_cmp_gt_f32_e64 s0, v13, v3
	s_delay_alu instid0(VALU_DEP_1) | instskip(NEXT) | instid1(VALU_DEP_3)
	v_cndmask_b32_e64 v3, v3, v13, s0
	v_cndmask_b32_e64 v1, v1, v14, s0
	s_delay_alu instid0(VALU_DEP_2) | instskip(NEXT) | instid1(VALU_DEP_1)
	v_cmp_gt_f32_e64 s0, v15, v3
	v_cndmask_b32_e64 v3, v3, v15, s0
	s_delay_alu instid0(VALU_DEP_3) | instskip(NEXT) | instid1(VALU_DEP_2)
	v_cndmask_b32_e64 v1, v1, v16, s0
	v_cmp_gt_f32_e64 s0, v17, v3
	s_delay_alu instid0(VALU_DEP_1) | instskip(NEXT) | instid1(VALU_DEP_3)
	v_cndmask_b32_e64 v3, v3, v17, s0
	v_cndmask_b32_e64 v1, v1, v18, s0
	s_delay_alu instid0(VALU_DEP_2) | instskip(NEXT) | instid1(VALU_DEP_1)
	v_cmp_gt_f32_e64 s0, v19, v3
	v_cndmask_b32_e64 v3, v3, v19, s0
	s_delay_alu instid0(VALU_DEP_3) | instskip(NEXT) | instid1(VALU_DEP_2)
	;; [unrolled: 9-line block ×6, first 2 shown]
	v_cndmask_b32_e64 v1, v1, v36, s0
	v_cmp_gt_f32_e64 s0, v37, v3
	s_delay_alu instid0(VALU_DEP_1) | instskip(NEXT) | instid1(VALU_DEP_3)
	v_cndmask_b32_e64 v3, v3, v37, s0
	v_cndmask_b32_e64 v1, v1, v38, s0
	s_delay_alu instid0(VALU_DEP_2) | instskip(NEXT) | instid1(VALU_DEP_1)
	v_cmp_gt_f32_e64 s0, v39, v3
	v_cndmask_b32_e64 v5, v1, v40, s0
	v_cndmask_b32_e64 v1, v3, v39, s0
	s_delay_alu instid0(VALU_DEP_2) | instskip(NEXT) | instid1(VALU_DEP_2)
	v_mov_b32_dpp v43, v5 quad_perm:[1,0,3,2] row_mask:0xf bank_mask:0xf
	v_mov_b32_dpp v3, v1 quad_perm:[1,0,3,2] row_mask:0xf bank_mask:0xf
	s_delay_alu instid0(VALU_DEP_2) | instskip(NEXT) | instid1(VALU_DEP_2)
	v_cmp_lt_i32_e64 s0, v43, v5
	v_cmp_eq_f32_e64 s1, v1, v3
	v_cmp_lt_f32_e64 s2, v1, v3
	s_delay_alu instid0(VALU_DEP_2)
	s_and_b32 s0, s1, s0
	s_delay_alu instid0(VALU_DEP_1) | instid1(SALU_CYCLE_1)
	s_or_b32 s0, s2, s0
	s_delay_alu instid0(SALU_CYCLE_1)
	v_cndmask_b32_e64 v43, v5, v43, s0
	s_and_saveexec_b32 s2, vcc_lo
	s_cbranch_execz .LBB258_14
; %bb.13:                               ;   in Loop: Header=BB258_12 Depth=1
	v_cndmask_b32_e64 v1, v1, v3, s0
	s_delay_alu instid0(VALU_DEP_2) | instskip(SKIP_4) | instid1(VALU_DEP_4)
	v_cmp_le_i32_e64 s0, s5, v43
	v_cmp_gt_i32_e64 s1, s6, v43
	v_ashrrev_i32_e32 v5, 31, v4
	v_subrev_nc_u32_e32 v51, s5, v43
	v_sub_f32_e32 v50, v1, v41
	s_and_b32 s0, s0, s1
	s_delay_alu instid0(SALU_CYCLE_1) | instskip(NEXT) | instid1(VALU_DEP_1)
	s_and_b32 s0, s16, s0
	v_mul_f32_e32 v1, 0x3fb8aa3b, v50
	s_delay_alu instid0(VALU_DEP_1) | instskip(SKIP_1) | instid1(VALU_DEP_2)
	v_fma_f32 v3, 0x3fb8aa3b, v50, -v1
	v_rndne_f32_e32 v44, v1
	v_fmac_f32_e32 v3, 0x32a5705f, v50
	s_delay_alu instid0(VALU_DEP_2) | instskip(SKIP_2) | instid1(VALU_DEP_3)
	v_sub_f32_e32 v1, v1, v44
	v_cvt_i32_f32_e32 v49, v44
	v_lshlrev_b64 v[44:45], 2, v[4:5]
	v_add_f32_e32 v1, v1, v3
	v_ashrrev_i32_e32 v3, 31, v2
	s_delay_alu instid0(VALU_DEP_2) | instskip(SKIP_1) | instid1(VALU_DEP_2)
	v_exp_f32_e32 v48, v1
	v_ashrrev_i32_e32 v1, 31, v0
	v_lshlrev_b64 v[46:47], 2, v[2:3]
	s_waitcnt_depctr 0xfff
	v_ldexp_f32 v3, v48, v49
	v_lshlrev_b64 v[48:49], 2, v[0:1]
	v_cndmask_b32_e64 v1, 32, v51, s0
	v_cmp_ngt_f32_e64 s0, 0xc2ce8ed0, v50
	s_delay_alu instid0(VALU_DEP_1) | instskip(SKIP_1) | instid1(VALU_DEP_1)
	v_cndmask_b32_e64 v3, 0, v3, s0
	v_add_co_u32 v44, s0, s12, v44
	v_add_co_ci_u32_e64 v45, s0, s13, v45, s0
	v_cmp_nlt_f32_e64 s0, 0x42b17218, v50
	s_delay_alu instid0(VALU_DEP_1) | instskip(SKIP_2) | instid1(VALU_DEP_1)
	v_cndmask_b32_e64 v3, 0x7f800000, v3, s0
	s_waitcnt lgkmcnt(0)
	v_add_co_u32 v46, s0, s8, v46
	v_add_co_ci_u32_e64 v47, s0, s9, v47, s0
	s_delay_alu instid0(VALU_DEP_3) | instskip(SKIP_1) | instid1(VALU_DEP_1)
	v_add_f32_e32 v6, v6, v3
	v_add_co_u32 v48, s0, s10, v48
	v_add_co_ci_u32_e64 v49, s0, s11, v49, s0
	global_store_b32 v[44:45], v3, off
	global_store_b32 v[46:47], v1, off
	;; [unrolled: 1-line block ×3, first 2 shown]
.LBB258_14:                             ;   in Loop: Header=BB258_12 Depth=1
	s_or_b32 exec_lo, exec_lo, s2
	s_delay_alu instid0(VALU_DEP_1) | instskip(SKIP_1) | instid1(VALU_DEP_1)
	v_ashrrev_i32_e32 v3, 31, v43
	s_mov_b32 s1, exec_lo
	v_lshrrev_b32_e32 v1, 28, v3
	s_delay_alu instid0(VALU_DEP_1) | instskip(NEXT) | instid1(VALU_DEP_1)
	v_add_nc_u32_e32 v5, v43, v1
	v_ashrrev_i32_e32 v1, 4, v5
	v_lshrrev_b32_e32 v5, 31, v5
	s_delay_alu instid0(VALU_DEP_1) | instskip(NEXT) | instid1(VALU_DEP_1)
	v_add_nc_u32_e32 v5, v1, v5
	v_and_b32_e32 v5, -2, v5
	s_delay_alu instid0(VALU_DEP_1) | instskip(NEXT) | instid1(VALU_DEP_1)
	v_sub_nc_u32_e32 v5, v1, v5
	v_cmpx_eq_u32_e64 v8, v5
	s_cbranch_execz .LBB258_11
; %bb.15:                               ;   in Loop: Header=BB258_12 Depth=1
	v_lshrrev_b32_e32 v3, 27, v3
	v_lshlrev_b32_e32 v1, 4, v1
	s_delay_alu instid0(VALU_DEP_2) | instskip(NEXT) | instid1(VALU_DEP_2)
	v_add_nc_u32_e32 v3, v43, v3
	v_sub_nc_u32_e32 v1, v43, v1
	s_delay_alu instid0(VALU_DEP_2) | instskip(NEXT) | instid1(VALU_DEP_1)
	v_ashrrev_i32_e32 v3, 5, v3
	v_lshl_add_u32 v1, v3, 4, v1
	s_delay_alu instid0(VALU_DEP_1) | instskip(NEXT) | instid1(VALU_DEP_1)
	v_cmp_ne_u32_e64 s0, 15, v1
	v_cndmask_b32_e64 v39, 0xff800000, v39, s0
	v_cmp_ne_u32_e64 s0, 14, v1
	s_delay_alu instid0(VALU_DEP_1) | instskip(SKIP_1) | instid1(VALU_DEP_1)
	v_cndmask_b32_e64 v37, 0xff800000, v37, s0
	v_cmp_ne_u32_e64 s0, 13, v1
	v_cndmask_b32_e64 v35, 0xff800000, v35, s0
	v_cmp_ne_u32_e64 s0, 12, v1
	s_delay_alu instid0(VALU_DEP_1) | instskip(SKIP_1) | instid1(VALU_DEP_1)
	v_cndmask_b32_e64 v33, 0xff800000, v33, s0
	;; [unrolled: 5-line block ×7, first 2 shown]
	v_cmp_ne_u32_e64 s0, 1, v1
	v_cndmask_b32_e64 v10, 0xff800000, v10, s0
	v_cmp_ne_u32_e64 s0, 0, v1
	s_delay_alu instid0(VALU_DEP_1)
	v_cndmask_b32_e64 v11, 0xff800000, v11, s0
	s_branch .LBB258_11
.LBB258_16:
	v_cmp_eq_u32_e32 vcc_lo, 0, v8
	v_cmp_neq_f32_e64 s0, 0, v6
	s_delay_alu instid0(VALU_DEP_1) | instskip(NEXT) | instid1(SALU_CYCLE_1)
	s_and_b32 s0, vcc_lo, s0
	s_and_b32 exec_lo, exec_lo, s0
	s_cbranch_execz .LBB258_20
; %bb.17:
	s_and_not1_b32 vcc_lo, exec_lo, s15
	s_cbranch_vccnz .LBB258_20
; %bb.18:
	v_div_scale_f32 v1, null, v6, v6, 1.0
	v_div_scale_f32 v3, vcc_lo, 1.0, v6, 1.0
	s_delay_alu instid0(VALU_DEP_2) | instskip(SKIP_2) | instid1(VALU_DEP_1)
	v_rcp_f32_e32 v2, v1
	s_waitcnt_depctr 0xfff
	v_fma_f32 v0, -v1, v2, 1.0
	v_fmac_f32_e32 v2, v0, v2
	v_mul_lo_u32 v0, v7, s7
	s_delay_alu instid0(VALU_DEP_2) | instskip(NEXT) | instid1(VALU_DEP_1)
	v_mul_f32_e32 v4, v3, v2
	v_fma_f32 v5, -v1, v4, v3
	s_delay_alu instid0(VALU_DEP_1) | instskip(NEXT) | instid1(VALU_DEP_1)
	v_fmac_f32_e32 v4, v5, v2
	v_fma_f32 v3, -v1, v4, v3
	v_ashrrev_i32_e32 v1, 31, v0
	s_delay_alu instid0(VALU_DEP_2) | instskip(NEXT) | instid1(VALU_DEP_2)
	v_div_fmas_f32 v2, v3, v2, v4
	v_lshlrev_b64 v[0:1], 2, v[0:1]
	s_delay_alu instid0(VALU_DEP_2) | instskip(NEXT) | instid1(VALU_DEP_2)
	v_div_fixup_f32 v2, v2, v6, 1.0
	v_add_co_u32 v0, vcc_lo, s12, v0
	s_delay_alu instid0(VALU_DEP_3)
	v_add_co_ci_u32_e32 v1, vcc_lo, s13, v1, vcc_lo
.LBB258_19:                             ; =>This Inner Loop Header: Depth=1
	global_load_b32 v3, v[0:1], off
	s_add_i32 s4, s4, -1
	s_delay_alu instid0(SALU_CYCLE_1)
	s_cmp_lg_u32 s4, 0
	s_waitcnt vmcnt(0)
	v_mul_f32_e32 v3, v2, v3
	global_store_b32 v[0:1], v3, off
	v_add_co_u32 v0, vcc_lo, v0, 4
	v_add_co_ci_u32_e32 v1, vcc_lo, 0, v1, vcc_lo
	s_cbranch_scc1 .LBB258_19
.LBB258_20:
	s_nop 0
	s_sendmsg sendmsg(MSG_DEALLOC_VGPRS)
	s_endpgm
	.section	.rodata,"a",@progbits
	.p2align	6, 0x0
	.amdhsa_kernel _ZN4vllm3moe17topkGatingSoftmaxItLi16ELi32ELi8ELi32ELb1ELi0ELNS0_23SharedExpertScoringFuncE0EEEvPKT_PKbPfiPiS9_iiiiii
		.amdhsa_group_segment_fixed_size 0
		.amdhsa_private_segment_fixed_size 0
		.amdhsa_kernarg_size 72
		.amdhsa_user_sgpr_count 15
		.amdhsa_user_sgpr_dispatch_ptr 0
		.amdhsa_user_sgpr_queue_ptr 0
		.amdhsa_user_sgpr_kernarg_segment_ptr 1
		.amdhsa_user_sgpr_dispatch_id 0
		.amdhsa_user_sgpr_private_segment_size 0
		.amdhsa_wavefront_size32 1
		.amdhsa_uses_dynamic_stack 0
		.amdhsa_enable_private_segment 0
		.amdhsa_system_sgpr_workgroup_id_x 1
		.amdhsa_system_sgpr_workgroup_id_y 0
		.amdhsa_system_sgpr_workgroup_id_z 0
		.amdhsa_system_sgpr_workgroup_info 0
		.amdhsa_system_vgpr_workitem_id 1
		.amdhsa_next_free_vgpr 53
		.amdhsa_next_free_sgpr 18
		.amdhsa_reserve_vcc 1
		.amdhsa_float_round_mode_32 0
		.amdhsa_float_round_mode_16_64 0
		.amdhsa_float_denorm_mode_32 3
		.amdhsa_float_denorm_mode_16_64 3
		.amdhsa_dx10_clamp 1
		.amdhsa_ieee_mode 1
		.amdhsa_fp16_overflow 0
		.amdhsa_workgroup_processor_mode 1
		.amdhsa_memory_ordered 1
		.amdhsa_forward_progress 0
		.amdhsa_shared_vgpr_count 0
		.amdhsa_exception_fp_ieee_invalid_op 0
		.amdhsa_exception_fp_denorm_src 0
		.amdhsa_exception_fp_ieee_div_zero 0
		.amdhsa_exception_fp_ieee_overflow 0
		.amdhsa_exception_fp_ieee_underflow 0
		.amdhsa_exception_fp_ieee_inexact 0
		.amdhsa_exception_int_div_zero 0
	.end_amdhsa_kernel
	.section	.text._ZN4vllm3moe17topkGatingSoftmaxItLi16ELi32ELi8ELi32ELb1ELi0ELNS0_23SharedExpertScoringFuncE0EEEvPKT_PKbPfiPiS9_iiiiii,"axG",@progbits,_ZN4vllm3moe17topkGatingSoftmaxItLi16ELi32ELi8ELi32ELb1ELi0ELNS0_23SharedExpertScoringFuncE0EEEvPKT_PKbPfiPiS9_iiiiii,comdat
.Lfunc_end258:
	.size	_ZN4vllm3moe17topkGatingSoftmaxItLi16ELi32ELi8ELi32ELb1ELi0ELNS0_23SharedExpertScoringFuncE0EEEvPKT_PKbPfiPiS9_iiiiii, .Lfunc_end258-_ZN4vllm3moe17topkGatingSoftmaxItLi16ELi32ELi8ELi32ELb1ELi0ELNS0_23SharedExpertScoringFuncE0EEEvPKT_PKbPfiPiS9_iiiiii
                                        ; -- End function
	.section	.AMDGPU.csdata,"",@progbits
; Kernel info:
; codeLenInByte = 3248
; NumSgprs: 20
; NumVgprs: 53
; ScratchSize: 0
; MemoryBound: 0
; FloatMode: 240
; IeeeMode: 1
; LDSByteSize: 0 bytes/workgroup (compile time only)
; SGPRBlocks: 2
; VGPRBlocks: 6
; NumSGPRsForWavesPerEU: 20
; NumVGPRsForWavesPerEU: 53
; Occupancy: 16
; WaveLimiterHint : 0
; COMPUTE_PGM_RSRC2:SCRATCH_EN: 0
; COMPUTE_PGM_RSRC2:USER_SGPR: 15
; COMPUTE_PGM_RSRC2:TRAP_HANDLER: 0
; COMPUTE_PGM_RSRC2:TGID_X_EN: 1
; COMPUTE_PGM_RSRC2:TGID_Y_EN: 0
; COMPUTE_PGM_RSRC2:TGID_Z_EN: 0
; COMPUTE_PGM_RSRC2:TIDIG_COMP_CNT: 1
	.section	.text._ZN4vllm3moe17topkGatingSoftmaxItLi16ELi32ELi8ELi32ELb0ELi0ELNS0_23SharedExpertScoringFuncE0EEEvPKT_PKbPfiPiS9_iiiiii,"axG",@progbits,_ZN4vllm3moe17topkGatingSoftmaxItLi16ELi32ELi8ELi32ELb0ELi0ELNS0_23SharedExpertScoringFuncE0EEEvPKT_PKbPfiPiS9_iiiiii,comdat
	.protected	_ZN4vllm3moe17topkGatingSoftmaxItLi16ELi32ELi8ELi32ELb0ELi0ELNS0_23SharedExpertScoringFuncE0EEEvPKT_PKbPfiPiS9_iiiiii ; -- Begin function _ZN4vllm3moe17topkGatingSoftmaxItLi16ELi32ELi8ELi32ELb0ELi0ELNS0_23SharedExpertScoringFuncE0EEEvPKT_PKbPfiPiS9_iiiiii
	.globl	_ZN4vllm3moe17topkGatingSoftmaxItLi16ELi32ELi8ELi32ELb0ELi0ELNS0_23SharedExpertScoringFuncE0EEEvPKT_PKbPfiPiS9_iiiiii
	.p2align	8
	.type	_ZN4vllm3moe17topkGatingSoftmaxItLi16ELi32ELi8ELi32ELb0ELi0ELNS0_23SharedExpertScoringFuncE0EEEvPKT_PKbPfiPiS9_iiiiii,@function
_ZN4vllm3moe17topkGatingSoftmaxItLi16ELi32ELi8ELi32ELb0ELi0ELNS0_23SharedExpertScoringFuncE0EEEvPKT_PKbPfiPiS9_iiiiii: ; @_ZN4vllm3moe17topkGatingSoftmaxItLi16ELi32ELi8ELi32ELb0ELi0ELNS0_23SharedExpertScoringFuncE0EEEvPKT_PKbPfiPiS9_iiiiii
; %bb.0:
	s_load_b32 s16, s[0:1], 0x18
	v_bfe_u32 v1, v0, 10, 10
	v_and_b32_e32 v0, 0x3ff, v0
	s_lshl_b32 s18, s15, 7
	s_mov_b32 s2, exec_lo
	s_delay_alu instid0(VALU_DEP_2) | instskip(NEXT) | instid1(VALU_DEP_2)
	v_lshlrev_b32_e32 v42, 4, v1
	v_lshrrev_b32_e32 v43, 1, v0
	s_delay_alu instid0(VALU_DEP_1) | instskip(SKIP_1) | instid1(VALU_DEP_1)
	v_add3_u32 v7, s18, v42, v43
	s_waitcnt lgkmcnt(0)
	v_cmpx_gt_i32_e64 s16, v7
	s_cbranch_execz .LBB259_21
; %bb.1:
	s_clause 0x1
	s_load_b128 s[4:7], s[0:1], 0x0
	s_load_b64 s[12:13], s[0:1], 0x10
	s_waitcnt lgkmcnt(0)
	s_cmp_eq_u64 s[6:7], 0
	s_cbranch_scc1 .LBB259_3
; %bb.2:
	v_ashrrev_i32_e32 v2, 31, v7
	v_add_co_u32 v1, vcc_lo, s6, v7
	s_delay_alu instid0(VALU_DEP_2) | instskip(SKIP_3) | instid1(VALU_DEP_1)
	v_add_co_ci_u32_e32 v2, vcc_lo, s7, v2, vcc_lo
	global_load_u8 v1, v[1:2], off
	s_waitcnt vmcnt(0)
	v_and_b32_e32 v1, 1, v1
	v_cmp_eq_u32_e32 vcc_lo, 1, v1
	s_xor_b32 s2, vcc_lo, -1
	s_delay_alu instid0(SALU_CYCLE_1)
	s_or_not1_b32 s17, s2, exec_lo
	s_branch .LBB259_4
.LBB259_3:
	s_mov_b32 s17, -1
.LBB259_4:
	s_load_b64 s[14:15], s[0:1], 0x40
	v_and_b32_e32 v8, 1, v0
	v_mov_b32_e32 v6, 0
	s_delay_alu instid0(VALU_DEP_2) | instskip(NEXT) | instid1(VALU_DEP_1)
	v_lshlrev_b32_e32 v26, 4, v8
	v_or_b32_e32 v27, 1, v26
	v_or_b32_e32 v28, 2, v26
	;; [unrolled: 1-line block ×6, first 2 shown]
	s_waitcnt lgkmcnt(0)
	v_mul_lo_u32 v1, v7, s15
	s_delay_alu instid0(VALU_DEP_1) | instskip(NEXT) | instid1(VALU_DEP_1)
	v_ashrrev_i32_e32 v2, 31, v1
	v_lshlrev_b64 v[0:1], 1, v[1:2]
	v_lshlrev_b32_e32 v2, 5, v8
	s_delay_alu instid0(VALU_DEP_2) | instskip(NEXT) | instid1(VALU_DEP_3)
	v_add_co_u32 v0, vcc_lo, s4, v0
	v_add_co_ci_u32_e32 v1, vcc_lo, s5, v1, vcc_lo
	s_load_b128 s[4:7], s[0:1], 0x30
	s_delay_alu instid0(VALU_DEP_2) | instskip(NEXT) | instid1(VALU_DEP_2)
	v_add_co_u32 v4, vcc_lo, v0, v2
	v_add_co_ci_u32_e32 v5, vcc_lo, 0, v1, vcc_lo
	s_clause 0x1
	global_load_b128 v[0:3], v[4:5], off
	global_load_b128 v[37:40], v[4:5], off offset:16
	s_waitcnt vmcnt(1)
	v_lshrrev_b32_e32 v4, 16, v0
	v_and_b32_e32 v0, 0xffff, v0
	s_delay_alu instid0(VALU_DEP_2) | instskip(NEXT) | instid1(VALU_DEP_2)
	v_cvt_f32_u32_e32 v21, v4
	v_cvt_f32_u32_e32 v23, v0
	v_and_b32_e32 v0, 0xffff, v1
	v_lshrrev_b32_e32 v1, 16, v1
	s_delay_alu instid0(VALU_DEP_3) | instskip(NEXT) | instid1(VALU_DEP_3)
	v_cmp_lt_f32_e32 vcc_lo, v23, v21
	v_cvt_f32_u32_e32 v25, v0
	s_delay_alu instid0(VALU_DEP_3) | instskip(SKIP_2) | instid1(VALU_DEP_2)
	v_cvt_f32_u32_e32 v24, v1
	v_cndmask_b32_e32 v4, v23, v21, vcc_lo
	v_cndmask_b32_e32 v0, v26, v27, vcc_lo
	v_cmp_lt_f32_e32 vcc_lo, v4, v25
	v_dual_cndmask_b32 v1, v4, v25 :: v_dual_and_b32 v4, 0xffff, v2
	v_lshrrev_b32_e32 v2, 16, v2
	s_delay_alu instid0(VALU_DEP_2) | instskip(NEXT) | instid1(VALU_DEP_2)
	v_cvt_f32_u32_e32 v22, v4
	v_cvt_f32_u32_e32 v20, v2
	v_and_b32_e32 v2, 0xffff, v3
	s_delay_alu instid0(VALU_DEP_1) | instskip(SKIP_1) | instid1(VALU_DEP_1)
	v_cvt_f32_u32_e32 v19, v2
	v_lshrrev_b32_e32 v2, 16, v3
	v_cvt_f32_u32_e32 v18, v2
	s_waitcnt vmcnt(0)
	v_and_b32_e32 v2, 0xffff, v37
	s_delay_alu instid0(VALU_DEP_1) | instskip(SKIP_3) | instid1(VALU_DEP_3)
	v_cvt_f32_u32_e32 v17, v2
	v_lshrrev_b32_e32 v2, 16, v37
	v_cndmask_b32_e32 v0, v0, v28, vcc_lo
	v_cmp_lt_f32_e32 vcc_lo, v1, v24
	v_cvt_f32_u32_e32 v16, v2
	v_dual_cndmask_b32 v1, v1, v24 :: v_dual_and_b32 v2, 0xffff, v38
	s_delay_alu instid0(VALU_DEP_1) | instskip(SKIP_1) | instid1(VALU_DEP_1)
	v_cvt_f32_u32_e32 v15, v2
	v_lshrrev_b32_e32 v2, 16, v38
	v_cvt_f32_u32_e32 v14, v2
	v_cndmask_b32_e32 v0, v0, v29, vcc_lo
	v_cmp_lt_f32_e32 vcc_lo, v1, v22
	v_dual_cndmask_b32 v1, v1, v22 :: v_dual_and_b32 v2, 0xffff, v39
	s_delay_alu instid0(VALU_DEP_1) | instskip(NEXT) | instid1(VALU_DEP_4)
	v_cvt_f32_u32_e32 v13, v2
	v_cndmask_b32_e32 v0, v0, v30, vcc_lo
	v_lshrrev_b32_e32 v2, 16, v39
	s_delay_alu instid0(VALU_DEP_4) | instskip(NEXT) | instid1(VALU_DEP_2)
	v_cmp_lt_f32_e32 vcc_lo, v1, v20
	v_cvt_f32_u32_e32 v12, v2
	v_and_b32_e32 v2, 0xffff, v40
	v_cndmask_b32_e32 v1, v1, v20, vcc_lo
	s_delay_alu instid0(VALU_DEP_2) | instskip(SKIP_1) | instid1(VALU_DEP_3)
	v_cvt_f32_u32_e32 v10, v2
	v_cndmask_b32_e32 v0, v0, v31, vcc_lo
	v_cmp_lt_f32_e32 vcc_lo, v1, v19
	v_lshrrev_b32_e32 v2, 16, v40
	v_cndmask_b32_e32 v1, v1, v19, vcc_lo
	s_delay_alu instid0(VALU_DEP_2) | instskip(SKIP_1) | instid1(VALU_DEP_3)
	v_cvt_f32_u32_e32 v9, v2
	v_cndmask_b32_e32 v0, v0, v32, vcc_lo
	v_cmp_lt_f32_e32 vcc_lo, v1, v18
	v_cndmask_b32_e32 v1, v1, v18, vcc_lo
	v_or_b32_e32 v33, 7, v26
	v_or_b32_e32 v34, 8, v26
	;; [unrolled: 1-line block ×5, first 2 shown]
	v_cndmask_b32_e32 v0, v0, v33, vcc_lo
	v_cmp_lt_f32_e32 vcc_lo, v1, v17
	v_or_b32_e32 v38, 12, v26
	v_or_b32_e32 v39, 13, v26
	;; [unrolled: 1-line block ×4, first 2 shown]
	v_dual_cndmask_b32 v1, v1, v17 :: v_dual_cndmask_b32 v0, v0, v34
	s_delay_alu instid0(VALU_DEP_1) | instskip(NEXT) | instid1(VALU_DEP_2)
	v_cmp_lt_f32_e32 vcc_lo, v1, v16
	v_dual_cndmask_b32 v1, v1, v16 :: v_dual_cndmask_b32 v0, v0, v35
	s_delay_alu instid0(VALU_DEP_1) | instskip(NEXT) | instid1(VALU_DEP_2)
	v_cmp_lt_f32_e32 vcc_lo, v1, v15
	;; [unrolled: 3-line block ×6, first 2 shown]
	v_dual_cndmask_b32 v1, v1, v10 :: v_dual_cndmask_b32 v0, v0, v40
	s_delay_alu instid0(VALU_DEP_1) | instskip(SKIP_1) | instid1(VALU_DEP_3)
	v_cmp_lt_f32_e32 vcc_lo, v1, v9
	v_cndmask_b32_e32 v1, v1, v9, vcc_lo
	v_cndmask_b32_e32 v0, v0, v41, vcc_lo
	s_delay_alu instid0(VALU_DEP_2) | instskip(NEXT) | instid1(VALU_DEP_2)
	v_mov_b32_dpp v3, v1 quad_perm:[1,0,3,2] row_mask:0xf bank_mask:0xf
	v_mov_b32_dpp v2, v0 quad_perm:[1,0,3,2] row_mask:0xf bank_mask:0xf
	s_delay_alu instid0(VALU_DEP_2) | instskip(NEXT) | instid1(VALU_DEP_2)
	v_cmp_eq_f32_e64 s2, v1, v3
	v_cmp_lt_i32_e32 vcc_lo, v2, v0
	v_cmp_lt_f32_e64 s3, v1, v3
	s_delay_alu instid0(VALU_DEP_3) | instskip(SKIP_1) | instid1(VALU_DEP_2)
	s_and_b32 s2, s2, vcc_lo
	v_cmp_eq_u32_e32 vcc_lo, 0, v8
	s_or_b32 s2, s3, s2
	s_waitcnt lgkmcnt(0)
	s_cmp_gt_i32 s4, 0
	v_cndmask_b32_e64 v11, v1, v3, s2
	s_cselect_b32 s3, -1, 0
	s_cmp_lt_i32 s4, 1
	s_cbranch_scc1 .LBB259_16
; %bb.5:
	s_load_b128 s[8:11], s[0:1], 0x20
	v_mul_lo_u32 v1, v7, s7
	v_mul_lo_u32 v3, v7, s14
	v_mul_lo_u32 v5, v7, s4
	v_cndmask_b32_e64 v0, v0, v2, s2
	v_mov_b32_e32 v6, 0
	s_and_saveexec_b32 s2, vcc_lo
	s_cbranch_execz .LBB259_7
; %bb.6:
	v_sub_f32_e32 v50, v11, v11
	v_cmp_le_i32_e64 s0, s5, v0
	v_cmp_gt_i32_e64 s1, s6, v0
	v_subrev_nc_u32_e32 v51, s5, v0
	v_ashrrev_i32_e32 v6, 31, v5
	v_mul_f32_e32 v2, 0x3fb8aa3b, v50
	s_delay_alu instid0(VALU_DEP_4) | instskip(NEXT) | instid1(SALU_CYCLE_1)
	s_and_b32 s0, s0, s1
	s_and_b32 s0, s17, s0
	s_delay_alu instid0(VALU_DEP_1) | instskip(SKIP_2) | instid1(VALU_DEP_3)
	v_rndne_f32_e32 v46, v2
	v_fma_f32 v4, 0x3fb8aa3b, v50, -v2
	v_lshlrev_b64 v[48:49], 2, v[5:6]
	v_sub_f32_e32 v2, v2, v46
	s_delay_alu instid0(VALU_DEP_3) | instskip(NEXT) | instid1(VALU_DEP_1)
	v_fmamk_f32 v4, v50, 0x32a5705f, v4
	v_add_f32_e32 v4, v2, v4
	v_ashrrev_i32_e32 v2, 31, v1
	s_delay_alu instid0(VALU_DEP_2) | instskip(NEXT) | instid1(VALU_DEP_1)
	v_exp_f32_e32 v52, v4
	v_lshlrev_b64 v[44:45], 2, v[1:2]
	v_ashrrev_i32_e32 v4, 31, v3
	v_cvt_i32_f32_e32 v2, v46
	s_delay_alu instid0(VALU_DEP_2) | instskip(SKIP_2) | instid1(VALU_DEP_1)
	v_lshlrev_b64 v[46:47], 2, v[3:4]
	v_cndmask_b32_e64 v4, 32, v51, s0
	v_add_co_u32 v44, s0, s12, v44
	v_add_co_ci_u32_e64 v45, s0, s13, v45, s0
	s_delay_alu instid0(TRANS32_DEP_1) | instskip(SKIP_1) | instid1(VALU_DEP_1)
	v_ldexp_f32 v2, v52, v2
	v_cmp_ngt_f32_e64 s0, 0xc2ce8ed0, v50
	v_cndmask_b32_e64 v2, 0, v2, s0
	s_waitcnt lgkmcnt(0)
	v_add_co_u32 v46, s0, s8, v46
	s_delay_alu instid0(VALU_DEP_1) | instskip(SKIP_1) | instid1(VALU_DEP_1)
	v_add_co_ci_u32_e64 v47, s0, s9, v47, s0
	v_cmp_nlt_f32_e64 s0, 0x42b17218, v50
	v_cndmask_b32_e64 v6, 0x7f800000, v2, s0
	v_add_co_u32 v48, s0, s10, v48
	s_delay_alu instid0(VALU_DEP_1)
	v_add_co_ci_u32_e64 v49, s0, s11, v49, s0
	global_store_b32 v[46:47], v4, off
	global_store_b32 v[44:45], v6, off
	;; [unrolled: 1-line block ×3, first 2 shown]
.LBB259_7:
	s_or_b32 exec_lo, exec_lo, s2
	v_ashrrev_i32_e32 v4, 31, v0
	s_mov_b32 s1, exec_lo
	s_delay_alu instid0(VALU_DEP_1) | instskip(NEXT) | instid1(VALU_DEP_1)
	v_lshrrev_b32_e32 v2, 28, v4
	v_add_nc_u32_e32 v44, v0, v2
	s_delay_alu instid0(VALU_DEP_1) | instskip(SKIP_1) | instid1(VALU_DEP_1)
	v_ashrrev_i32_e32 v2, 4, v44
	v_lshrrev_b32_e32 v44, 31, v44
	v_add_nc_u32_e32 v44, v2, v44
	s_delay_alu instid0(VALU_DEP_1) | instskip(NEXT) | instid1(VALU_DEP_1)
	v_and_b32_e32 v44, -2, v44
	v_sub_nc_u32_e32 v44, v2, v44
	s_delay_alu instid0(VALU_DEP_1)
	v_cmpx_eq_u32_e64 v8, v44
	s_cbranch_execz .LBB259_9
; %bb.8:
	v_lshrrev_b32_e32 v4, 27, v4
	v_lshlrev_b32_e32 v2, 4, v2
	s_delay_alu instid0(VALU_DEP_2) | instskip(NEXT) | instid1(VALU_DEP_2)
	v_add_nc_u32_e32 v4, v0, v4
	v_sub_nc_u32_e32 v0, v0, v2
	s_delay_alu instid0(VALU_DEP_2) | instskip(NEXT) | instid1(VALU_DEP_1)
	v_ashrrev_i32_e32 v2, 5, v4
	v_lshl_add_u32 v0, v2, 4, v0
	s_delay_alu instid0(VALU_DEP_1) | instskip(NEXT) | instid1(VALU_DEP_1)
	v_cmp_ne_u32_e64 s0, 15, v0
	v_cndmask_b32_e64 v9, 0xff800000, v9, s0
	v_cmp_ne_u32_e64 s0, 14, v0
	s_delay_alu instid0(VALU_DEP_1) | instskip(SKIP_1) | instid1(VALU_DEP_1)
	v_cndmask_b32_e64 v10, 0xff800000, v10, s0
	v_cmp_ne_u32_e64 s0, 13, v0
	v_cndmask_b32_e64 v12, 0xff800000, v12, s0
	v_cmp_ne_u32_e64 s0, 12, v0
	s_delay_alu instid0(VALU_DEP_1) | instskip(SKIP_1) | instid1(VALU_DEP_1)
	v_cndmask_b32_e64 v13, 0xff800000, v13, s0
	;; [unrolled: 5-line block ×7, first 2 shown]
	v_cmp_ne_u32_e64 s0, 1, v0
	v_cndmask_b32_e64 v21, 0xff800000, v21, s0
	v_cmp_ne_u32_e64 s0, 0, v0
	s_delay_alu instid0(VALU_DEP_1)
	v_cndmask_b32_e64 v23, 0xff800000, v23, s0
.LBB259_9:
	s_or_b32 exec_lo, exec_lo, s1
	s_cmp_eq_u32 s4, 1
	s_cbranch_scc1 .LBB259_16
; %bb.10:
	s_add_i32 s18, s18, s16
	v_add_nc_u32_e32 v0, 1, v5
	v_add3_u32 v42, s18, v43, v42
	v_add_nc_u32_e32 v2, 1, v3
	v_add_nc_u32_e32 v4, 1, v1
	s_add_i32 s14, s4, -1
	s_branch .LBB259_12
.LBB259_11:                             ;   in Loop: Header=BB259_12 Depth=1
	s_or_b32 exec_lo, exec_lo, s1
	v_add_nc_u32_e32 v42, s16, v42
	v_add_nc_u32_e32 v0, 1, v0
	;; [unrolled: 1-line block ×4, first 2 shown]
	s_add_i32 s14, s14, -1
	s_delay_alu instid0(SALU_CYCLE_1)
	s_cmp_eq_u32 s14, 0
	s_cbranch_scc1 .LBB259_16
.LBB259_12:                             ; =>This Inner Loop Header: Depth=1
	v_cmp_gt_f32_e64 s0, v21, v23
	s_delay_alu instid0(VALU_DEP_1) | instskip(SKIP_1) | instid1(VALU_DEP_2)
	v_cndmask_b32_e64 v3, v23, v21, s0
	v_cndmask_b32_e64 v1, v26, v27, s0
	v_cmp_gt_f32_e64 s0, v25, v3
	s_delay_alu instid0(VALU_DEP_1) | instskip(NEXT) | instid1(VALU_DEP_3)
	v_cndmask_b32_e64 v3, v3, v25, s0
	v_cndmask_b32_e64 v1, v1, v28, s0
	s_delay_alu instid0(VALU_DEP_2) | instskip(NEXT) | instid1(VALU_DEP_1)
	v_cmp_gt_f32_e64 s0, v24, v3
	v_cndmask_b32_e64 v3, v3, v24, s0
	s_delay_alu instid0(VALU_DEP_3) | instskip(NEXT) | instid1(VALU_DEP_2)
	v_cndmask_b32_e64 v1, v1, v29, s0
	v_cmp_gt_f32_e64 s0, v22, v3
	s_delay_alu instid0(VALU_DEP_1) | instskip(NEXT) | instid1(VALU_DEP_3)
	v_cndmask_b32_e64 v3, v3, v22, s0
	v_cndmask_b32_e64 v1, v1, v30, s0
	s_delay_alu instid0(VALU_DEP_2) | instskip(NEXT) | instid1(VALU_DEP_1)
	v_cmp_gt_f32_e64 s0, v20, v3
	v_cndmask_b32_e64 v3, v3, v20, s0
	s_delay_alu instid0(VALU_DEP_3) | instskip(NEXT) | instid1(VALU_DEP_2)
	v_cndmask_b32_e64 v1, v1, v31, s0
	v_cmp_gt_f32_e64 s0, v19, v3
	s_delay_alu instid0(VALU_DEP_1) | instskip(NEXT) | instid1(VALU_DEP_3)
	v_cndmask_b32_e64 v3, v3, v19, s0
	v_cndmask_b32_e64 v1, v1, v32, s0
	s_delay_alu instid0(VALU_DEP_2) | instskip(NEXT) | instid1(VALU_DEP_1)
	v_cmp_gt_f32_e64 s0, v18, v3
	v_cndmask_b32_e64 v3, v3, v18, s0
	s_delay_alu instid0(VALU_DEP_3) | instskip(NEXT) | instid1(VALU_DEP_2)
	v_cndmask_b32_e64 v1, v1, v33, s0
	v_cmp_gt_f32_e64 s0, v17, v3
	s_delay_alu instid0(VALU_DEP_1) | instskip(NEXT) | instid1(VALU_DEP_3)
	v_cndmask_b32_e64 v3, v3, v17, s0
	v_cndmask_b32_e64 v1, v1, v34, s0
	s_delay_alu instid0(VALU_DEP_2) | instskip(NEXT) | instid1(VALU_DEP_1)
	v_cmp_gt_f32_e64 s0, v16, v3
	v_cndmask_b32_e64 v3, v3, v16, s0
	s_delay_alu instid0(VALU_DEP_3) | instskip(NEXT) | instid1(VALU_DEP_2)
	v_cndmask_b32_e64 v1, v1, v35, s0
	v_cmp_gt_f32_e64 s0, v15, v3
	s_delay_alu instid0(VALU_DEP_1) | instskip(NEXT) | instid1(VALU_DEP_3)
	v_cndmask_b32_e64 v3, v3, v15, s0
	v_cndmask_b32_e64 v1, v1, v36, s0
	s_delay_alu instid0(VALU_DEP_2) | instskip(NEXT) | instid1(VALU_DEP_1)
	v_cmp_gt_f32_e64 s0, v14, v3
	v_cndmask_b32_e64 v3, v3, v14, s0
	s_delay_alu instid0(VALU_DEP_3) | instskip(NEXT) | instid1(VALU_DEP_2)
	v_cndmask_b32_e64 v1, v1, v37, s0
	v_cmp_gt_f32_e64 s0, v13, v3
	s_delay_alu instid0(VALU_DEP_1) | instskip(NEXT) | instid1(VALU_DEP_3)
	v_cndmask_b32_e64 v3, v3, v13, s0
	v_cndmask_b32_e64 v1, v1, v38, s0
	s_delay_alu instid0(VALU_DEP_2) | instskip(NEXT) | instid1(VALU_DEP_1)
	v_cmp_gt_f32_e64 s0, v12, v3
	v_cndmask_b32_e64 v3, v3, v12, s0
	s_delay_alu instid0(VALU_DEP_3) | instskip(NEXT) | instid1(VALU_DEP_2)
	v_cndmask_b32_e64 v1, v1, v39, s0
	v_cmp_gt_f32_e64 s0, v10, v3
	s_delay_alu instid0(VALU_DEP_1) | instskip(NEXT) | instid1(VALU_DEP_3)
	v_cndmask_b32_e64 v3, v3, v10, s0
	v_cndmask_b32_e64 v1, v1, v40, s0
	s_delay_alu instid0(VALU_DEP_2) | instskip(NEXT) | instid1(VALU_DEP_1)
	v_cmp_gt_f32_e64 s0, v9, v3
	v_cndmask_b32_e64 v5, v1, v41, s0
	v_cndmask_b32_e64 v1, v3, v9, s0
	s_delay_alu instid0(VALU_DEP_2) | instskip(NEXT) | instid1(VALU_DEP_2)
	v_mov_b32_dpp v43, v5 quad_perm:[1,0,3,2] row_mask:0xf bank_mask:0xf
	v_mov_b32_dpp v3, v1 quad_perm:[1,0,3,2] row_mask:0xf bank_mask:0xf
	s_delay_alu instid0(VALU_DEP_2) | instskip(NEXT) | instid1(VALU_DEP_2)
	v_cmp_lt_i32_e64 s0, v43, v5
	v_cmp_eq_f32_e64 s1, v1, v3
	v_cmp_lt_f32_e64 s2, v1, v3
	s_delay_alu instid0(VALU_DEP_2)
	s_and_b32 s0, s1, s0
	s_delay_alu instid0(VALU_DEP_1) | instid1(SALU_CYCLE_1)
	s_or_b32 s0, s2, s0
	s_delay_alu instid0(SALU_CYCLE_1)
	v_cndmask_b32_e64 v43, v5, v43, s0
	s_and_saveexec_b32 s2, vcc_lo
	s_cbranch_execz .LBB259_14
; %bb.13:                               ;   in Loop: Header=BB259_12 Depth=1
	v_cndmask_b32_e64 v1, v1, v3, s0
	s_delay_alu instid0(VALU_DEP_2) | instskip(SKIP_4) | instid1(VALU_DEP_4)
	v_cmp_le_i32_e64 s0, s5, v43
	v_cmp_gt_i32_e64 s1, s6, v43
	v_ashrrev_i32_e32 v5, 31, v4
	v_subrev_nc_u32_e32 v51, s5, v43
	v_sub_f32_e32 v50, v1, v11
	s_and_b32 s0, s0, s1
	s_delay_alu instid0(SALU_CYCLE_1) | instskip(NEXT) | instid1(VALU_DEP_1)
	s_and_b32 s0, s17, s0
	v_mul_f32_e32 v1, 0x3fb8aa3b, v50
	s_delay_alu instid0(VALU_DEP_1) | instskip(SKIP_1) | instid1(VALU_DEP_2)
	v_fma_f32 v3, 0x3fb8aa3b, v50, -v1
	v_rndne_f32_e32 v44, v1
	v_fmac_f32_e32 v3, 0x32a5705f, v50
	s_delay_alu instid0(VALU_DEP_2) | instskip(SKIP_2) | instid1(VALU_DEP_3)
	v_sub_f32_e32 v1, v1, v44
	v_cvt_i32_f32_e32 v49, v44
	v_lshlrev_b64 v[44:45], 2, v[4:5]
	v_add_f32_e32 v1, v1, v3
	v_ashrrev_i32_e32 v3, 31, v2
	s_delay_alu instid0(VALU_DEP_2) | instskip(SKIP_1) | instid1(VALU_DEP_2)
	v_exp_f32_e32 v48, v1
	v_ashrrev_i32_e32 v1, 31, v0
	v_lshlrev_b64 v[46:47], 2, v[2:3]
	s_waitcnt_depctr 0xfff
	v_ldexp_f32 v3, v48, v49
	v_lshlrev_b64 v[48:49], 2, v[0:1]
	v_cndmask_b32_e64 v1, 32, v51, s0
	v_cmp_ngt_f32_e64 s0, 0xc2ce8ed0, v50
	s_delay_alu instid0(VALU_DEP_1) | instskip(SKIP_1) | instid1(VALU_DEP_1)
	v_cndmask_b32_e64 v3, 0, v3, s0
	v_add_co_u32 v44, s0, s12, v44
	v_add_co_ci_u32_e64 v45, s0, s13, v45, s0
	v_cmp_nlt_f32_e64 s0, 0x42b17218, v50
	s_delay_alu instid0(VALU_DEP_1) | instskip(SKIP_2) | instid1(VALU_DEP_1)
	v_cndmask_b32_e64 v3, 0x7f800000, v3, s0
	s_waitcnt lgkmcnt(0)
	v_add_co_u32 v46, s0, s8, v46
	v_add_co_ci_u32_e64 v47, s0, s9, v47, s0
	s_delay_alu instid0(VALU_DEP_3) | instskip(SKIP_1) | instid1(VALU_DEP_1)
	v_add_f32_e32 v6, v6, v3
	v_add_co_u32 v48, s0, s10, v48
	v_add_co_ci_u32_e64 v49, s0, s11, v49, s0
	global_store_b32 v[44:45], v3, off
	global_store_b32 v[46:47], v1, off
	;; [unrolled: 1-line block ×3, first 2 shown]
.LBB259_14:                             ;   in Loop: Header=BB259_12 Depth=1
	s_or_b32 exec_lo, exec_lo, s2
	s_delay_alu instid0(VALU_DEP_1) | instskip(SKIP_1) | instid1(VALU_DEP_1)
	v_ashrrev_i32_e32 v3, 31, v43
	s_mov_b32 s1, exec_lo
	v_lshrrev_b32_e32 v1, 28, v3
	s_delay_alu instid0(VALU_DEP_1) | instskip(NEXT) | instid1(VALU_DEP_1)
	v_add_nc_u32_e32 v5, v43, v1
	v_ashrrev_i32_e32 v1, 4, v5
	v_lshrrev_b32_e32 v5, 31, v5
	s_delay_alu instid0(VALU_DEP_1) | instskip(NEXT) | instid1(VALU_DEP_1)
	v_add_nc_u32_e32 v5, v1, v5
	v_and_b32_e32 v5, -2, v5
	s_delay_alu instid0(VALU_DEP_1) | instskip(NEXT) | instid1(VALU_DEP_1)
	v_sub_nc_u32_e32 v5, v1, v5
	v_cmpx_eq_u32_e64 v8, v5
	s_cbranch_execz .LBB259_11
; %bb.15:                               ;   in Loop: Header=BB259_12 Depth=1
	v_lshrrev_b32_e32 v3, 27, v3
	v_lshlrev_b32_e32 v1, 4, v1
	s_delay_alu instid0(VALU_DEP_2) | instskip(NEXT) | instid1(VALU_DEP_2)
	v_add_nc_u32_e32 v3, v43, v3
	v_sub_nc_u32_e32 v1, v43, v1
	s_delay_alu instid0(VALU_DEP_2) | instskip(NEXT) | instid1(VALU_DEP_1)
	v_ashrrev_i32_e32 v3, 5, v3
	v_lshl_add_u32 v1, v3, 4, v1
	s_delay_alu instid0(VALU_DEP_1) | instskip(NEXT) | instid1(VALU_DEP_1)
	v_cmp_ne_u32_e64 s0, 15, v1
	v_cndmask_b32_e64 v9, 0xff800000, v9, s0
	v_cmp_ne_u32_e64 s0, 14, v1
	s_delay_alu instid0(VALU_DEP_1) | instskip(SKIP_1) | instid1(VALU_DEP_1)
	v_cndmask_b32_e64 v10, 0xff800000, v10, s0
	v_cmp_ne_u32_e64 s0, 13, v1
	v_cndmask_b32_e64 v12, 0xff800000, v12, s0
	v_cmp_ne_u32_e64 s0, 12, v1
	s_delay_alu instid0(VALU_DEP_1) | instskip(SKIP_1) | instid1(VALU_DEP_1)
	v_cndmask_b32_e64 v13, 0xff800000, v13, s0
	;; [unrolled: 5-line block ×7, first 2 shown]
	v_cmp_ne_u32_e64 s0, 1, v1
	v_cndmask_b32_e64 v21, 0xff800000, v21, s0
	v_cmp_ne_u32_e64 s0, 0, v1
	s_delay_alu instid0(VALU_DEP_1)
	v_cndmask_b32_e64 v23, 0xff800000, v23, s0
	s_branch .LBB259_11
.LBB259_16:
	s_delay_alu instid0(VALU_DEP_1) | instskip(SKIP_3) | instid1(VALU_DEP_4)
	v_sub_f32_e32 v5, v24, v11
	v_sub_f32_e32 v0, v23, v11
	;; [unrolled: 1-line block ×4, first 2 shown]
	v_dual_sub_f32 v12, v12, v11 :: v_dual_mul_f32 v27, 0x3fb8aa3b, v5
	s_delay_alu instid0(VALU_DEP_4) | instskip(SKIP_2) | instid1(VALU_DEP_4)
	v_dual_sub_f32 v1, v21, v11 :: v_dual_mul_f32 v2, 0x3fb8aa3b, v0
	v_sub_f32_e32 v3, v25, v11
	v_cmp_ngt_f32_e32 vcc_lo, 0xc2ce8ed0, v0
	v_rndne_f32_e32 v30, v27
	s_delay_alu instid0(VALU_DEP_4)
	v_mul_f32_e32 v4, 0x3fb8aa3b, v1
	v_rndne_f32_e32 v23, v2
	v_mul_f32_e32 v26, 0x3fb8aa3b, v3
	v_sub_f32_e32 v10, v10, v11
	v_sub_f32_e32 v19, v19, v11
	v_fma_f32 v24, 0x3fb8aa3b, v1, -v4
	v_sub_f32_e32 v21, v22, v11
	v_fma_f32 v22, 0x3fb8aa3b, v0, -v2
	v_rndne_f32_e32 v25, v4
	s_delay_alu instid0(VALU_DEP_4) | instskip(SKIP_1) | instid1(VALU_DEP_4)
	v_dual_sub_f32 v15, v15, v11 :: v_dual_fmac_f32 v24, 0x32a5705f, v1
	v_sub_f32_e32 v14, v14, v11
	v_fmac_f32_e32 v22, 0x32a5705f, v0
	v_fma_f32 v29, 0x3fb8aa3b, v5, -v27
	v_sub_f32_e32 v2, v2, v23
	v_sub_f32_e32 v4, v4, v25
	v_cvt_i32_f32_e32 v23, v23
	v_cvt_i32_f32_e32 v25, v25
	s_delay_alu instid0(VALU_DEP_4) | instskip(NEXT) | instid1(VALU_DEP_4)
	v_dual_fmac_f32 v29, 0x32a5705f, v5 :: v_dual_add_f32 v2, v2, v22
	v_dual_add_f32 v4, v4, v24 :: v_dual_sub_f32 v9, v9, v11
	s_delay_alu instid0(VALU_DEP_2) | instskip(NEXT) | instid1(VALU_DEP_1)
	v_exp_f32_e32 v2, v2
	v_exp_f32_e32 v4, v4
	s_waitcnt_depctr 0xfff
	v_ldexp_f32 v2, v2, v23
	v_sub_f32_e32 v23, v27, v30
	v_fma_f32 v22, 0x3fb8aa3b, v3, -v26
	v_rndne_f32_e32 v24, v26
	v_ldexp_f32 v4, v4, v25
	v_cndmask_b32_e32 v2, 0, v2, vcc_lo
	v_cmp_ngt_f32_e32 vcc_lo, 0xc2ce8ed0, v1
	v_fmac_f32_e32 v22, 0x32a5705f, v3
	v_sub_f32_e32 v26, v26, v24
	v_cvt_i32_f32_e32 v24, v24
	v_dual_add_f32 v23, v23, v29 :: v_dual_cndmask_b32 v4, 0, v4
	v_cmp_nlt_f32_e32 vcc_lo, 0x42b17218, v0
	s_delay_alu instid0(VALU_DEP_2) | instskip(SKIP_3) | instid1(VALU_DEP_1)
	v_exp_f32_e32 v23, v23
	v_cndmask_b32_e32 v0, 0x7f800000, v2, vcc_lo
	v_cmp_nlt_f32_e32 vcc_lo, 0x42b17218, v1
	v_dual_add_f32 v22, v26, v22 :: v_dual_cndmask_b32 v1, 0x7f800000, v4
	v_exp_f32_e32 v22, v22
	v_cmp_ngt_f32_e32 vcc_lo, 0xc2ce8ed0, v3
	s_delay_alu instid0(VALU_DEP_2) | instskip(SKIP_2) | instid1(VALU_DEP_1)
	v_add_f32_e32 v0, v0, v1
	s_waitcnt_depctr 0xfff
	v_ldexp_f32 v4, v22, v24
	v_dual_mul_f32 v28, 0x3fb8aa3b, v21 :: v_dual_cndmask_b32 v1, 0, v4
	v_cvt_i32_f32_e32 v4, v30
	v_cmp_nlt_f32_e32 vcc_lo, 0x42b17218, v3
	s_delay_alu instid0(VALU_DEP_3) | instskip(SKIP_1) | instid1(VALU_DEP_4)
	v_fma_f32 v2, 0x3fb8aa3b, v21, -v28
	v_rndne_f32_e32 v22, v28
	v_ldexp_f32 v3, v23, v4
	v_cndmask_b32_e32 v1, 0x7f800000, v1, vcc_lo
	v_cmp_ngt_f32_e32 vcc_lo, 0xc2ce8ed0, v5
	v_fmac_f32_e32 v2, 0x32a5705f, v21
	s_delay_alu instid0(VALU_DEP_3) | instskip(SKIP_3) | instid1(VALU_DEP_2)
	v_dual_add_f32 v0, v0, v1 :: v_dual_cndmask_b32 v1, 0, v3
	v_cmp_nlt_f32_e32 vcc_lo, 0x42b17218, v5
	v_sub_f32_e32 v24, v28, v22
	v_cvt_i32_f32_e32 v5, v22
	v_dual_cndmask_b32 v1, 0x7f800000, v1 :: v_dual_add_f32 v2, v24, v2
	v_cmp_ngt_f32_e32 vcc_lo, 0xc2ce8ed0, v21
	s_delay_alu instid0(VALU_DEP_2) | instskip(NEXT) | instid1(VALU_DEP_3)
	v_add_f32_e32 v0, v0, v1
	v_exp_f32_e32 v2, v2
	s_waitcnt_depctr 0xfff
	v_ldexp_f32 v1, v2, v5
	s_delay_alu instid0(VALU_DEP_1) | instskip(SKIP_1) | instid1(VALU_DEP_2)
	v_cndmask_b32_e32 v1, 0, v1, vcc_lo
	v_cmp_nlt_f32_e32 vcc_lo, 0x42b17218, v21
	v_cndmask_b32_e32 v1, 0x7f800000, v1, vcc_lo
	v_mul_f32_e32 v4, 0x3fb8aa3b, v20
	v_cmp_ngt_f32_e32 vcc_lo, 0xc2ce8ed0, v20
	s_delay_alu instid0(VALU_DEP_3) | instskip(NEXT) | instid1(VALU_DEP_3)
	v_add_f32_e32 v0, v0, v1
	v_fma_f32 v3, 0x3fb8aa3b, v20, -v4
	v_rndne_f32_e32 v23, v4
	s_delay_alu instid0(VALU_DEP_1) | instskip(SKIP_1) | instid1(VALU_DEP_2)
	v_dual_fmac_f32 v3, 0x32a5705f, v20 :: v_dual_sub_f32 v4, v4, v23
	v_cvt_i32_f32_e32 v21, v23
	v_add_f32_e32 v2, v4, v3
	s_delay_alu instid0(VALU_DEP_1) | instskip(SKIP_2) | instid1(VALU_DEP_1)
	v_exp_f32_e32 v2, v2
	s_waitcnt_depctr 0xfff
	v_ldexp_f32 v1, v2, v21
	v_cndmask_b32_e32 v1, 0, v1, vcc_lo
	v_cmp_nlt_f32_e32 vcc_lo, 0x42b17218, v20
	s_delay_alu instid0(VALU_DEP_2) | instskip(SKIP_2) | instid1(VALU_DEP_3)
	v_cndmask_b32_e32 v1, 0x7f800000, v1, vcc_lo
	v_cmp_ngt_f32_e32 vcc_lo, 0xc2ce8ed0, v19
	v_mul_f32_e32 v22, 0x3fb8aa3b, v19
	v_add_f32_e32 v0, v0, v1
	s_delay_alu instid0(VALU_DEP_2) | instskip(SKIP_1) | instid1(VALU_DEP_2)
	v_fma_f32 v3, 0x3fb8aa3b, v19, -v22
	v_rndne_f32_e32 v4, v22
	v_fmac_f32_e32 v3, 0x32a5705f, v19
	s_delay_alu instid0(VALU_DEP_2) | instskip(SKIP_1) | instid1(VALU_DEP_2)
	v_sub_f32_e32 v5, v22, v4
	v_cvt_i32_f32_e32 v4, v4
	v_add_f32_e32 v3, v5, v3
	s_delay_alu instid0(VALU_DEP_1) | instskip(SKIP_2) | instid1(VALU_DEP_1)
	v_exp_f32_e32 v2, v3
	s_waitcnt_depctr 0xfff
	v_ldexp_f32 v2, v2, v4
	v_cndmask_b32_e32 v1, 0, v2, vcc_lo
	v_cmp_nlt_f32_e32 vcc_lo, 0x42b17218, v19
	s_delay_alu instid0(VALU_DEP_2) | instskip(SKIP_2) | instid1(VALU_DEP_3)
	v_cndmask_b32_e32 v1, 0x7f800000, v1, vcc_lo
	v_mul_f32_e32 v5, 0x3fb8aa3b, v18
	v_cmp_ngt_f32_e32 vcc_lo, 0xc2ce8ed0, v18
	v_add_f32_e32 v0, v0, v1
	s_delay_alu instid0(VALU_DEP_3) | instskip(SKIP_1) | instid1(VALU_DEP_2)
	v_fma_f32 v3, 0x3fb8aa3b, v18, -v5
	v_rndne_f32_e32 v21, v5
	v_fmac_f32_e32 v3, 0x32a5705f, v18
	s_delay_alu instid0(VALU_DEP_2) | instskip(NEXT) | instid1(VALU_DEP_1)
	v_sub_f32_e32 v5, v5, v21
	v_add_f32_e32 v3, v5, v3
	v_sub_f32_e32 v5, v16, v11
	v_cvt_i32_f32_e32 v16, v21
	s_delay_alu instid0(VALU_DEP_3) | instskip(SKIP_2) | instid1(VALU_DEP_1)
	v_exp_f32_e32 v2, v3
	s_waitcnt_depctr 0xfff
	v_ldexp_f32 v1, v2, v16
	v_dual_sub_f32 v4, v17, v11 :: v_dual_cndmask_b32 v1, 0, v1
	s_delay_alu instid0(VALU_DEP_1) | instskip(SKIP_1) | instid1(VALU_DEP_2)
	v_mul_f32_e32 v3, 0x3fb8aa3b, v4
	v_cmp_nlt_f32_e32 vcc_lo, 0x42b17218, v18
	v_fma_f32 v17, 0x3fb8aa3b, v4, -v3
	v_rndne_f32_e32 v19, v3
	v_cndmask_b32_e32 v1, 0x7f800000, v1, vcc_lo
	v_cmp_ngt_f32_e32 vcc_lo, 0xc2ce8ed0, v4
	s_delay_alu instid0(VALU_DEP_3) | instskip(SKIP_1) | instid1(VALU_DEP_2)
	v_dual_fmac_f32 v17, 0x32a5705f, v4 :: v_dual_sub_f32 v2, v3, v19
	v_cvt_i32_f32_e32 v19, v19
	v_add_f32_e32 v2, v2, v17
	v_mul_f32_e32 v20, 0x3fb8aa3b, v5
	s_delay_alu instid0(VALU_DEP_2) | instskip(NEXT) | instid1(VALU_DEP_1)
	v_exp_f32_e32 v2, v2
	v_fma_f32 v3, 0x3fb8aa3b, v5, -v20
	v_rndne_f32_e32 v16, v20
	s_delay_alu instid0(VALU_DEP_2) | instskip(NEXT) | instid1(VALU_DEP_2)
	v_fmac_f32_e32 v3, 0x32a5705f, v5
	v_dual_sub_f32 v17, v20, v16 :: v_dual_mul_f32 v20, 0x3fb8aa3b, v15
	s_delay_alu instid0(VALU_DEP_1) | instskip(NEXT) | instid1(VALU_DEP_2)
	v_add_f32_e32 v3, v17, v3
	v_fma_f32 v17, 0x3fb8aa3b, v15, -v20
	v_rndne_f32_e32 v18, v20
	s_delay_alu instid0(VALU_DEP_3) | instskip(NEXT) | instid1(VALU_DEP_2)
	v_exp_f32_e32 v3, v3
	v_fmac_f32_e32 v17, 0x32a5705f, v15
	v_dual_mul_f32 v21, 0x3fb8aa3b, v14 :: v_dual_add_f32 v0, v0, v1
	v_ldexp_f32 v1, v2, v19
	v_sub_f32_e32 v20, v20, v18
	v_cvt_i32_f32_e32 v2, v16
	s_delay_alu instid0(VALU_DEP_4) | instskip(NEXT) | instid1(VALU_DEP_4)
	v_rndne_f32_e32 v19, v21
	v_cndmask_b32_e32 v1, 0, v1, vcc_lo
	s_delay_alu instid0(VALU_DEP_4) | instskip(SKIP_4) | instid1(VALU_DEP_4)
	v_add_f32_e32 v16, v20, v17
	v_fma_f32 v17, 0x3fb8aa3b, v14, -v21
	v_ldexp_f32 v2, v3, v2
	v_cmp_nlt_f32_e32 vcc_lo, 0x42b17218, v4
	v_cvt_i32_f32_e32 v4, v18
	v_fmac_f32_e32 v17, 0x32a5705f, v14
	v_exp_f32_e32 v3, v16
	v_dual_sub_f32 v16, v21, v19 :: v_dual_cndmask_b32 v1, 0x7f800000, v1
	v_cmp_ngt_f32_e32 vcc_lo, 0xc2ce8ed0, v5
	s_delay_alu instid0(VALU_DEP_2)
	v_add_f32_e32 v0, v0, v1
	s_waitcnt_depctr 0xfff
	v_ldexp_f32 v1, v3, v4
	v_cndmask_b32_e32 v2, 0, v2, vcc_lo
	v_cmp_nlt_f32_e32 vcc_lo, 0x42b17218, v5
	v_sub_f32_e32 v4, v13, v11
	v_dual_add_f32 v16, v16, v17 :: v_dual_mul_f32 v13, 0x3fb8aa3b, v12
	s_delay_alu instid0(VALU_DEP_2) | instskip(SKIP_2) | instid1(VALU_DEP_4)
	v_mul_f32_e32 v5, 0x3fb8aa3b, v4
	v_cndmask_b32_e32 v2, 0x7f800000, v2, vcc_lo
	v_cmp_ngt_f32_e32 vcc_lo, 0xc2ce8ed0, v15
	v_exp_f32_e32 v3, v16
	v_mul_f32_e32 v16, 0x3fb8aa3b, v9
	s_delay_alu instid0(VALU_DEP_3) | instskip(SKIP_2) | instid1(VALU_DEP_4)
	v_dual_add_f32 v0, v0, v2 :: v_dual_cndmask_b32 v1, 0, v1
	v_cmp_nlt_f32_e32 vcc_lo, 0x42b17218, v15
	v_cvt_i32_f32_e32 v2, v19
	v_rndne_f32_e32 v17, v16
	s_delay_alu instid0(VALU_DEP_4)
	v_cndmask_b32_e32 v1, 0x7f800000, v1, vcc_lo
	s_delay_alu instid0(TRANS32_DEP_1) | instid1(VALU_DEP_3)
	v_ldexp_f32 v2, v3, v2
	v_rndne_f32_e32 v3, v5
	v_cmp_ngt_f32_e32 vcc_lo, 0xc2ce8ed0, v14
	s_delay_alu instid0(VALU_DEP_4) | instskip(SKIP_1) | instid1(VALU_DEP_4)
	v_add_f32_e32 v0, v0, v1
	v_fma_f32 v1, 0x3fb8aa3b, v4, -v5
	v_sub_f32_e32 v5, v5, v3
	v_cvt_i32_f32_e32 v3, v3
	s_delay_alu instid0(VALU_DEP_3) | instskip(SKIP_1) | instid1(VALU_DEP_2)
	v_dual_fmac_f32 v1, 0x32a5705f, v4 :: v_dual_cndmask_b32 v2, 0, v2
	v_cmp_nlt_f32_e32 vcc_lo, 0x42b17218, v14
	v_dual_mul_f32 v14, 0x3fb8aa3b, v10 :: v_dual_add_f32 v1, v5, v1
	v_rndne_f32_e32 v5, v13
	s_delay_alu instid0(VALU_DEP_2) | instskip(SKIP_1) | instid1(VALU_DEP_4)
	v_rndne_f32_e32 v15, v14
	v_cndmask_b32_e32 v2, 0x7f800000, v2, vcc_lo
	v_exp_f32_e32 v1, v1
	s_delay_alu instid0(VALU_DEP_3)
	v_sub_f32_e32 v11, v13, v5
	v_cmp_ngt_f32_e32 vcc_lo, 0xc2ce8ed0, v4
	v_cvt_i32_f32_e32 v5, v5
	s_waitcnt_depctr 0xfff
	v_ldexp_f32 v1, v1, v3
	v_add_f32_e32 v0, v0, v2
	v_fma_f32 v2, 0x3fb8aa3b, v12, -v13
	v_fma_f32 v13, 0x3fb8aa3b, v10, -v14
	s_delay_alu instid0(VALU_DEP_4) | instskip(SKIP_1) | instid1(VALU_DEP_3)
	v_cndmask_b32_e32 v1, 0, v1, vcc_lo
	v_cmp_nlt_f32_e32 vcc_lo, 0x42b17218, v4
	v_dual_fmac_f32 v2, 0x32a5705f, v12 :: v_dual_fmac_f32 v13, 0x32a5705f, v10
	v_cvt_i32_f32_e32 v4, v15
	s_delay_alu instid0(VALU_DEP_2) | instskip(SKIP_3) | instid1(VALU_DEP_4)
	v_dual_cndmask_b32 v1, 0x7f800000, v1 :: v_dual_add_f32 v2, v11, v2
	v_sub_f32_e32 v11, v14, v15
	v_fma_f32 v14, 0x3fb8aa3b, v9, -v16
	v_cmp_ngt_f32_e32 vcc_lo, 0xc2ce8ed0, v12
	v_add_f32_e32 v0, v0, v1
	v_exp_f32_e32 v2, v2
	v_add_f32_e32 v3, v11, v13
	v_fmac_f32_e32 v14, 0x32a5705f, v9
	v_sub_f32_e32 v11, v16, v17
	s_delay_alu instid0(VALU_DEP_3) | instskip(NEXT) | instid1(VALU_DEP_1)
	v_exp_f32_e32 v3, v3
	v_add_f32_e32 v11, v11, v14
	s_waitcnt_depctr 0xfff
	v_ldexp_f32 v2, v2, v5
	v_exp_f32_e32 v5, v11
	v_ldexp_f32 v1, v3, v4
	s_delay_alu instid0(VALU_DEP_2) | instskip(SKIP_2) | instid1(VALU_DEP_3)
	v_cndmask_b32_e32 v2, 0, v2, vcc_lo
	v_cmp_nlt_f32_e32 vcc_lo, 0x42b17218, v12
	v_cvt_i32_f32_e32 v3, v17
	v_cndmask_b32_e32 v2, 0x7f800000, v2, vcc_lo
	v_cmp_ngt_f32_e32 vcc_lo, 0xc2ce8ed0, v10
	s_delay_alu instid0(TRANS32_DEP_1) | instid1(VALU_DEP_3)
	v_ldexp_f32 v3, v5, v3
	v_cndmask_b32_e32 v1, 0, v1, vcc_lo
	v_cmp_nlt_f32_e32 vcc_lo, 0x42b17218, v10
	s_delay_alu instid0(VALU_DEP_2) | instskip(SKIP_1) | instid1(VALU_DEP_2)
	v_dual_add_f32 v0, v0, v2 :: v_dual_cndmask_b32 v1, 0x7f800000, v1
	v_cmp_ngt_f32_e32 vcc_lo, 0xc2ce8ed0, v9
	v_add_f32_e32 v0, v0, v1
	v_cndmask_b32_e32 v2, 0, v3, vcc_lo
	v_cmp_nlt_f32_e32 vcc_lo, 0x42b17218, v9
	s_delay_alu instid0(VALU_DEP_2) | instskip(SKIP_1) | instid1(VALU_DEP_2)
	v_cndmask_b32_e32 v1, 0x7f800000, v2, vcc_lo
	v_cmp_eq_u32_e32 vcc_lo, 0, v8
	v_add_f32_e32 v0, v0, v1
	s_delay_alu instid0(VALU_DEP_1)
	v_mov_b32_dpp v1, v0 quad_perm:[1,0,3,2] row_mask:0xf bank_mask:0xf
	s_and_b32 exec_lo, exec_lo, vcc_lo
	s_cbranch_execz .LBB259_21
; %bb.17:
	s_delay_alu instid0(VALU_DEP_1) | instskip(NEXT) | instid1(VALU_DEP_1)
	v_add_f32_e32 v0, v0, v1
	v_add_f32_e32 v0, v6, v0
	s_delay_alu instid0(VALU_DEP_1)
	v_cmp_neq_f32_e32 vcc_lo, 0, v0
	s_and_b32 exec_lo, exec_lo, vcc_lo
	s_cbranch_execz .LBB259_21
; %bb.18:
	s_and_not1_b32 vcc_lo, exec_lo, s3
	s_cbranch_vccnz .LBB259_21
; %bb.19:
	v_div_scale_f32 v2, null, v0, v0, 1.0
	v_div_scale_f32 v4, vcc_lo, 1.0, v0, 1.0
	s_delay_alu instid0(VALU_DEP_2) | instskip(SKIP_2) | instid1(VALU_DEP_1)
	v_rcp_f32_e32 v3, v2
	s_waitcnt_depctr 0xfff
	v_fma_f32 v1, -v2, v3, 1.0
	v_fmac_f32_e32 v3, v1, v3
	v_mul_lo_u32 v1, v7, s7
	s_delay_alu instid0(VALU_DEP_2) | instskip(NEXT) | instid1(VALU_DEP_1)
	v_mul_f32_e32 v5, v4, v3
	v_fma_f32 v6, -v2, v5, v4
	s_delay_alu instid0(VALU_DEP_1) | instskip(NEXT) | instid1(VALU_DEP_1)
	v_fmac_f32_e32 v5, v6, v3
	v_fma_f32 v4, -v2, v5, v4
	v_ashrrev_i32_e32 v2, 31, v1
	s_delay_alu instid0(VALU_DEP_2) | instskip(NEXT) | instid1(VALU_DEP_2)
	v_div_fmas_f32 v5, v4, v3, v5
	v_lshlrev_b64 v[3:4], 2, v[1:2]
	s_delay_alu instid0(VALU_DEP_2) | instskip(NEXT) | instid1(VALU_DEP_2)
	v_div_fixup_f32 v2, v5, v0, 1.0
	v_add_co_u32 v0, vcc_lo, s12, v3
	s_delay_alu instid0(VALU_DEP_3)
	v_add_co_ci_u32_e32 v1, vcc_lo, s13, v4, vcc_lo
.LBB259_20:                             ; =>This Inner Loop Header: Depth=1
	global_load_b32 v3, v[0:1], off
	s_add_i32 s4, s4, -1
	s_delay_alu instid0(SALU_CYCLE_1)
	s_cmp_lg_u32 s4, 0
	s_waitcnt vmcnt(0)
	v_mul_f32_e32 v3, v2, v3
	global_store_b32 v[0:1], v3, off
	v_add_co_u32 v0, vcc_lo, v0, 4
	v_add_co_ci_u32_e32 v1, vcc_lo, 0, v1, vcc_lo
	s_cbranch_scc1 .LBB259_20
.LBB259_21:
	s_nop 0
	s_sendmsg sendmsg(MSG_DEALLOC_VGPRS)
	s_endpgm
	.section	.rodata,"a",@progbits
	.p2align	6, 0x0
	.amdhsa_kernel _ZN4vllm3moe17topkGatingSoftmaxItLi16ELi32ELi8ELi32ELb0ELi0ELNS0_23SharedExpertScoringFuncE0EEEvPKT_PKbPfiPiS9_iiiiii
		.amdhsa_group_segment_fixed_size 0
		.amdhsa_private_segment_fixed_size 0
		.amdhsa_kernarg_size 72
		.amdhsa_user_sgpr_count 15
		.amdhsa_user_sgpr_dispatch_ptr 0
		.amdhsa_user_sgpr_queue_ptr 0
		.amdhsa_user_sgpr_kernarg_segment_ptr 1
		.amdhsa_user_sgpr_dispatch_id 0
		.amdhsa_user_sgpr_private_segment_size 0
		.amdhsa_wavefront_size32 1
		.amdhsa_uses_dynamic_stack 0
		.amdhsa_enable_private_segment 0
		.amdhsa_system_sgpr_workgroup_id_x 1
		.amdhsa_system_sgpr_workgroup_id_y 0
		.amdhsa_system_sgpr_workgroup_id_z 0
		.amdhsa_system_sgpr_workgroup_info 0
		.amdhsa_system_vgpr_workitem_id 1
		.amdhsa_next_free_vgpr 53
		.amdhsa_next_free_sgpr 19
		.amdhsa_reserve_vcc 1
		.amdhsa_float_round_mode_32 0
		.amdhsa_float_round_mode_16_64 0
		.amdhsa_float_denorm_mode_32 3
		.amdhsa_float_denorm_mode_16_64 3
		.amdhsa_dx10_clamp 1
		.amdhsa_ieee_mode 1
		.amdhsa_fp16_overflow 0
		.amdhsa_workgroup_processor_mode 1
		.amdhsa_memory_ordered 1
		.amdhsa_forward_progress 0
		.amdhsa_shared_vgpr_count 0
		.amdhsa_exception_fp_ieee_invalid_op 0
		.amdhsa_exception_fp_denorm_src 0
		.amdhsa_exception_fp_ieee_div_zero 0
		.amdhsa_exception_fp_ieee_overflow 0
		.amdhsa_exception_fp_ieee_underflow 0
		.amdhsa_exception_fp_ieee_inexact 0
		.amdhsa_exception_int_div_zero 0
	.end_amdhsa_kernel
	.section	.text._ZN4vllm3moe17topkGatingSoftmaxItLi16ELi32ELi8ELi32ELb0ELi0ELNS0_23SharedExpertScoringFuncE0EEEvPKT_PKbPfiPiS9_iiiiii,"axG",@progbits,_ZN4vllm3moe17topkGatingSoftmaxItLi16ELi32ELi8ELi32ELb0ELi0ELNS0_23SharedExpertScoringFuncE0EEEvPKT_PKbPfiPiS9_iiiiii,comdat
.Lfunc_end259:
	.size	_ZN4vllm3moe17topkGatingSoftmaxItLi16ELi32ELi8ELi32ELb0ELi0ELNS0_23SharedExpertScoringFuncE0EEEvPKT_PKbPfiPiS9_iiiiii, .Lfunc_end259-_ZN4vllm3moe17topkGatingSoftmaxItLi16ELi32ELi8ELi32ELb0ELi0ELNS0_23SharedExpertScoringFuncE0EEEvPKT_PKbPfiPiS9_iiiiii
                                        ; -- End function
	.section	.AMDGPU.csdata,"",@progbits
; Kernel info:
; codeLenInByte = 4960
; NumSgprs: 21
; NumVgprs: 53
; ScratchSize: 0
; MemoryBound: 0
; FloatMode: 240
; IeeeMode: 1
; LDSByteSize: 0 bytes/workgroup (compile time only)
; SGPRBlocks: 2
; VGPRBlocks: 6
; NumSGPRsForWavesPerEU: 21
; NumVGPRsForWavesPerEU: 53
; Occupancy: 16
; WaveLimiterHint : 0
; COMPUTE_PGM_RSRC2:SCRATCH_EN: 0
; COMPUTE_PGM_RSRC2:USER_SGPR: 15
; COMPUTE_PGM_RSRC2:TRAP_HANDLER: 0
; COMPUTE_PGM_RSRC2:TGID_X_EN: 1
; COMPUTE_PGM_RSRC2:TGID_Y_EN: 0
; COMPUTE_PGM_RSRC2:TGID_Z_EN: 0
; COMPUTE_PGM_RSRC2:TIDIG_COMP_CNT: 1
	.section	.text._ZN4vllm3moe17topkGatingSoftmaxItLi16ELi32ELi8ELi32ELb1ELi1ELNS0_23SharedExpertScoringFuncE1EEEvPKT_PKbPfiPiS9_iiiiii,"axG",@progbits,_ZN4vllm3moe17topkGatingSoftmaxItLi16ELi32ELi8ELi32ELb1ELi1ELNS0_23SharedExpertScoringFuncE1EEEvPKT_PKbPfiPiS9_iiiiii,comdat
	.protected	_ZN4vllm3moe17topkGatingSoftmaxItLi16ELi32ELi8ELi32ELb1ELi1ELNS0_23SharedExpertScoringFuncE1EEEvPKT_PKbPfiPiS9_iiiiii ; -- Begin function _ZN4vllm3moe17topkGatingSoftmaxItLi16ELi32ELi8ELi32ELb1ELi1ELNS0_23SharedExpertScoringFuncE1EEEvPKT_PKbPfiPiS9_iiiiii
	.globl	_ZN4vllm3moe17topkGatingSoftmaxItLi16ELi32ELi8ELi32ELb1ELi1ELNS0_23SharedExpertScoringFuncE1EEEvPKT_PKbPfiPiS9_iiiiii
	.p2align	8
	.type	_ZN4vllm3moe17topkGatingSoftmaxItLi16ELi32ELi8ELi32ELb1ELi1ELNS0_23SharedExpertScoringFuncE1EEEvPKT_PKbPfiPiS9_iiiiii,@function
_ZN4vllm3moe17topkGatingSoftmaxItLi16ELi32ELi8ELi32ELb1ELi1ELNS0_23SharedExpertScoringFuncE1EEEvPKT_PKbPfiPiS9_iiiiii: ; @_ZN4vllm3moe17topkGatingSoftmaxItLi16ELi32ELi8ELi32ELb1ELi1ELNS0_23SharedExpertScoringFuncE1EEEvPKT_PKbPfiPiS9_iiiiii
; %bb.0:
	s_load_b32 s3, s[0:1], 0x18
	v_bfe_u32 v1, v0, 10, 10
	v_and_b32_e32 v0, 0x3ff, v0
	s_lshl_b32 s17, s15, 7
	s_mov_b32 s2, exec_lo
	s_delay_alu instid0(VALU_DEP_2) | instskip(NEXT) | instid1(VALU_DEP_2)
	v_lshlrev_b32_e32 v39, 4, v1
	v_lshrrev_b32_e32 v40, 1, v0
	s_delay_alu instid0(VALU_DEP_1) | instskip(SKIP_1) | instid1(VALU_DEP_1)
	v_add3_u32 v10, s17, v39, v40
	s_waitcnt lgkmcnt(0)
	v_cmpx_gt_i32_e64 s3, v10
	s_cbranch_execz .LBB260_22
; %bb.1:
	s_clause 0x1
	s_load_b128 s[4:7], s[0:1], 0x0
	s_load_b64 s[12:13], s[0:1], 0x10
	s_waitcnt lgkmcnt(0)
	s_cmp_eq_u64 s[6:7], 0
	s_cbranch_scc1 .LBB260_3
; %bb.2:
	v_ashrrev_i32_e32 v2, 31, v10
	v_add_co_u32 v1, vcc_lo, s6, v10
	s_delay_alu instid0(VALU_DEP_2) | instskip(SKIP_3) | instid1(VALU_DEP_1)
	v_add_co_ci_u32_e32 v2, vcc_lo, s7, v2, vcc_lo
	global_load_u8 v1, v[1:2], off
	s_waitcnt vmcnt(0)
	v_and_b32_e32 v1, 1, v1
	v_cmp_eq_u32_e32 vcc_lo, 1, v1
	s_xor_b32 s2, vcc_lo, -1
	s_delay_alu instid0(SALU_CYCLE_1)
	s_or_not1_b32 s16, s2, exec_lo
	s_branch .LBB260_4
.LBB260_3:
	s_mov_b32 s16, -1
.LBB260_4:
	s_load_b64 s[14:15], s[0:1], 0x40
	v_and_b32_e32 v11, 1, v0
	s_delay_alu instid0(VALU_DEP_1) | instskip(SKIP_3) | instid1(VALU_DEP_1)
	v_dual_mov_b32 v13, 0 :: v_dual_lshlrev_b32 v12, 4, v11
	v_cmp_eq_u32_e64 s2, 0, v11
	s_waitcnt lgkmcnt(0)
	v_mul_lo_u32 v1, v10, s15
	v_ashrrev_i32_e32 v2, 31, v1
	s_delay_alu instid0(VALU_DEP_1) | instskip(SKIP_1) | instid1(VALU_DEP_2)
	v_lshlrev_b64 v[0:1], 1, v[1:2]
	v_lshlrev_b32_e32 v2, 5, v11
	v_add_co_u32 v8, vcc_lo, s4, v0
	s_delay_alu instid0(VALU_DEP_3) | instskip(SKIP_1) | instid1(VALU_DEP_2)
	v_add_co_ci_u32_e32 v9, vcc_lo, s5, v1, vcc_lo
	s_load_b128 s[4:7], s[0:1], 0x30
	v_add_co_u32 v4, vcc_lo, v8, v2
	s_delay_alu instid0(VALU_DEP_2)
	v_add_co_ci_u32_e32 v5, vcc_lo, 0, v9, vcc_lo
	s_clause 0x1
	global_load_b128 v[0:3], v[4:5], off offset:16
	global_load_b128 v[4:7], v[4:5], off
	s_and_saveexec_b32 s8, s2
	s_cbranch_execz .LBB260_6
; %bb.5:
	global_load_u16 v8, v[8:9], off offset:64
	s_waitcnt vmcnt(0)
	v_cvt_f32_u32_e32 v8, v8
	s_delay_alu instid0(VALU_DEP_1) | instskip(SKIP_1) | instid1(VALU_DEP_2)
	v_mul_f32_e32 v9, 0xbfb8aa3b, v8
	v_cmp_nlt_f32_e32 vcc_lo, 0x42ce8ed0, v8
	v_rndne_f32_e32 v14, v9
	v_fma_f32 v15, 0xbfb8aa3b, v8, -v9
	s_delay_alu instid0(VALU_DEP_2) | instskip(NEXT) | instid1(VALU_DEP_2)
	v_sub_f32_e32 v9, v9, v14
	v_fmamk_f32 v15, v8, 0xb2a5705f, v15
	v_cvt_i32_f32_e32 v14, v14
	s_delay_alu instid0(VALU_DEP_2) | instskip(NEXT) | instid1(VALU_DEP_1)
	v_add_f32_e32 v9, v9, v15
	v_exp_f32_e32 v9, v9
	s_waitcnt_depctr 0xfff
	v_ldexp_f32 v9, v9, v14
	s_delay_alu instid0(VALU_DEP_1) | instskip(SKIP_1) | instid1(VALU_DEP_2)
	v_cndmask_b32_e32 v9, 0, v9, vcc_lo
	v_cmp_ngt_f32_e32 vcc_lo, 0xc2b17218, v8
	v_cndmask_b32_e32 v8, 0x7f800000, v9, vcc_lo
	s_delay_alu instid0(VALU_DEP_1) | instskip(NEXT) | instid1(VALU_DEP_1)
	v_add_f32_e32 v14, 1.0, v8
	v_div_scale_f32 v15, null, v14, v14, 1.0
	v_div_scale_f32 v17, vcc_lo, 1.0, v14, 1.0
	s_delay_alu instid0(VALU_DEP_2) | instskip(SKIP_2) | instid1(VALU_DEP_1)
	v_rcp_f32_e32 v16, v15
	s_waitcnt_depctr 0xfff
	v_fma_f32 v8, -v15, v16, 1.0
	v_fmac_f32_e32 v16, v8, v16
	s_waitcnt lgkmcnt(0)
	v_mad_u64_u32 v[8:9], null, v10, s7, s[4:5]
	s_delay_alu instid0(VALU_DEP_2) | instskip(NEXT) | instid1(VALU_DEP_2)
	v_mul_f32_e32 v18, v17, v16
	v_ashrrev_i32_e32 v9, 31, v8
	s_delay_alu instid0(VALU_DEP_2) | instskip(NEXT) | instid1(VALU_DEP_2)
	v_fma_f32 v19, -v15, v18, v17
	v_lshlrev_b64 v[8:9], 2, v[8:9]
	s_delay_alu instid0(VALU_DEP_2) | instskip(NEXT) | instid1(VALU_DEP_1)
	v_fmac_f32_e32 v18, v19, v16
	v_fma_f32 v15, -v15, v18, v17
	s_delay_alu instid0(VALU_DEP_1) | instskip(NEXT) | instid1(VALU_DEP_4)
	v_div_fmas_f32 v15, v15, v16, v18
	v_add_co_u32 v8, vcc_lo, s12, v8
	v_add_co_ci_u32_e32 v9, vcc_lo, s13, v9, vcc_lo
	s_delay_alu instid0(VALU_DEP_3)
	v_div_fixup_f32 v14, v15, v14, 1.0
	global_store_b32 v[8:9], v14, off
.LBB260_6:
	s_or_b32 exec_lo, exec_lo, s8
	s_waitcnt vmcnt(0)
	v_and_b32_e32 v8, 0xffff, v4
	v_lshrrev_b32_e32 v4, 16, v4
	v_or_b32_e32 v14, 1, v12
	v_or_b32_e32 v16, 2, v12
	;; [unrolled: 1-line block ×3, first 2 shown]
	v_cvt_f32_u32_e32 v8, v8
	v_cvt_f32_u32_e32 v9, v4
	v_or_b32_e32 v22, 5, v12
	v_or_b32_e32 v25, 7, v12
	;; [unrolled: 1-line block ×4, first 2 shown]
	v_cmp_lt_f32_e32 vcc_lo, v8, v9
	v_or_b32_e32 v31, 10, v12
	v_or_b32_e32 v33, 11, v12
	;; [unrolled: 1-line block ×3, first 2 shown]
	v_dual_cndmask_b32 v18, v8, v9 :: v_dual_and_b32 v19, 0xffff, v6
	v_lshrrev_b32_e32 v6, 16, v6
	v_or_b32_e32 v37, 13, v12
	v_or_b32_e32 v41, 14, v12
	s_delay_alu instid0(VALU_DEP_4)
	v_cvt_f32_u32_e32 v19, v19
	v_and_b32_e32 v4, 0xffff, v5
	v_lshrrev_b32_e32 v5, 16, v5
	v_cvt_f32_u32_e32 v21, v6
	v_and_b32_e32 v6, 0xffff, v7
	v_or_b32_e32 v43, 15, v12
	v_cvt_f32_u32_e32 v15, v4
	v_cvt_f32_u32_e32 v17, v5
	v_cndmask_b32_e32 v4, v12, v14, vcc_lo
	v_cvt_f32_u32_e32 v23, v6
	v_lshrrev_b32_e32 v6, 16, v7
	v_cmp_lt_f32_e32 vcc_lo, v18, v15
	v_or_b32_e32 v7, 6, v12
	s_waitcnt lgkmcnt(0)
	s_cmp_gt_i32 s4, 0
	v_cvt_f32_u32_e32 v24, v6
	v_dual_cndmask_b32 v5, v18, v15 :: v_dual_cndmask_b32 v4, v4, v16
	v_or_b32_e32 v18, 3, v12
	v_and_b32_e32 v6, 0xffff, v0
	v_lshrrev_b32_e32 v0, 16, v0
	s_delay_alu instid0(VALU_DEP_4) | instskip(SKIP_1) | instid1(VALU_DEP_3)
	v_cmp_lt_f32_e32 vcc_lo, v5, v17
	s_cselect_b32 s15, -1, 0
	v_cvt_f32_u32_e32 v26, v6
	s_delay_alu instid0(VALU_DEP_3) | instskip(SKIP_1) | instid1(VALU_DEP_1)
	v_cvt_f32_u32_e32 v28, v0
	v_dual_cndmask_b32 v5, v5, v17 :: v_dual_cndmask_b32 v4, v4, v18
	v_cmp_lt_f32_e32 vcc_lo, v5, v19
	s_delay_alu instid0(VALU_DEP_2) | instskip(NEXT) | instid1(VALU_DEP_1)
	v_dual_cndmask_b32 v5, v5, v19 :: v_dual_cndmask_b32 v4, v4, v20
	v_cmp_lt_f32_e32 vcc_lo, v5, v21
	s_delay_alu instid0(VALU_DEP_2) | instskip(NEXT) | instid1(VALU_DEP_1)
	v_dual_cndmask_b32 v5, v5, v21 :: v_dual_cndmask_b32 v4, v4, v22
	v_cmp_lt_f32_e32 vcc_lo, v5, v23
	v_cndmask_b32_e32 v5, v5, v23, vcc_lo
	s_delay_alu instid0(VALU_DEP_3) | instskip(NEXT) | instid1(VALU_DEP_2)
	v_cndmask_b32_e32 v4, v4, v7, vcc_lo
	v_cmp_lt_f32_e32 vcc_lo, v5, v24
	s_delay_alu instid0(VALU_DEP_2) | instskip(NEXT) | instid1(VALU_DEP_1)
	v_dual_cndmask_b32 v5, v5, v24 :: v_dual_cndmask_b32 v4, v4, v25
	v_cmp_lt_f32_e32 vcc_lo, v5, v26
	s_delay_alu instid0(VALU_DEP_2) | instskip(SKIP_2) | instid1(VALU_DEP_2)
	v_cndmask_b32_e32 v0, v4, v27, vcc_lo
	v_dual_cndmask_b32 v4, v5, v26 :: v_dual_and_b32 v5, 0xffff, v1
	v_lshrrev_b32_e32 v1, 16, v1
	v_cmp_lt_f32_e32 vcc_lo, v4, v28
	s_delay_alu instid0(VALU_DEP_3) | instskip(NEXT) | instid1(VALU_DEP_3)
	v_cvt_f32_u32_e32 v30, v5
	v_cvt_f32_u32_e32 v32, v1
	v_cndmask_b32_e32 v4, v4, v28, vcc_lo
	v_cndmask_b32_e32 v0, v0, v29, vcc_lo
	s_delay_alu instid0(VALU_DEP_2) | instskip(SKIP_1) | instid1(VALU_DEP_3)
	v_cmp_lt_f32_e32 vcc_lo, v4, v30
	v_cndmask_b32_e32 v1, v4, v30, vcc_lo
	v_cndmask_b32_e32 v0, v0, v31, vcc_lo
	v_and_b32_e32 v4, 0xffff, v2
	v_lshrrev_b32_e32 v2, 16, v2
	s_delay_alu instid0(VALU_DEP_4) | instskip(NEXT) | instid1(VALU_DEP_3)
	v_cmp_lt_f32_e32 vcc_lo, v1, v32
	v_cvt_f32_u32_e32 v34, v4
	s_delay_alu instid0(VALU_DEP_3) | instskip(SKIP_2) | instid1(VALU_DEP_2)
	v_cvt_f32_u32_e32 v36, v2
	v_dual_cndmask_b32 v1, v1, v32 :: v_dual_and_b32 v2, 0xffff, v3
	v_cndmask_b32_e32 v0, v0, v33, vcc_lo
	v_cvt_f32_u32_e32 v38, v2
	s_delay_alu instid0(VALU_DEP_3) | instskip(SKIP_1) | instid1(VALU_DEP_4)
	v_cmp_lt_f32_e32 vcc_lo, v1, v34
	v_lshrrev_b32_e32 v2, 16, v3
	v_dual_cndmask_b32 v1, v1, v34 :: v_dual_cndmask_b32 v0, v0, v35
	s_delay_alu instid0(VALU_DEP_2) | instskip(NEXT) | instid1(VALU_DEP_2)
	v_cvt_f32_u32_e32 v42, v2
	v_cmp_lt_f32_e32 vcc_lo, v1, v36
	s_delay_alu instid0(VALU_DEP_3) | instskip(NEXT) | instid1(VALU_DEP_1)
	v_dual_cndmask_b32 v1, v1, v36 :: v_dual_cndmask_b32 v0, v0, v37
	v_cmp_lt_f32_e32 vcc_lo, v1, v38
	s_delay_alu instid0(VALU_DEP_2) | instskip(NEXT) | instid1(VALU_DEP_1)
	v_dual_cndmask_b32 v1, v1, v38 :: v_dual_cndmask_b32 v0, v0, v41
	v_cmp_lt_f32_e32 vcc_lo, v1, v42
	s_delay_alu instid0(VALU_DEP_2) | instskip(SKIP_2) | instid1(VALU_DEP_2)
	v_cndmask_b32_e32 v0, v0, v43, vcc_lo
	v_cndmask_b32_e32 v2, v1, v42, vcc_lo
	s_and_b32 vcc_lo, exec_lo, s15
	v_mov_b32_dpp v4, v0 quad_perm:[1,0,3,2] row_mask:0xf bank_mask:0xf
	s_delay_alu instid0(VALU_DEP_2)
	v_mov_b32_dpp v6, v2 quad_perm:[1,0,3,2] row_mask:0xf bank_mask:0xf
	s_cbranch_vccz .LBB260_18
; %bb.7:
	s_load_b128 s[8:11], s[0:1], 0x20
	s_delay_alu instid0(VALU_DEP_1)
	v_cmp_eq_f32_e32 vcc_lo, v2, v6
	v_cmp_lt_i32_e64 s0, v4, v0
	v_cmp_lt_f32_e64 s1, v2, v6
	v_mul_lo_u32 v1, v10, s7
	v_mul_lo_u32 v3, v10, s14
	;; [unrolled: 1-line block ×3, first 2 shown]
	s_and_b32 s0, vcc_lo, s0
	v_mov_b32_e32 v13, 0
	s_or_b32 vcc_lo, s1, s0
	v_cndmask_b32_e32 v0, v0, v4, vcc_lo
	v_cndmask_b32_e32 v44, v2, v6, vcc_lo
	s_and_saveexec_b32 s1, s2
	s_cbranch_execz .LBB260_9
; %bb.8:
	s_delay_alu instid0(VALU_DEP_1)
	v_sub_f32_e32 v13, v44, v44
	v_cmp_le_i32_e32 vcc_lo, s5, v0
	v_cmp_gt_i32_e64 s0, s6, v0
	v_subrev_nc_u32_e32 v51, s5, v0
	v_ashrrev_i32_e32 v6, 31, v5
	v_mul_f32_e32 v2, 0x3fb8aa3b, v13
	s_delay_alu instid0(VALU_DEP_4) | instskip(NEXT) | instid1(SALU_CYCLE_1)
	s_and_b32 s0, vcc_lo, s0
	s_and_b32 vcc_lo, s16, s0
	s_delay_alu instid0(VALU_DEP_1) | instskip(SKIP_2) | instid1(VALU_DEP_3)
	v_rndne_f32_e32 v47, v2
	v_fma_f32 v4, 0x3fb8aa3b, v13, -v2
	v_lshlrev_b64 v[49:50], 2, v[5:6]
	v_sub_f32_e32 v2, v2, v47
	s_delay_alu instid0(VALU_DEP_3) | instskip(NEXT) | instid1(VALU_DEP_1)
	v_fmamk_f32 v4, v13, 0x32a5705f, v4
	v_add_f32_e32 v4, v2, v4
	v_ashrrev_i32_e32 v2, 31, v1
	s_delay_alu instid0(VALU_DEP_2) | instskip(NEXT) | instid1(VALU_DEP_1)
	v_exp_f32_e32 v52, v4
	v_lshlrev_b64 v[45:46], 2, v[1:2]
	v_ashrrev_i32_e32 v4, 31, v3
	v_cvt_i32_f32_e32 v2, v47
	s_delay_alu instid0(VALU_DEP_2) | instskip(SKIP_3) | instid1(TRANS32_DEP_1)
	v_lshlrev_b64 v[47:48], 2, v[3:4]
	v_cndmask_b32_e32 v4, 32, v51, vcc_lo
	v_add_co_u32 v45, vcc_lo, s12, v45
	v_add_co_ci_u32_e32 v46, vcc_lo, s13, v46, vcc_lo
	v_ldexp_f32 v2, v52, v2
	v_cmp_ngt_f32_e32 vcc_lo, 0xc2ce8ed0, v13
	s_delay_alu instid0(VALU_DEP_2)
	v_cndmask_b32_e32 v2, 0, v2, vcc_lo
	s_waitcnt lgkmcnt(0)
	v_add_co_u32 v47, vcc_lo, s8, v47
	v_add_co_ci_u32_e32 v48, vcc_lo, s9, v48, vcc_lo
	v_cmp_nlt_f32_e32 vcc_lo, 0x42b17218, v13
	v_cndmask_b32_e32 v13, 0x7f800000, v2, vcc_lo
	v_add_co_u32 v49, vcc_lo, s10, v49
	v_add_co_ci_u32_e32 v50, vcc_lo, s11, v50, vcc_lo
	global_store_b32 v[47:48], v4, off
	global_store_b32 v[45:46], v13, off
	;; [unrolled: 1-line block ×3, first 2 shown]
.LBB260_9:
	s_or_b32 exec_lo, exec_lo, s1
	v_ashrrev_i32_e32 v4, 31, v0
	s_mov_b32 s0, exec_lo
	s_delay_alu instid0(VALU_DEP_1) | instskip(NEXT) | instid1(VALU_DEP_1)
	v_lshrrev_b32_e32 v2, 28, v4
	v_add_nc_u32_e32 v6, v0, v2
	s_delay_alu instid0(VALU_DEP_1) | instskip(SKIP_1) | instid1(VALU_DEP_1)
	v_ashrrev_i32_e32 v2, 4, v6
	v_lshrrev_b32_e32 v6, 31, v6
	v_add_nc_u32_e32 v6, v2, v6
	s_delay_alu instid0(VALU_DEP_1) | instskip(NEXT) | instid1(VALU_DEP_1)
	v_and_b32_e32 v6, -2, v6
	v_sub_nc_u32_e32 v6, v2, v6
	s_delay_alu instid0(VALU_DEP_1)
	v_cmpx_eq_u32_e64 v11, v6
	s_cbranch_execz .LBB260_11
; %bb.10:
	v_lshrrev_b32_e32 v4, 27, v4
	v_lshlrev_b32_e32 v2, 4, v2
	s_delay_alu instid0(VALU_DEP_2) | instskip(NEXT) | instid1(VALU_DEP_2)
	v_add_nc_u32_e32 v4, v0, v4
	v_sub_nc_u32_e32 v0, v0, v2
	s_delay_alu instid0(VALU_DEP_2) | instskip(NEXT) | instid1(VALU_DEP_1)
	v_ashrrev_i32_e32 v2, 5, v4
	v_lshl_add_u32 v0, v2, 4, v0
	s_delay_alu instid0(VALU_DEP_1)
	v_cmp_ne_u32_e32 vcc_lo, 15, v0
	v_cndmask_b32_e32 v42, 0xff800000, v42, vcc_lo
	v_cmp_ne_u32_e32 vcc_lo, 14, v0
	v_cndmask_b32_e32 v38, 0xff800000, v38, vcc_lo
	;; [unrolled: 2-line block ×16, first 2 shown]
.LBB260_11:
	s_or_b32 exec_lo, exec_lo, s0
	s_cmp_eq_u32 s4, 1
	s_cbranch_scc1 .LBB260_18
; %bb.12:
	s_add_i32 s17, s17, s3
	v_add_nc_u32_e32 v0, 1, v5
	v_add3_u32 v6, s17, v40, v39
	v_add_nc_u32_e32 v2, 1, v3
	v_add_nc_u32_e32 v4, 1, v1
	s_add_i32 s14, s4, -1
	s_branch .LBB260_14
.LBB260_13:                             ;   in Loop: Header=BB260_14 Depth=1
	s_or_b32 exec_lo, exec_lo, s0
	v_add_nc_u32_e32 v6, s3, v6
	v_add_nc_u32_e32 v0, 1, v0
	;; [unrolled: 1-line block ×4, first 2 shown]
	s_add_i32 s14, s14, -1
	s_delay_alu instid0(SALU_CYCLE_1)
	s_cmp_eq_u32 s14, 0
	s_cbranch_scc1 .LBB260_18
.LBB260_14:                             ; =>This Inner Loop Header: Depth=1
	v_cmp_gt_f32_e32 vcc_lo, v9, v8
	v_cndmask_b32_e32 v3, v8, v9, vcc_lo
	v_cndmask_b32_e32 v1, v12, v14, vcc_lo
	s_delay_alu instid0(VALU_DEP_2) | instskip(SKIP_1) | instid1(VALU_DEP_3)
	v_cmp_gt_f32_e32 vcc_lo, v15, v3
	v_cndmask_b32_e32 v3, v3, v15, vcc_lo
	v_cndmask_b32_e32 v1, v1, v16, vcc_lo
	s_delay_alu instid0(VALU_DEP_2) | instskip(SKIP_1) | instid1(VALU_DEP_3)
	;; [unrolled: 4-line block ×13, first 2 shown]
	v_cmp_gt_f32_e32 vcc_lo, v38, v3
	v_cndmask_b32_e32 v3, v3, v38, vcc_lo
	v_cndmask_b32_e32 v1, v1, v41, vcc_lo
	s_delay_alu instid0(VALU_DEP_2) | instskip(NEXT) | instid1(VALU_DEP_2)
	v_cmp_gt_f32_e32 vcc_lo, v42, v3
	v_cndmask_b32_e32 v5, v1, v43, vcc_lo
	v_cndmask_b32_e32 v1, v3, v42, vcc_lo
	s_delay_alu instid0(VALU_DEP_2) | instskip(NEXT) | instid1(VALU_DEP_2)
	v_mov_b32_dpp v39, v5 quad_perm:[1,0,3,2] row_mask:0xf bank_mask:0xf
	v_mov_b32_dpp v3, v1 quad_perm:[1,0,3,2] row_mask:0xf bank_mask:0xf
	s_delay_alu instid0(VALU_DEP_2) | instskip(NEXT) | instid1(VALU_DEP_2)
	v_cmp_lt_i32_e32 vcc_lo, v39, v5
	v_cmp_eq_f32_e64 s0, v1, v3
	v_cmp_lt_f32_e64 s1, v1, v3
	s_delay_alu instid0(VALU_DEP_2)
	s_and_b32 s0, s0, vcc_lo
	s_delay_alu instid0(VALU_DEP_1) | instid1(SALU_CYCLE_1)
	s_or_b32 vcc_lo, s1, s0
	v_cndmask_b32_e32 v39, v5, v39, vcc_lo
	s_and_saveexec_b32 s1, s2
	s_cbranch_execz .LBB260_16
; %bb.15:                               ;   in Loop: Header=BB260_14 Depth=1
	v_cndmask_b32_e32 v1, v1, v3, vcc_lo
	s_delay_alu instid0(VALU_DEP_2) | instskip(SKIP_3) | instid1(VALU_DEP_3)
	v_cmp_le_i32_e32 vcc_lo, s5, v39
	v_cmp_gt_i32_e64 s0, s6, v39
	v_subrev_nc_u32_e32 v51, s5, v39
	v_ashrrev_i32_e32 v5, 31, v4
	s_and_b32 s0, vcc_lo, s0
	s_delay_alu instid0(SALU_CYCLE_1) | instskip(SKIP_1) | instid1(VALU_DEP_1)
	s_and_b32 vcc_lo, s16, s0
	v_sub_f32_e32 v40, v1, v44
	v_mul_f32_e32 v1, 0x3fb8aa3b, v40
	s_delay_alu instid0(VALU_DEP_1) | instskip(SKIP_1) | instid1(VALU_DEP_2)
	v_fma_f32 v3, 0x3fb8aa3b, v40, -v1
	v_rndne_f32_e32 v45, v1
	v_fmac_f32_e32 v3, 0x32a5705f, v40
	s_delay_alu instid0(VALU_DEP_2) | instskip(SKIP_2) | instid1(VALU_DEP_3)
	v_sub_f32_e32 v1, v1, v45
	v_cvt_i32_f32_e32 v50, v45
	v_lshlrev_b64 v[45:46], 2, v[4:5]
	v_add_f32_e32 v1, v1, v3
	v_ashrrev_i32_e32 v3, 31, v2
	s_delay_alu instid0(VALU_DEP_2) | instskip(SKIP_1) | instid1(VALU_DEP_2)
	v_exp_f32_e32 v49, v1
	v_ashrrev_i32_e32 v1, 31, v0
	v_lshlrev_b64 v[47:48], 2, v[2:3]
	s_waitcnt_depctr 0xfff
	v_ldexp_f32 v3, v49, v50
	v_lshlrev_b64 v[49:50], 2, v[0:1]
	v_cndmask_b32_e32 v1, 32, v51, vcc_lo
	v_cmp_ngt_f32_e32 vcc_lo, 0xc2ce8ed0, v40
	s_delay_alu instid0(VALU_DEP_4) | instskip(SKIP_3) | instid1(VALU_DEP_4)
	v_cndmask_b32_e32 v3, 0, v3, vcc_lo
	v_add_co_u32 v45, vcc_lo, s12, v45
	v_add_co_ci_u32_e32 v46, vcc_lo, s13, v46, vcc_lo
	v_cmp_nlt_f32_e32 vcc_lo, 0x42b17218, v40
	v_cndmask_b32_e32 v3, 0x7f800000, v3, vcc_lo
	s_waitcnt lgkmcnt(0)
	v_add_co_u32 v47, vcc_lo, s8, v47
	v_add_co_ci_u32_e32 v48, vcc_lo, s9, v48, vcc_lo
	v_add_co_u32 v49, vcc_lo, s10, v49
	v_add_f32_e32 v13, v13, v3
	v_add_co_ci_u32_e32 v50, vcc_lo, s11, v50, vcc_lo
	global_store_b32 v[45:46], v3, off
	global_store_b32 v[47:48], v1, off
	;; [unrolled: 1-line block ×3, first 2 shown]
.LBB260_16:                             ;   in Loop: Header=BB260_14 Depth=1
	s_or_b32 exec_lo, exec_lo, s1
	s_delay_alu instid0(VALU_DEP_1) | instskip(SKIP_1) | instid1(VALU_DEP_1)
	v_ashrrev_i32_e32 v3, 31, v39
	s_mov_b32 s0, exec_lo
	v_lshrrev_b32_e32 v1, 28, v3
	s_delay_alu instid0(VALU_DEP_1) | instskip(NEXT) | instid1(VALU_DEP_1)
	v_add_nc_u32_e32 v5, v39, v1
	v_ashrrev_i32_e32 v1, 4, v5
	v_lshrrev_b32_e32 v5, 31, v5
	s_delay_alu instid0(VALU_DEP_1) | instskip(NEXT) | instid1(VALU_DEP_1)
	v_add_nc_u32_e32 v5, v1, v5
	v_and_b32_e32 v5, -2, v5
	s_delay_alu instid0(VALU_DEP_1) | instskip(NEXT) | instid1(VALU_DEP_1)
	v_sub_nc_u32_e32 v5, v1, v5
	v_cmpx_eq_u32_e64 v11, v5
	s_cbranch_execz .LBB260_13
; %bb.17:                               ;   in Loop: Header=BB260_14 Depth=1
	v_lshrrev_b32_e32 v3, 27, v3
	v_lshlrev_b32_e32 v1, 4, v1
	s_delay_alu instid0(VALU_DEP_2) | instskip(NEXT) | instid1(VALU_DEP_2)
	v_add_nc_u32_e32 v3, v39, v3
	v_sub_nc_u32_e32 v1, v39, v1
	s_delay_alu instid0(VALU_DEP_2) | instskip(NEXT) | instid1(VALU_DEP_1)
	v_ashrrev_i32_e32 v3, 5, v3
	v_lshl_add_u32 v1, v3, 4, v1
	s_delay_alu instid0(VALU_DEP_1)
	v_cmp_ne_u32_e32 vcc_lo, 15, v1
	v_cndmask_b32_e32 v42, 0xff800000, v42, vcc_lo
	v_cmp_ne_u32_e32 vcc_lo, 14, v1
	v_cndmask_b32_e32 v38, 0xff800000, v38, vcc_lo
	;; [unrolled: 2-line block ×16, first 2 shown]
	s_branch .LBB260_13
.LBB260_18:
	v_cmp_neq_f32_e32 vcc_lo, 0, v13
	s_and_b32 s0, s2, vcc_lo
	s_delay_alu instid0(SALU_CYCLE_1)
	s_and_b32 exec_lo, exec_lo, s0
	s_cbranch_execz .LBB260_22
; %bb.19:
	s_and_not1_b32 vcc_lo, exec_lo, s15
	s_cbranch_vccnz .LBB260_22
; %bb.20:
	v_div_scale_f32 v1, null, v13, v13, 1.0
	v_div_scale_f32 v3, vcc_lo, 1.0, v13, 1.0
	s_delay_alu instid0(VALU_DEP_2) | instskip(SKIP_2) | instid1(VALU_DEP_1)
	v_rcp_f32_e32 v2, v1
	s_waitcnt_depctr 0xfff
	v_fma_f32 v0, -v1, v2, 1.0
	v_fmac_f32_e32 v2, v0, v2
	v_mul_lo_u32 v0, v10, s7
	s_delay_alu instid0(VALU_DEP_2) | instskip(NEXT) | instid1(VALU_DEP_1)
	v_mul_f32_e32 v4, v3, v2
	v_fma_f32 v5, -v1, v4, v3
	s_delay_alu instid0(VALU_DEP_1) | instskip(NEXT) | instid1(VALU_DEP_1)
	v_fmac_f32_e32 v4, v5, v2
	v_fma_f32 v3, -v1, v4, v3
	v_ashrrev_i32_e32 v1, 31, v0
	s_delay_alu instid0(VALU_DEP_2) | instskip(NEXT) | instid1(VALU_DEP_2)
	v_div_fmas_f32 v2, v3, v2, v4
	v_lshlrev_b64 v[0:1], 2, v[0:1]
	s_delay_alu instid0(VALU_DEP_2) | instskip(NEXT) | instid1(VALU_DEP_2)
	v_div_fixup_f32 v2, v2, v13, 1.0
	v_add_co_u32 v0, vcc_lo, s12, v0
	s_delay_alu instid0(VALU_DEP_3)
	v_add_co_ci_u32_e32 v1, vcc_lo, s13, v1, vcc_lo
.LBB260_21:                             ; =>This Inner Loop Header: Depth=1
	global_load_b32 v3, v[0:1], off
	s_add_i32 s4, s4, -1
	s_delay_alu instid0(SALU_CYCLE_1)
	s_cmp_lg_u32 s4, 0
	s_waitcnt vmcnt(0)
	v_mul_f32_e32 v3, v2, v3
	global_store_b32 v[0:1], v3, off
	v_add_co_u32 v0, vcc_lo, v0, 4
	v_add_co_ci_u32_e32 v1, vcc_lo, 0, v1, vcc_lo
	s_cbranch_scc1 .LBB260_21
.LBB260_22:
	s_nop 0
	s_sendmsg sendmsg(MSG_DEALLOC_VGPRS)
	s_endpgm
	.section	.rodata,"a",@progbits
	.p2align	6, 0x0
	.amdhsa_kernel _ZN4vllm3moe17topkGatingSoftmaxItLi16ELi32ELi8ELi32ELb1ELi1ELNS0_23SharedExpertScoringFuncE1EEEvPKT_PKbPfiPiS9_iiiiii
		.amdhsa_group_segment_fixed_size 0
		.amdhsa_private_segment_fixed_size 0
		.amdhsa_kernarg_size 72
		.amdhsa_user_sgpr_count 15
		.amdhsa_user_sgpr_dispatch_ptr 0
		.amdhsa_user_sgpr_queue_ptr 0
		.amdhsa_user_sgpr_kernarg_segment_ptr 1
		.amdhsa_user_sgpr_dispatch_id 0
		.amdhsa_user_sgpr_private_segment_size 0
		.amdhsa_wavefront_size32 1
		.amdhsa_uses_dynamic_stack 0
		.amdhsa_enable_private_segment 0
		.amdhsa_system_sgpr_workgroup_id_x 1
		.amdhsa_system_sgpr_workgroup_id_y 0
		.amdhsa_system_sgpr_workgroup_id_z 0
		.amdhsa_system_sgpr_workgroup_info 0
		.amdhsa_system_vgpr_workitem_id 1
		.amdhsa_next_free_vgpr 53
		.amdhsa_next_free_sgpr 18
		.amdhsa_reserve_vcc 1
		.amdhsa_float_round_mode_32 0
		.amdhsa_float_round_mode_16_64 0
		.amdhsa_float_denorm_mode_32 3
		.amdhsa_float_denorm_mode_16_64 3
		.amdhsa_dx10_clamp 1
		.amdhsa_ieee_mode 1
		.amdhsa_fp16_overflow 0
		.amdhsa_workgroup_processor_mode 1
		.amdhsa_memory_ordered 1
		.amdhsa_forward_progress 0
		.amdhsa_shared_vgpr_count 0
		.amdhsa_exception_fp_ieee_invalid_op 0
		.amdhsa_exception_fp_denorm_src 0
		.amdhsa_exception_fp_ieee_div_zero 0
		.amdhsa_exception_fp_ieee_overflow 0
		.amdhsa_exception_fp_ieee_underflow 0
		.amdhsa_exception_fp_ieee_inexact 0
		.amdhsa_exception_int_div_zero 0
	.end_amdhsa_kernel
	.section	.text._ZN4vllm3moe17topkGatingSoftmaxItLi16ELi32ELi8ELi32ELb1ELi1ELNS0_23SharedExpertScoringFuncE1EEEvPKT_PKbPfiPiS9_iiiiii,"axG",@progbits,_ZN4vllm3moe17topkGatingSoftmaxItLi16ELi32ELi8ELi32ELb1ELi1ELNS0_23SharedExpertScoringFuncE1EEEvPKT_PKbPfiPiS9_iiiiii,comdat
.Lfunc_end260:
	.size	_ZN4vllm3moe17topkGatingSoftmaxItLi16ELi32ELi8ELi32ELb1ELi1ELNS0_23SharedExpertScoringFuncE1EEEvPKT_PKbPfiPiS9_iiiiii, .Lfunc_end260-_ZN4vllm3moe17topkGatingSoftmaxItLi16ELi32ELi8ELi32ELb1ELi1ELNS0_23SharedExpertScoringFuncE1EEEvPKT_PKbPfiPiS9_iiiiii
                                        ; -- End function
	.section	.AMDGPU.csdata,"",@progbits
; Kernel info:
; codeLenInByte = 2880
; NumSgprs: 20
; NumVgprs: 53
; ScratchSize: 0
; MemoryBound: 0
; FloatMode: 240
; IeeeMode: 1
; LDSByteSize: 0 bytes/workgroup (compile time only)
; SGPRBlocks: 2
; VGPRBlocks: 6
; NumSGPRsForWavesPerEU: 20
; NumVGPRsForWavesPerEU: 53
; Occupancy: 16
; WaveLimiterHint : 0
; COMPUTE_PGM_RSRC2:SCRATCH_EN: 0
; COMPUTE_PGM_RSRC2:USER_SGPR: 15
; COMPUTE_PGM_RSRC2:TRAP_HANDLER: 0
; COMPUTE_PGM_RSRC2:TGID_X_EN: 1
; COMPUTE_PGM_RSRC2:TGID_Y_EN: 0
; COMPUTE_PGM_RSRC2:TGID_Z_EN: 0
; COMPUTE_PGM_RSRC2:TIDIG_COMP_CNT: 1
	.section	.text._ZN4vllm3moe17topkGatingSoftmaxItLi16ELi32ELi8ELi32ELb0ELi1ELNS0_23SharedExpertScoringFuncE1EEEvPKT_PKbPfiPiS9_iiiiii,"axG",@progbits,_ZN4vllm3moe17topkGatingSoftmaxItLi16ELi32ELi8ELi32ELb0ELi1ELNS0_23SharedExpertScoringFuncE1EEEvPKT_PKbPfiPiS9_iiiiii,comdat
	.protected	_ZN4vllm3moe17topkGatingSoftmaxItLi16ELi32ELi8ELi32ELb0ELi1ELNS0_23SharedExpertScoringFuncE1EEEvPKT_PKbPfiPiS9_iiiiii ; -- Begin function _ZN4vllm3moe17topkGatingSoftmaxItLi16ELi32ELi8ELi32ELb0ELi1ELNS0_23SharedExpertScoringFuncE1EEEvPKT_PKbPfiPiS9_iiiiii
	.globl	_ZN4vllm3moe17topkGatingSoftmaxItLi16ELi32ELi8ELi32ELb0ELi1ELNS0_23SharedExpertScoringFuncE1EEEvPKT_PKbPfiPiS9_iiiiii
	.p2align	8
	.type	_ZN4vllm3moe17topkGatingSoftmaxItLi16ELi32ELi8ELi32ELb0ELi1ELNS0_23SharedExpertScoringFuncE1EEEvPKT_PKbPfiPiS9_iiiiii,@function
_ZN4vllm3moe17topkGatingSoftmaxItLi16ELi32ELi8ELi32ELb0ELi1ELNS0_23SharedExpertScoringFuncE1EEEvPKT_PKbPfiPiS9_iiiiii: ; @_ZN4vllm3moe17topkGatingSoftmaxItLi16ELi32ELi8ELi32ELb0ELi1ELNS0_23SharedExpertScoringFuncE1EEEvPKT_PKbPfiPiS9_iiiiii
; %bb.0:
	s_load_b32 s16, s[0:1], 0x18
	v_bfe_u32 v1, v0, 10, 10
	v_and_b32_e32 v0, 0x3ff, v0
	s_lshl_b32 s18, s15, 7
	s_mov_b32 s2, exec_lo
	s_delay_alu instid0(VALU_DEP_2) | instskip(NEXT) | instid1(VALU_DEP_2)
	v_lshlrev_b32_e32 v39, 4, v1
	v_lshrrev_b32_e32 v40, 1, v0
	s_delay_alu instid0(VALU_DEP_1) | instskip(SKIP_1) | instid1(VALU_DEP_1)
	v_add3_u32 v10, s18, v39, v40
	s_waitcnt lgkmcnt(0)
	v_cmpx_gt_i32_e64 s16, v10
	s_cbranch_execz .LBB261_23
; %bb.1:
	s_clause 0x1
	s_load_b128 s[4:7], s[0:1], 0x0
	s_load_b64 s[12:13], s[0:1], 0x10
	s_waitcnt lgkmcnt(0)
	s_cmp_eq_u64 s[6:7], 0
	s_cbranch_scc1 .LBB261_3
; %bb.2:
	v_ashrrev_i32_e32 v2, 31, v10
	v_add_co_u32 v1, vcc_lo, s6, v10
	s_delay_alu instid0(VALU_DEP_2) | instskip(SKIP_3) | instid1(VALU_DEP_1)
	v_add_co_ci_u32_e32 v2, vcc_lo, s7, v2, vcc_lo
	global_load_u8 v1, v[1:2], off
	s_waitcnt vmcnt(0)
	v_and_b32_e32 v1, 1, v1
	v_cmp_eq_u32_e32 vcc_lo, 1, v1
	s_xor_b32 s2, vcc_lo, -1
	s_delay_alu instid0(SALU_CYCLE_1)
	s_or_not1_b32 s17, s2, exec_lo
	s_branch .LBB261_4
.LBB261_3:
	s_mov_b32 s17, -1
.LBB261_4:
	s_clause 0x1
	s_load_b64 s[14:15], s[0:1], 0x40
	s_load_b128 s[8:11], s[0:1], 0x30
	v_and_b32_e32 v21, 1, v0
	s_delay_alu instid0(VALU_DEP_1) | instskip(SKIP_3) | instid1(VALU_DEP_1)
	v_dual_mov_b32 v11, 0 :: v_dual_lshlrev_b32 v22, 4, v21
	v_cmp_eq_u32_e64 s2, 0, v21
	s_waitcnt lgkmcnt(0)
	v_mul_lo_u32 v1, v10, s15
	v_ashrrev_i32_e32 v2, 31, v1
	s_delay_alu instid0(VALU_DEP_1) | instskip(SKIP_1) | instid1(VALU_DEP_2)
	v_lshlrev_b64 v[0:1], 1, v[1:2]
	v_lshlrev_b32_e32 v2, 5, v21
	v_add_co_u32 v8, vcc_lo, s4, v0
	s_delay_alu instid0(VALU_DEP_3) | instskip(NEXT) | instid1(VALU_DEP_2)
	v_add_co_ci_u32_e32 v9, vcc_lo, s5, v1, vcc_lo
	v_add_co_u32 v4, vcc_lo, v8, v2
	s_delay_alu instid0(VALU_DEP_2)
	v_add_co_ci_u32_e32 v5, vcc_lo, 0, v9, vcc_lo
	s_clause 0x1
	global_load_b128 v[0:3], v[4:5], off offset:16
	global_load_b128 v[4:7], v[4:5], off
	s_and_saveexec_b32 s3, s2
	s_cbranch_execz .LBB261_6
; %bb.5:
	global_load_u16 v8, v[8:9], off offset:64
	s_waitcnt vmcnt(0)
	v_cvt_f32_u32_e32 v8, v8
	s_delay_alu instid0(VALU_DEP_1) | instskip(SKIP_1) | instid1(VALU_DEP_2)
	v_mul_f32_e32 v9, 0xbfb8aa3b, v8
	v_cmp_nlt_f32_e32 vcc_lo, 0x42ce8ed0, v8
	v_rndne_f32_e32 v12, v9
	v_fma_f32 v13, 0xbfb8aa3b, v8, -v9
	s_delay_alu instid0(VALU_DEP_2) | instskip(NEXT) | instid1(VALU_DEP_2)
	v_sub_f32_e32 v9, v9, v12
	v_fmamk_f32 v13, v8, 0xb2a5705f, v13
	v_cvt_i32_f32_e32 v12, v12
	s_delay_alu instid0(VALU_DEP_2) | instskip(NEXT) | instid1(VALU_DEP_1)
	v_add_f32_e32 v9, v9, v13
	v_exp_f32_e32 v9, v9
	s_waitcnt_depctr 0xfff
	v_ldexp_f32 v9, v9, v12
	s_delay_alu instid0(VALU_DEP_1) | instskip(SKIP_1) | instid1(VALU_DEP_2)
	v_cndmask_b32_e32 v9, 0, v9, vcc_lo
	v_cmp_ngt_f32_e32 vcc_lo, 0xc2b17218, v8
	v_cndmask_b32_e32 v8, 0x7f800000, v9, vcc_lo
	s_delay_alu instid0(VALU_DEP_1) | instskip(NEXT) | instid1(VALU_DEP_1)
	v_add_f32_e32 v12, 1.0, v8
	v_div_scale_f32 v13, null, v12, v12, 1.0
	v_div_scale_f32 v15, vcc_lo, 1.0, v12, 1.0
	s_delay_alu instid0(VALU_DEP_2) | instskip(SKIP_2) | instid1(VALU_DEP_1)
	v_rcp_f32_e32 v14, v13
	s_waitcnt_depctr 0xfff
	v_fma_f32 v8, -v13, v14, 1.0
	v_fmac_f32_e32 v14, v8, v14
	v_mad_u64_u32 v[8:9], null, v10, s11, s[8:9]
	s_delay_alu instid0(VALU_DEP_2) | instskip(NEXT) | instid1(VALU_DEP_2)
	v_mul_f32_e32 v16, v15, v14
	v_ashrrev_i32_e32 v9, 31, v8
	s_delay_alu instid0(VALU_DEP_2) | instskip(NEXT) | instid1(VALU_DEP_2)
	v_fma_f32 v17, -v13, v16, v15
	v_lshlrev_b64 v[8:9], 2, v[8:9]
	s_delay_alu instid0(VALU_DEP_2) | instskip(NEXT) | instid1(VALU_DEP_1)
	v_fmac_f32_e32 v16, v17, v14
	v_fma_f32 v13, -v13, v16, v15
	s_delay_alu instid0(VALU_DEP_1) | instskip(NEXT) | instid1(VALU_DEP_4)
	v_div_fmas_f32 v13, v13, v14, v16
	v_add_co_u32 v8, vcc_lo, s12, v8
	v_add_co_ci_u32_e32 v9, vcc_lo, s13, v9, vcc_lo
	s_delay_alu instid0(VALU_DEP_3)
	v_div_fixup_f32 v12, v13, v12, 1.0
	global_store_b32 v[8:9], v12, off
.LBB261_6:
	s_or_b32 exec_lo, exec_lo, s3
	s_waitcnt vmcnt(0)
	v_and_b32_e32 v8, 0xffff, v4
	v_lshrrev_b32_e32 v4, 16, v4
	v_or_b32_e32 v28, 1, v22
	v_or_b32_e32 v29, 2, v22
	;; [unrolled: 1-line block ×3, first 2 shown]
	v_cvt_f32_u32_e32 v25, v8
	v_cvt_f32_u32_e32 v23, v4
	v_or_b32_e32 v31, 4, v22
	v_or_b32_e32 v32, 5, v22
	;; [unrolled: 1-line block ×4, first 2 shown]
	v_cmp_lt_f32_e32 vcc_lo, v25, v23
	v_or_b32_e32 v35, 8, v22
	v_or_b32_e32 v36, 9, v22
	;; [unrolled: 1-line block ×4, first 2 shown]
	v_cndmask_b32_e32 v8, v25, v23, vcc_lo
	v_and_b32_e32 v4, 0xffff, v5
	v_lshrrev_b32_e32 v5, 16, v5
	v_or_b32_e32 v41, 12, v22
	v_or_b32_e32 v42, 13, v22
	;; [unrolled: 1-line block ×3, first 2 shown]
	v_cvt_f32_u32_e32 v27, v4
	v_cndmask_b32_e32 v4, v22, v28, vcc_lo
	v_cvt_f32_u32_e32 v26, v5
	v_or_b32_e32 v44, 15, v22
	s_delay_alu instid0(VALU_DEP_4) | instskip(SKIP_2) | instid1(VALU_DEP_2)
	v_cmp_lt_f32_e32 vcc_lo, v8, v27
	v_dual_cndmask_b32 v5, v8, v27 :: v_dual_and_b32 v8, 0xffff, v6
	v_lshrrev_b32_e32 v6, 16, v6
	v_cvt_f32_u32_e32 v24, v8
	v_cndmask_b32_e32 v4, v4, v29, vcc_lo
	s_delay_alu instid0(VALU_DEP_4) | instskip(NEXT) | instid1(VALU_DEP_4)
	v_cmp_lt_f32_e32 vcc_lo, v5, v26
	v_cvt_f32_u32_e32 v20, v6
	v_dual_cndmask_b32 v5, v5, v26 :: v_dual_and_b32 v6, 0xffff, v7
	s_delay_alu instid0(VALU_DEP_4) | instskip(NEXT) | instid1(VALU_DEP_2)
	v_cndmask_b32_e32 v4, v4, v30, vcc_lo
	v_cvt_f32_u32_e32 v19, v6
	v_lshrrev_b32_e32 v6, 16, v7
	s_delay_alu instid0(VALU_DEP_4) | instskip(NEXT) | instid1(VALU_DEP_2)
	v_cmp_lt_f32_e32 vcc_lo, v5, v24
	v_cvt_f32_u32_e32 v18, v6
	v_and_b32_e32 v6, 0xffff, v0
	v_dual_cndmask_b32 v5, v5, v24 :: v_dual_cndmask_b32 v4, v4, v31
	v_lshrrev_b32_e32 v0, 16, v0
	s_delay_alu instid0(VALU_DEP_3) | instskip(NEXT) | instid1(VALU_DEP_3)
	v_cvt_f32_u32_e32 v17, v6
	v_cmp_lt_f32_e32 vcc_lo, v5, v20
	s_delay_alu instid0(VALU_DEP_3) | instskip(SKIP_2) | instid1(VALU_DEP_2)
	v_cvt_f32_u32_e32 v16, v0
	v_cndmask_b32_e32 v5, v5, v20, vcc_lo
	v_cndmask_b32_e32 v4, v4, v32, vcc_lo
	v_cmp_lt_f32_e32 vcc_lo, v5, v19
	s_delay_alu instid0(VALU_DEP_2) | instskip(NEXT) | instid1(VALU_DEP_1)
	v_dual_cndmask_b32 v5, v5, v19 :: v_dual_cndmask_b32 v4, v4, v33
	v_cmp_lt_f32_e32 vcc_lo, v5, v18
	v_cndmask_b32_e32 v5, v5, v18, vcc_lo
	s_delay_alu instid0(VALU_DEP_3) | instskip(NEXT) | instid1(VALU_DEP_2)
	v_cndmask_b32_e32 v4, v4, v34, vcc_lo
	v_cmp_lt_f32_e32 vcc_lo, v5, v17
	s_delay_alu instid0(VALU_DEP_2) | instskip(SKIP_3) | instid1(VALU_DEP_3)
	v_cndmask_b32_e32 v0, v4, v35, vcc_lo
	v_cndmask_b32_e32 v4, v5, v17, vcc_lo
	v_and_b32_e32 v5, 0xffff, v1
	v_lshrrev_b32_e32 v1, 16, v1
	v_cmp_lt_f32_e32 vcc_lo, v4, v16
	s_delay_alu instid0(VALU_DEP_3) | instskip(NEXT) | instid1(VALU_DEP_3)
	v_cvt_f32_u32_e32 v15, v5
	v_cvt_f32_u32_e32 v14, v1
	v_cndmask_b32_e32 v4, v4, v16, vcc_lo
	v_cndmask_b32_e32 v0, v0, v36, vcc_lo
	s_delay_alu instid0(VALU_DEP_2) | instskip(SKIP_1) | instid1(VALU_DEP_3)
	v_cmp_lt_f32_e32 vcc_lo, v4, v15
	v_cndmask_b32_e32 v1, v4, v15, vcc_lo
	v_cndmask_b32_e32 v0, v0, v37, vcc_lo
	v_and_b32_e32 v4, 0xffff, v2
	v_lshrrev_b32_e32 v2, 16, v2
	s_delay_alu instid0(VALU_DEP_4) | instskip(NEXT) | instid1(VALU_DEP_3)
	v_cmp_lt_f32_e32 vcc_lo, v1, v14
	v_cvt_f32_u32_e32 v13, v4
	s_delay_alu instid0(VALU_DEP_3) | instskip(SKIP_2) | instid1(VALU_DEP_2)
	v_cvt_f32_u32_e32 v12, v2
	v_dual_cndmask_b32 v1, v1, v14 :: v_dual_and_b32 v2, 0xffff, v3
	v_cndmask_b32_e32 v0, v0, v38, vcc_lo
	v_cvt_f32_u32_e32 v8, v2
	s_delay_alu instid0(VALU_DEP_3) | instskip(SKIP_3) | instid1(VALU_DEP_3)
	v_cmp_lt_f32_e32 vcc_lo, v1, v13
	v_lshrrev_b32_e32 v2, 16, v3
	v_cndmask_b32_e32 v1, v1, v13, vcc_lo
	v_cndmask_b32_e32 v0, v0, v41, vcc_lo
	v_cvt_f32_u32_e32 v7, v2
	s_delay_alu instid0(VALU_DEP_3) | instskip(NEXT) | instid1(VALU_DEP_3)
	v_cmp_lt_f32_e32 vcc_lo, v1, v12
	v_dual_cndmask_b32 v1, v1, v12 :: v_dual_cndmask_b32 v0, v0, v42
	s_delay_alu instid0(VALU_DEP_1) | instskip(NEXT) | instid1(VALU_DEP_2)
	v_cmp_lt_f32_e32 vcc_lo, v1, v8
	v_dual_cndmask_b32 v1, v1, v8 :: v_dual_cndmask_b32 v0, v0, v43
	s_delay_alu instid0(VALU_DEP_1) | instskip(NEXT) | instid1(VALU_DEP_2)
	;; [unrolled: 3-line block ×3, first 2 shown]
	v_mov_b32_dpp v2, v0 quad_perm:[1,0,3,2] row_mask:0xf bank_mask:0xf
	v_mov_b32_dpp v3, v1 quad_perm:[1,0,3,2] row_mask:0xf bank_mask:0xf
	s_delay_alu instid0(VALU_DEP_2) | instskip(NEXT) | instid1(VALU_DEP_2)
	v_cmp_lt_i32_e64 s3, v2, v0
	v_cmp_eq_f32_e32 vcc_lo, v1, v3
	v_cmp_lt_f32_e64 s4, v1, v3
	s_delay_alu instid0(VALU_DEP_3)
	s_and_b32 s3, vcc_lo, s3
	s_delay_alu instid0(VALU_DEP_1) | instid1(SALU_CYCLE_1)
	s_or_b32 s3, s4, s3
	s_cmp_gt_i32 s8, 0
	v_cndmask_b32_e64 v9, v1, v3, s3
	s_cselect_b32 s15, -1, 0
	s_delay_alu instid0(SALU_CYCLE_1)
	s_and_b32 vcc_lo, exec_lo, s15
	s_cbranch_vccz .LBB261_18
; %bb.7:
	s_load_b128 s[4:7], s[0:1], 0x20
	v_mul_lo_u32 v1, v10, s11
	v_mul_lo_u32 v3, v10, s14
	;; [unrolled: 1-line block ×3, first 2 shown]
	v_cndmask_b32_e64 v0, v0, v2, s3
	v_mov_b32_e32 v11, 0
	s_and_saveexec_b32 s1, s2
	s_cbranch_execz .LBB261_9
; %bb.8:
	v_sub_f32_e32 v11, v9, v9
	v_cmp_le_i32_e32 vcc_lo, s9, v0
	v_cmp_gt_i32_e64 s0, s10, v0
	v_subrev_nc_u32_e32 v51, s9, v0
	v_ashrrev_i32_e32 v6, 31, v5
	v_mul_f32_e32 v2, 0x3fb8aa3b, v11
	s_delay_alu instid0(VALU_DEP_4) | instskip(NEXT) | instid1(SALU_CYCLE_1)
	s_and_b32 s0, vcc_lo, s0
	s_and_b32 vcc_lo, s17, s0
	s_delay_alu instid0(VALU_DEP_1) | instskip(SKIP_2) | instid1(VALU_DEP_3)
	v_rndne_f32_e32 v47, v2
	v_fma_f32 v4, 0x3fb8aa3b, v11, -v2
	v_lshlrev_b64 v[49:50], 2, v[5:6]
	v_sub_f32_e32 v2, v2, v47
	s_delay_alu instid0(VALU_DEP_3) | instskip(NEXT) | instid1(VALU_DEP_1)
	v_fmamk_f32 v4, v11, 0x32a5705f, v4
	v_add_f32_e32 v4, v2, v4
	v_ashrrev_i32_e32 v2, 31, v1
	s_delay_alu instid0(VALU_DEP_2) | instskip(NEXT) | instid1(VALU_DEP_1)
	v_exp_f32_e32 v52, v4
	v_lshlrev_b64 v[45:46], 2, v[1:2]
	v_ashrrev_i32_e32 v4, 31, v3
	v_cvt_i32_f32_e32 v2, v47
	s_delay_alu instid0(VALU_DEP_2) | instskip(SKIP_3) | instid1(TRANS32_DEP_1)
	v_lshlrev_b64 v[47:48], 2, v[3:4]
	v_cndmask_b32_e32 v4, 32, v51, vcc_lo
	v_add_co_u32 v45, vcc_lo, s12, v45
	v_add_co_ci_u32_e32 v46, vcc_lo, s13, v46, vcc_lo
	v_ldexp_f32 v2, v52, v2
	v_cmp_ngt_f32_e32 vcc_lo, 0xc2ce8ed0, v11
	s_delay_alu instid0(VALU_DEP_2)
	v_cndmask_b32_e32 v2, 0, v2, vcc_lo
	s_waitcnt lgkmcnt(0)
	v_add_co_u32 v47, vcc_lo, s4, v47
	v_add_co_ci_u32_e32 v48, vcc_lo, s5, v48, vcc_lo
	v_cmp_nlt_f32_e32 vcc_lo, 0x42b17218, v11
	v_cndmask_b32_e32 v11, 0x7f800000, v2, vcc_lo
	v_add_co_u32 v49, vcc_lo, s6, v49
	v_add_co_ci_u32_e32 v50, vcc_lo, s7, v50, vcc_lo
	global_store_b32 v[47:48], v4, off
	global_store_b32 v[45:46], v11, off
	;; [unrolled: 1-line block ×3, first 2 shown]
.LBB261_9:
	s_or_b32 exec_lo, exec_lo, s1
	v_ashrrev_i32_e32 v4, 31, v0
	s_mov_b32 s0, exec_lo
	s_delay_alu instid0(VALU_DEP_1) | instskip(NEXT) | instid1(VALU_DEP_1)
	v_lshrrev_b32_e32 v2, 28, v4
	v_add_nc_u32_e32 v6, v0, v2
	s_delay_alu instid0(VALU_DEP_1) | instskip(SKIP_1) | instid1(VALU_DEP_1)
	v_ashrrev_i32_e32 v2, 4, v6
	v_lshrrev_b32_e32 v6, 31, v6
	v_add_nc_u32_e32 v6, v2, v6
	s_delay_alu instid0(VALU_DEP_1) | instskip(NEXT) | instid1(VALU_DEP_1)
	v_and_b32_e32 v6, -2, v6
	v_sub_nc_u32_e32 v6, v2, v6
	s_delay_alu instid0(VALU_DEP_1)
	v_cmpx_eq_u32_e64 v21, v6
	s_cbranch_execz .LBB261_11
; %bb.10:
	v_lshrrev_b32_e32 v4, 27, v4
	v_lshlrev_b32_e32 v2, 4, v2
	s_delay_alu instid0(VALU_DEP_2) | instskip(NEXT) | instid1(VALU_DEP_2)
	v_add_nc_u32_e32 v4, v0, v4
	v_sub_nc_u32_e32 v0, v0, v2
	s_delay_alu instid0(VALU_DEP_2) | instskip(NEXT) | instid1(VALU_DEP_1)
	v_ashrrev_i32_e32 v2, 5, v4
	v_lshl_add_u32 v0, v2, 4, v0
	s_delay_alu instid0(VALU_DEP_1)
	v_cmp_ne_u32_e32 vcc_lo, 15, v0
	v_cndmask_b32_e32 v7, 0xff800000, v7, vcc_lo
	v_cmp_ne_u32_e32 vcc_lo, 14, v0
	v_cndmask_b32_e32 v8, 0xff800000, v8, vcc_lo
	v_cmp_ne_u32_e32 vcc_lo, 13, v0
	v_cndmask_b32_e32 v12, 0xff800000, v12, vcc_lo
	v_cmp_ne_u32_e32 vcc_lo, 12, v0
	v_cndmask_b32_e32 v13, 0xff800000, v13, vcc_lo
	v_cmp_ne_u32_e32 vcc_lo, 11, v0
	v_cndmask_b32_e32 v14, 0xff800000, v14, vcc_lo
	v_cmp_ne_u32_e32 vcc_lo, 10, v0
	v_cndmask_b32_e32 v15, 0xff800000, v15, vcc_lo
	v_cmp_ne_u32_e32 vcc_lo, 9, v0
	v_cndmask_b32_e32 v16, 0xff800000, v16, vcc_lo
	v_cmp_ne_u32_e32 vcc_lo, 8, v0
	v_cndmask_b32_e32 v17, 0xff800000, v17, vcc_lo
	v_cmp_ne_u32_e32 vcc_lo, 7, v0
	v_cndmask_b32_e32 v18, 0xff800000, v18, vcc_lo
	v_cmp_ne_u32_e32 vcc_lo, 6, v0
	v_cndmask_b32_e32 v19, 0xff800000, v19, vcc_lo
	v_cmp_ne_u32_e32 vcc_lo, 5, v0
	v_cndmask_b32_e32 v20, 0xff800000, v20, vcc_lo
	v_cmp_ne_u32_e32 vcc_lo, 4, v0
	v_cndmask_b32_e32 v24, 0xff800000, v24, vcc_lo
	v_cmp_ne_u32_e32 vcc_lo, 3, v0
	v_cndmask_b32_e32 v26, 0xff800000, v26, vcc_lo
	v_cmp_ne_u32_e32 vcc_lo, 2, v0
	v_cndmask_b32_e32 v27, 0xff800000, v27, vcc_lo
	v_cmp_ne_u32_e32 vcc_lo, 1, v0
	v_cndmask_b32_e32 v23, 0xff800000, v23, vcc_lo
	v_cmp_ne_u32_e32 vcc_lo, 0, v0
	v_cndmask_b32_e32 v25, 0xff800000, v25, vcc_lo
.LBB261_11:
	s_or_b32 exec_lo, exec_lo, s0
	s_cmp_eq_u32 s8, 1
	s_cbranch_scc1 .LBB261_18
; %bb.12:
	s_add_i32 s18, s18, s16
	v_add_nc_u32_e32 v0, 1, v5
	v_add3_u32 v6, s18, v40, v39
	v_add_nc_u32_e32 v2, 1, v3
	v_add_nc_u32_e32 v4, 1, v1
	s_add_i32 s3, s8, -1
	s_branch .LBB261_14
.LBB261_13:                             ;   in Loop: Header=BB261_14 Depth=1
	s_or_b32 exec_lo, exec_lo, s0
	v_add_nc_u32_e32 v6, s16, v6
	v_add_nc_u32_e32 v0, 1, v0
	;; [unrolled: 1-line block ×4, first 2 shown]
	s_add_i32 s3, s3, -1
	s_delay_alu instid0(SALU_CYCLE_1)
	s_cmp_eq_u32 s3, 0
	s_cbranch_scc1 .LBB261_18
.LBB261_14:                             ; =>This Inner Loop Header: Depth=1
	v_cmp_gt_f32_e32 vcc_lo, v23, v25
	v_cndmask_b32_e32 v3, v25, v23, vcc_lo
	v_cndmask_b32_e32 v1, v22, v28, vcc_lo
	s_delay_alu instid0(VALU_DEP_2) | instskip(SKIP_1) | instid1(VALU_DEP_3)
	v_cmp_gt_f32_e32 vcc_lo, v27, v3
	v_cndmask_b32_e32 v3, v3, v27, vcc_lo
	v_cndmask_b32_e32 v1, v1, v29, vcc_lo
	s_delay_alu instid0(VALU_DEP_2) | instskip(SKIP_1) | instid1(VALU_DEP_3)
	;; [unrolled: 4-line block ×13, first 2 shown]
	v_cmp_gt_f32_e32 vcc_lo, v8, v3
	v_cndmask_b32_e32 v3, v3, v8, vcc_lo
	v_cndmask_b32_e32 v1, v1, v43, vcc_lo
	s_delay_alu instid0(VALU_DEP_2) | instskip(NEXT) | instid1(VALU_DEP_2)
	v_cmp_gt_f32_e32 vcc_lo, v7, v3
	v_cndmask_b32_e32 v5, v1, v44, vcc_lo
	v_cndmask_b32_e32 v1, v3, v7, vcc_lo
	s_delay_alu instid0(VALU_DEP_2) | instskip(NEXT) | instid1(VALU_DEP_2)
	v_mov_b32_dpp v39, v5 quad_perm:[1,0,3,2] row_mask:0xf bank_mask:0xf
	v_mov_b32_dpp v3, v1 quad_perm:[1,0,3,2] row_mask:0xf bank_mask:0xf
	s_delay_alu instid0(VALU_DEP_2) | instskip(NEXT) | instid1(VALU_DEP_2)
	v_cmp_lt_i32_e32 vcc_lo, v39, v5
	v_cmp_eq_f32_e64 s0, v1, v3
	v_cmp_lt_f32_e64 s1, v1, v3
	s_delay_alu instid0(VALU_DEP_2)
	s_and_b32 s0, s0, vcc_lo
	s_delay_alu instid0(VALU_DEP_1) | instid1(SALU_CYCLE_1)
	s_or_b32 vcc_lo, s1, s0
	v_cndmask_b32_e32 v39, v5, v39, vcc_lo
	s_and_saveexec_b32 s1, s2
	s_cbranch_execz .LBB261_16
; %bb.15:                               ;   in Loop: Header=BB261_14 Depth=1
	v_cndmask_b32_e32 v1, v1, v3, vcc_lo
	s_delay_alu instid0(VALU_DEP_2) | instskip(SKIP_3) | instid1(VALU_DEP_3)
	v_cmp_le_i32_e32 vcc_lo, s9, v39
	v_cmp_gt_i32_e64 s0, s10, v39
	v_subrev_nc_u32_e32 v51, s9, v39
	v_ashrrev_i32_e32 v5, 31, v4
	s_and_b32 s0, vcc_lo, s0
	s_delay_alu instid0(SALU_CYCLE_1) | instskip(SKIP_1) | instid1(VALU_DEP_1)
	s_and_b32 vcc_lo, s17, s0
	v_sub_f32_e32 v40, v1, v9
	v_mul_f32_e32 v1, 0x3fb8aa3b, v40
	s_delay_alu instid0(VALU_DEP_1) | instskip(SKIP_1) | instid1(VALU_DEP_2)
	v_fma_f32 v3, 0x3fb8aa3b, v40, -v1
	v_rndne_f32_e32 v45, v1
	v_fmac_f32_e32 v3, 0x32a5705f, v40
	s_delay_alu instid0(VALU_DEP_2) | instskip(SKIP_2) | instid1(VALU_DEP_3)
	v_sub_f32_e32 v1, v1, v45
	v_cvt_i32_f32_e32 v50, v45
	v_lshlrev_b64 v[45:46], 2, v[4:5]
	v_add_f32_e32 v1, v1, v3
	v_ashrrev_i32_e32 v3, 31, v2
	s_delay_alu instid0(VALU_DEP_2) | instskip(SKIP_1) | instid1(VALU_DEP_2)
	v_exp_f32_e32 v49, v1
	v_ashrrev_i32_e32 v1, 31, v0
	v_lshlrev_b64 v[47:48], 2, v[2:3]
	s_waitcnt_depctr 0xfff
	v_ldexp_f32 v3, v49, v50
	v_lshlrev_b64 v[49:50], 2, v[0:1]
	v_cndmask_b32_e32 v1, 32, v51, vcc_lo
	v_cmp_ngt_f32_e32 vcc_lo, 0xc2ce8ed0, v40
	s_delay_alu instid0(VALU_DEP_4) | instskip(SKIP_3) | instid1(VALU_DEP_4)
	v_cndmask_b32_e32 v3, 0, v3, vcc_lo
	v_add_co_u32 v45, vcc_lo, s12, v45
	v_add_co_ci_u32_e32 v46, vcc_lo, s13, v46, vcc_lo
	v_cmp_nlt_f32_e32 vcc_lo, 0x42b17218, v40
	v_cndmask_b32_e32 v3, 0x7f800000, v3, vcc_lo
	s_waitcnt lgkmcnt(0)
	v_add_co_u32 v47, vcc_lo, s4, v47
	v_add_co_ci_u32_e32 v48, vcc_lo, s5, v48, vcc_lo
	v_add_co_u32 v49, vcc_lo, s6, v49
	v_add_f32_e32 v11, v11, v3
	v_add_co_ci_u32_e32 v50, vcc_lo, s7, v50, vcc_lo
	global_store_b32 v[45:46], v3, off
	global_store_b32 v[47:48], v1, off
	;; [unrolled: 1-line block ×3, first 2 shown]
.LBB261_16:                             ;   in Loop: Header=BB261_14 Depth=1
	s_or_b32 exec_lo, exec_lo, s1
	s_delay_alu instid0(VALU_DEP_1) | instskip(SKIP_1) | instid1(VALU_DEP_1)
	v_ashrrev_i32_e32 v3, 31, v39
	s_mov_b32 s0, exec_lo
	v_lshrrev_b32_e32 v1, 28, v3
	s_delay_alu instid0(VALU_DEP_1) | instskip(NEXT) | instid1(VALU_DEP_1)
	v_add_nc_u32_e32 v5, v39, v1
	v_ashrrev_i32_e32 v1, 4, v5
	v_lshrrev_b32_e32 v5, 31, v5
	s_delay_alu instid0(VALU_DEP_1) | instskip(NEXT) | instid1(VALU_DEP_1)
	v_add_nc_u32_e32 v5, v1, v5
	v_and_b32_e32 v5, -2, v5
	s_delay_alu instid0(VALU_DEP_1) | instskip(NEXT) | instid1(VALU_DEP_1)
	v_sub_nc_u32_e32 v5, v1, v5
	v_cmpx_eq_u32_e64 v21, v5
	s_cbranch_execz .LBB261_13
; %bb.17:                               ;   in Loop: Header=BB261_14 Depth=1
	v_lshrrev_b32_e32 v3, 27, v3
	v_lshlrev_b32_e32 v1, 4, v1
	s_delay_alu instid0(VALU_DEP_2) | instskip(NEXT) | instid1(VALU_DEP_2)
	v_add_nc_u32_e32 v3, v39, v3
	v_sub_nc_u32_e32 v1, v39, v1
	s_delay_alu instid0(VALU_DEP_2) | instskip(NEXT) | instid1(VALU_DEP_1)
	v_ashrrev_i32_e32 v3, 5, v3
	v_lshl_add_u32 v1, v3, 4, v1
	s_delay_alu instid0(VALU_DEP_1)
	v_cmp_ne_u32_e32 vcc_lo, 15, v1
	v_cndmask_b32_e32 v7, 0xff800000, v7, vcc_lo
	v_cmp_ne_u32_e32 vcc_lo, 14, v1
	v_cndmask_b32_e32 v8, 0xff800000, v8, vcc_lo
	;; [unrolled: 2-line block ×16, first 2 shown]
	s_branch .LBB261_13
.LBB261_18:
	s_delay_alu instid0(VALU_DEP_1)
	v_sub_f32_e32 v3, v27, v9
	v_sub_f32_e32 v0, v25, v9
	;; [unrolled: 1-line block ×5, first 2 shown]
	v_mul_f32_e32 v25, 0x3fb8aa3b, v3
	v_dual_sub_f32 v1, v23, v9 :: v_dual_mul_f32 v2, 0x3fb8aa3b, v0
	v_cmp_ngt_f32_e32 vcc_lo, 0xc2ce8ed0, v0
	v_sub_f32_e32 v8, v8, v9
	v_sub_f32_e32 v7, v7, v9
	;; [unrolled: 1-line block ×3, first 2 shown]
	v_fma_f32 v21, 0x3fb8aa3b, v0, -v2
	v_rndne_f32_e32 v22, v2
	v_sub_f32_e32 v6, v24, v9
	s_delay_alu instid0(VALU_DEP_3) | instskip(NEXT) | instid1(VALU_DEP_3)
	v_dual_sub_f32 v20, v20, v9 :: v_dual_fmac_f32 v21, 0x32a5705f, v0
	v_sub_f32_e32 v2, v2, v22
	s_delay_alu instid0(VALU_DEP_3) | instskip(SKIP_1) | instid1(VALU_DEP_3)
	v_dual_mul_f32 v4, 0x3fb8aa3b, v1 :: v_dual_mul_f32 v27, 0x3fb8aa3b, v6
	v_cvt_i32_f32_e32 v22, v22
	v_add_f32_e32 v2, v2, v21
	v_fma_f32 v21, 0x3fb8aa3b, v3, -v25
	s_delay_alu instid0(VALU_DEP_4) | instskip(SKIP_2) | instid1(VALU_DEP_4)
	v_fma_f32 v23, 0x3fb8aa3b, v1, -v4
	v_rndne_f32_e32 v24, v4
	v_sub_f32_e32 v5, v26, v9
	v_fmac_f32_e32 v21, 0x32a5705f, v3
	v_exp_f32_e32 v2, v2
	s_delay_alu instid0(VALU_DEP_3) | instskip(SKIP_3) | instid1(VALU_DEP_1)
	v_sub_f32_e32 v4, v4, v24
	v_cvt_i32_f32_e32 v24, v24
	s_waitcnt_depctr 0xfff
	v_ldexp_f32 v2, v2, v22
	v_dual_fmac_f32 v23, 0x32a5705f, v1 :: v_dual_cndmask_b32 v2, 0, v2
	s_delay_alu instid0(VALU_DEP_1) | instskip(SKIP_3) | instid1(VALU_DEP_3)
	v_add_f32_e32 v4, v4, v23
	v_rndne_f32_e32 v23, v25
	v_mul_f32_e32 v26, 0x3fb8aa3b, v5
	v_cmp_ngt_f32_e32 vcc_lo, 0xc2ce8ed0, v1
	v_sub_f32_e32 v25, v25, v23
	s_delay_alu instid0(VALU_DEP_3) | instskip(SKIP_2) | instid1(VALU_DEP_4)
	v_fma_f32 v28, 0x3fb8aa3b, v5, -v26
	v_rndne_f32_e32 v29, v26
	v_cvt_i32_f32_e32 v23, v23
	v_add_f32_e32 v21, v25, v21
	v_exp_f32_e32 v4, v4
	s_delay_alu instid0(VALU_DEP_1) | instskip(SKIP_2) | instid1(VALU_DEP_1)
	v_exp_f32_e32 v21, v21
	s_waitcnt_depctr 0xfff
	v_ldexp_f32 v4, v4, v24
	v_cndmask_b32_e32 v4, 0, v4, vcc_lo
	v_cmp_nlt_f32_e32 vcc_lo, 0x42b17218, v0
	v_cndmask_b32_e32 v0, 0x7f800000, v2, vcc_lo
	v_cmp_nlt_f32_e32 vcc_lo, 0x42b17218, v1
	v_sub_f32_e32 v22, v26, v29
	v_fma_f32 v2, 0x3fb8aa3b, v6, -v27
	v_cndmask_b32_e32 v1, 0x7f800000, v4, vcc_lo
	v_ldexp_f32 v4, v21, v23
	v_cmp_ngt_f32_e32 vcc_lo, 0xc2ce8ed0, v3
	v_fmac_f32_e32 v28, 0x32a5705f, v5
	v_rndne_f32_e32 v21, v27
	s_delay_alu instid0(VALU_DEP_4) | instskip(SKIP_1) | instid1(VALU_DEP_4)
	v_dual_add_f32 v0, v0, v1 :: v_dual_cndmask_b32 v1, 0, v4
	v_cmp_nlt_f32_e32 vcc_lo, 0x42b17218, v3
	v_add_f32_e32 v22, v22, v28
	v_cvt_i32_f32_e32 v4, v29
	v_sub_f32_e32 v23, v27, v21
	v_cndmask_b32_e32 v1, 0x7f800000, v1, vcc_lo
	s_delay_alu instid0(VALU_DEP_4) | instskip(SKIP_1) | instid1(VALU_DEP_2)
	v_exp_f32_e32 v22, v22
	v_cmp_ngt_f32_e32 vcc_lo, 0xc2ce8ed0, v5
	v_add_f32_e32 v0, v0, v1
	s_waitcnt_depctr 0xfff
	v_ldexp_f32 v3, v22, v4
	s_delay_alu instid0(VALU_DEP_1) | instskip(SKIP_3) | instid1(VALU_DEP_4)
	v_cndmask_b32_e32 v1, 0, v3, vcc_lo
	v_cmp_nlt_f32_e32 vcc_lo, 0x42b17218, v5
	v_cvt_i32_f32_e32 v5, v21
	v_dual_mul_f32 v21, 0x3fb8aa3b, v19 :: v_dual_mul_f32 v4, 0x3fb8aa3b, v20
	v_cndmask_b32_e32 v1, 0x7f800000, v1, vcc_lo
	v_cmp_ngt_f32_e32 vcc_lo, 0xc2ce8ed0, v6
	s_delay_alu instid0(VALU_DEP_3) | instskip(SKIP_1) | instid1(VALU_DEP_2)
	v_fma_f32 v3, 0x3fb8aa3b, v20, -v4
	v_fmac_f32_e32 v2, 0x32a5705f, v6
	v_dual_add_f32 v0, v0, v1 :: v_dual_fmac_f32 v3, 0x32a5705f, v20
	s_delay_alu instid0(VALU_DEP_2) | instskip(NEXT) | instid1(VALU_DEP_1)
	v_add_f32_e32 v2, v23, v2
	v_exp_f32_e32 v2, v2
	s_waitcnt_depctr 0xfff
	v_ldexp_f32 v1, v2, v5
	s_delay_alu instid0(VALU_DEP_1) | instskip(SKIP_2) | instid1(VALU_DEP_2)
	v_cndmask_b32_e32 v1, 0, v1, vcc_lo
	v_rndne_f32_e32 v22, v4
	v_cmp_nlt_f32_e32 vcc_lo, 0x42b17218, v6
	v_dual_sub_f32 v4, v4, v22 :: v_dual_cndmask_b32 v1, 0x7f800000, v1
	v_cvt_i32_f32_e32 v6, v22
	v_cmp_ngt_f32_e32 vcc_lo, 0xc2ce8ed0, v20
	s_delay_alu instid0(VALU_DEP_3) | instskip(SKIP_2) | instid1(VALU_DEP_2)
	v_add_f32_e32 v2, v4, v3
	v_fma_f32 v3, 0x3fb8aa3b, v19, -v21
	v_rndne_f32_e32 v4, v21
	v_fmac_f32_e32 v3, 0x32a5705f, v19
	s_delay_alu instid0(VALU_DEP_2) | instskip(SKIP_1) | instid1(VALU_DEP_2)
	v_sub_f32_e32 v5, v21, v4
	v_cvt_i32_f32_e32 v4, v4
	v_add_f32_e32 v3, v5, v3
	v_mul_f32_e32 v5, 0x3fb8aa3b, v18
	v_exp_f32_e32 v2, v2
	v_add_f32_e32 v0, v0, v1
	s_waitcnt_depctr 0xfff
	v_ldexp_f32 v1, v2, v6
	v_exp_f32_e32 v2, v3
	v_fma_f32 v3, 0x3fb8aa3b, v18, -v5
	v_rndne_f32_e32 v6, v5
	s_delay_alu instid0(VALU_DEP_2)
	v_fmac_f32_e32 v3, 0x32a5705f, v18
	s_waitcnt_depctr 0xfff
	v_ldexp_f32 v2, v2, v4
	v_sub_f32_e32 v4, v17, v9
	v_cndmask_b32_e32 v1, 0, v1, vcc_lo
	v_cmp_nlt_f32_e32 vcc_lo, 0x42b17218, v20
	v_mul_f32_e32 v20, 0x3fb8aa3b, v14
	s_delay_alu instid0(VALU_DEP_3) | instskip(SKIP_3) | instid1(VALU_DEP_4)
	v_cndmask_b32_e32 v1, 0x7f800000, v1, vcc_lo
	v_cmp_ngt_f32_e32 vcc_lo, 0xc2ce8ed0, v19
	v_sub_f32_e32 v5, v5, v6
	v_cvt_i32_f32_e32 v6, v6
	v_dual_add_f32 v0, v0, v1 :: v_dual_cndmask_b32 v1, 0, v2
	v_cmp_nlt_f32_e32 vcc_lo, 0x42b17218, v19
	s_delay_alu instid0(VALU_DEP_2) | instskip(SKIP_3) | instid1(VALU_DEP_4)
	v_cndmask_b32_e32 v1, 0x7f800000, v1, vcc_lo
	v_add_f32_e32 v3, v5, v3
	v_sub_f32_e32 v5, v16, v9
	v_cmp_ngt_f32_e32 vcc_lo, 0xc2ce8ed0, v18
	v_add_f32_e32 v0, v0, v1
	s_delay_alu instid0(VALU_DEP_4) | instskip(NEXT) | instid1(VALU_DEP_3)
	v_exp_f32_e32 v2, v3
	v_mul_f32_e32 v19, 0x3fb8aa3b, v5
	s_waitcnt_depctr 0xfff
	v_ldexp_f32 v1, v2, v6
	v_rndne_f32_e32 v6, v19
	v_mul_f32_e32 v3, 0x3fb8aa3b, v4
	s_delay_alu instid0(VALU_DEP_3) | instskip(SKIP_1) | instid1(VALU_DEP_3)
	v_cndmask_b32_e32 v1, 0, v1, vcc_lo
	v_cmp_nlt_f32_e32 vcc_lo, 0x42b17218, v18
	v_fma_f32 v16, 0x3fb8aa3b, v4, -v3
	v_rndne_f32_e32 v17, v3
	s_delay_alu instid0(VALU_DEP_4) | instskip(NEXT) | instid1(VALU_DEP_3)
	v_cndmask_b32_e32 v1, 0x7f800000, v1, vcc_lo
	v_fmac_f32_e32 v16, 0x32a5705f, v4
	s_delay_alu instid0(VALU_DEP_3) | instskip(SKIP_4) | instid1(VALU_DEP_4)
	v_sub_f32_e32 v2, v3, v17
	v_fma_f32 v3, 0x3fb8aa3b, v5, -v19
	v_cvt_i32_f32_e32 v17, v17
	v_add_f32_e32 v0, v0, v1
	v_cmp_ngt_f32_e32 vcc_lo, 0xc2ce8ed0, v4
	v_dual_add_f32 v2, v2, v16 :: v_dual_fmac_f32 v3, 0x32a5705f, v5
	v_dual_sub_f32 v16, v19, v6 :: v_dual_mul_f32 v19, 0x3fb8aa3b, v15
	s_delay_alu instid0(VALU_DEP_2) | instskip(NEXT) | instid1(VALU_DEP_1)
	v_exp_f32_e32 v2, v2
	v_add_f32_e32 v3, v16, v3
	s_delay_alu instid0(VALU_DEP_2) | instskip(SKIP_1) | instid1(VALU_DEP_3)
	v_fma_f32 v16, 0x3fb8aa3b, v15, -v19
	v_rndne_f32_e32 v18, v19
	v_exp_f32_e32 v3, v3
	s_delay_alu instid0(VALU_DEP_1) | instskip(SKIP_4) | instid1(VALU_DEP_3)
	v_dual_fmac_f32 v16, 0x32a5705f, v15 :: v_dual_sub_f32 v19, v19, v18
	s_waitcnt_depctr 0xfff
	v_ldexp_f32 v1, v2, v17
	v_cvt_i32_f32_e32 v2, v6
	v_rndne_f32_e32 v17, v20
	v_dual_add_f32 v6, v19, v16 :: v_dual_cndmask_b32 v1, 0, v1
	v_cmp_nlt_f32_e32 vcc_lo, 0x42b17218, v4
	s_delay_alu instid0(VALU_DEP_4) | instskip(SKIP_1) | instid1(VALU_DEP_4)
	v_ldexp_f32 v2, v3, v2
	v_fma_f32 v16, 0x3fb8aa3b, v14, -v20
	v_exp_f32_e32 v3, v6
	v_cvt_i32_f32_e32 v4, v18
	v_cndmask_b32_e32 v1, 0x7f800000, v1, vcc_lo
	v_cmp_ngt_f32_e32 vcc_lo, 0xc2ce8ed0, v5
	v_fmac_f32_e32 v16, 0x32a5705f, v14
	s_delay_alu instid0(VALU_DEP_3) | instskip(SKIP_2) | instid1(TRANS32_DEP_1)
	v_add_f32_e32 v0, v0, v1
	v_cndmask_b32_e32 v2, 0, v2, vcc_lo
	v_cmp_nlt_f32_e32 vcc_lo, 0x42b17218, v5
	v_ldexp_f32 v1, v3, v4
	v_dual_sub_f32 v4, v13, v9 :: v_dual_mul_f32 v13, 0x3fb8aa3b, v8
	s_delay_alu instid0(VALU_DEP_4) | instskip(SKIP_1) | instid1(VALU_DEP_2)
	v_cndmask_b32_e32 v2, 0x7f800000, v2, vcc_lo
	v_cmp_ngt_f32_e32 vcc_lo, 0xc2ce8ed0, v15
	v_dual_mul_f32 v5, 0x3fb8aa3b, v4 :: v_dual_add_f32 v0, v0, v2
	v_cndmask_b32_e32 v1, 0, v1, vcc_lo
	v_cmp_nlt_f32_e32 vcc_lo, 0x42b17218, v15
	v_cvt_i32_f32_e32 v2, v17
	v_mul_f32_e32 v15, 0x3fb8aa3b, v7
	s_delay_alu instid0(VALU_DEP_4) | instskip(SKIP_1) | instid1(VALU_DEP_2)
	v_cndmask_b32_e32 v1, 0x7f800000, v1, vcc_lo
	v_cmp_ngt_f32_e32 vcc_lo, 0xc2ce8ed0, v14
	v_add_f32_e32 v0, v0, v1
	v_fma_f32 v1, 0x3fb8aa3b, v4, -v5
	s_delay_alu instid0(VALU_DEP_1) | instskip(NEXT) | instid1(VALU_DEP_1)
	v_dual_sub_f32 v6, v20, v17 :: v_dual_fmac_f32 v1, 0x32a5705f, v4
	v_add_f32_e32 v6, v6, v16
	v_rndne_f32_e32 v16, v15
	s_delay_alu instid0(VALU_DEP_2) | instskip(SKIP_3) | instid1(VALU_DEP_2)
	v_exp_f32_e32 v3, v6
	s_waitcnt_depctr 0xfff
	v_ldexp_f32 v2, v3, v2
	v_rndne_f32_e32 v3, v5
	v_cndmask_b32_e32 v2, 0, v2, vcc_lo
	v_cmp_nlt_f32_e32 vcc_lo, 0x42b17218, v14
	v_rndne_f32_e32 v14, v13
	s_delay_alu instid0(VALU_DEP_4) | instskip(SKIP_3) | instid1(VALU_DEP_4)
	v_dual_sub_f32 v6, v12, v9 :: v_dual_sub_f32 v5, v5, v3
	v_cvt_i32_f32_e32 v3, v3
	v_cndmask_b32_e32 v2, 0x7f800000, v2, vcc_lo
	v_cmp_ngt_f32_e32 vcc_lo, 0xc2ce8ed0, v4
	v_dual_mul_f32 v12, 0x3fb8aa3b, v6 :: v_dual_add_f32 v1, v5, v1
	s_delay_alu instid0(VALU_DEP_3) | instskip(NEXT) | instid1(VALU_DEP_2)
	v_add_f32_e32 v0, v0, v2
	v_fma_f32 v2, 0x3fb8aa3b, v6, -v12
	v_rndne_f32_e32 v5, v12
	s_delay_alu instid0(VALU_DEP_4) | instskip(NEXT) | instid1(VALU_DEP_1)
	v_exp_f32_e32 v1, v1
	v_dual_fmac_f32 v2, 0x32a5705f, v6 :: v_dual_sub_f32 v9, v12, v5
	v_fma_f32 v12, 0x3fb8aa3b, v8, -v13
	v_cvt_i32_f32_e32 v5, v5
	s_delay_alu instid0(VALU_DEP_2) | instskip(NEXT) | instid1(VALU_DEP_4)
	v_fmac_f32_e32 v12, 0x32a5705f, v8
	v_add_f32_e32 v2, v9, v2
	s_waitcnt_depctr 0xfff
	v_ldexp_f32 v1, v1, v3
	v_sub_f32_e32 v9, v13, v14
	v_fma_f32 v13, 0x3fb8aa3b, v7, -v15
	v_exp_f32_e32 v2, v2
	s_delay_alu instid0(VALU_DEP_3) | instskip(SKIP_3) | instid1(VALU_DEP_4)
	v_cndmask_b32_e32 v1, 0, v1, vcc_lo
	v_cmp_nlt_f32_e32 vcc_lo, 0x42b17218, v4
	v_add_f32_e32 v3, v9, v12
	v_cvt_i32_f32_e32 v4, v14
	v_cndmask_b32_e32 v1, 0x7f800000, v1, vcc_lo
	v_sub_f32_e32 v9, v15, v16
	v_cmp_ngt_f32_e32 vcc_lo, 0xc2ce8ed0, v6
	s_delay_alu instid0(TRANS32_DEP_1) | instskip(SKIP_3) | instid1(VALU_DEP_3)
	v_ldexp_f32 v2, v2, v5
	v_fmac_f32_e32 v13, 0x32a5705f, v7
	v_exp_f32_e32 v3, v3
	v_add_f32_e32 v0, v0, v1
	v_cndmask_b32_e32 v2, 0, v2, vcc_lo
	v_cmp_nlt_f32_e32 vcc_lo, 0x42b17218, v6
	s_delay_alu instid0(VALU_DEP_2) | instskip(NEXT) | instid1(VALU_DEP_1)
	v_dual_add_f32 v9, v9, v13 :: v_dual_cndmask_b32 v2, 0x7f800000, v2
	v_exp_f32_e32 v5, v9
	s_waitcnt_depctr 0xfff
	v_ldexp_f32 v1, v3, v4
	v_cvt_i32_f32_e32 v3, v16
	v_cmp_ngt_f32_e32 vcc_lo, 0xc2ce8ed0, v8
	v_add_f32_e32 v0, v0, v2
	s_delay_alu instid0(VALU_DEP_3) | instskip(SKIP_2) | instid1(VALU_DEP_2)
	v_ldexp_f32 v3, v5, v3
	v_cndmask_b32_e32 v1, 0, v1, vcc_lo
	v_cmp_nlt_f32_e32 vcc_lo, 0x42b17218, v8
	v_cndmask_b32_e32 v1, 0x7f800000, v1, vcc_lo
	v_cmp_ngt_f32_e32 vcc_lo, 0xc2ce8ed0, v7
	v_cndmask_b32_e32 v2, 0, v3, vcc_lo
	v_cmp_nlt_f32_e32 vcc_lo, 0x42b17218, v7
	s_delay_alu instid0(VALU_DEP_2) | instskip(NEXT) | instid1(VALU_DEP_1)
	v_dual_add_f32 v0, v0, v1 :: v_dual_cndmask_b32 v1, 0x7f800000, v2
	v_add_f32_e32 v0, v0, v1
	s_delay_alu instid0(VALU_DEP_1)
	v_mov_b32_dpp v1, v0 quad_perm:[1,0,3,2] row_mask:0xf bank_mask:0xf
	s_and_b32 exec_lo, exec_lo, s2
	s_cbranch_execz .LBB261_23
; %bb.19:
	s_delay_alu instid0(VALU_DEP_1) | instskip(NEXT) | instid1(VALU_DEP_1)
	v_add_f32_e32 v0, v0, v1
	v_add_f32_e32 v0, v11, v0
	s_delay_alu instid0(VALU_DEP_1)
	v_cmp_neq_f32_e32 vcc_lo, 0, v0
	s_and_b32 exec_lo, exec_lo, vcc_lo
	s_cbranch_execz .LBB261_23
; %bb.20:
	s_and_not1_b32 vcc_lo, exec_lo, s15
	s_cbranch_vccnz .LBB261_23
; %bb.21:
	v_div_scale_f32 v2, null, v0, v0, 1.0
	v_div_scale_f32 v4, vcc_lo, 1.0, v0, 1.0
	s_delay_alu instid0(VALU_DEP_2) | instskip(SKIP_2) | instid1(VALU_DEP_1)
	v_rcp_f32_e32 v3, v2
	s_waitcnt_depctr 0xfff
	v_fma_f32 v1, -v2, v3, 1.0
	v_fmac_f32_e32 v3, v1, v3
	v_mul_lo_u32 v1, v10, s11
	s_delay_alu instid0(VALU_DEP_2) | instskip(NEXT) | instid1(VALU_DEP_1)
	v_mul_f32_e32 v5, v4, v3
	v_fma_f32 v6, -v2, v5, v4
	s_delay_alu instid0(VALU_DEP_1) | instskip(NEXT) | instid1(VALU_DEP_1)
	v_fmac_f32_e32 v5, v6, v3
	v_fma_f32 v4, -v2, v5, v4
	v_ashrrev_i32_e32 v2, 31, v1
	s_delay_alu instid0(VALU_DEP_2) | instskip(NEXT) | instid1(VALU_DEP_2)
	v_div_fmas_f32 v5, v4, v3, v5
	v_lshlrev_b64 v[3:4], 2, v[1:2]
	s_delay_alu instid0(VALU_DEP_2) | instskip(NEXT) | instid1(VALU_DEP_2)
	v_div_fixup_f32 v2, v5, v0, 1.0
	v_add_co_u32 v0, vcc_lo, s12, v3
	s_delay_alu instid0(VALU_DEP_3)
	v_add_co_ci_u32_e32 v1, vcc_lo, s13, v4, vcc_lo
.LBB261_22:                             ; =>This Inner Loop Header: Depth=1
	global_load_b32 v3, v[0:1], off
	s_add_i32 s8, s8, -1
	s_delay_alu instid0(SALU_CYCLE_1)
	s_cmp_lg_u32 s8, 0
	s_waitcnt vmcnt(0)
	v_mul_f32_e32 v3, v2, v3
	global_store_b32 v[0:1], v3, off
	v_add_co_u32 v0, vcc_lo, v0, 4
	v_add_co_ci_u32_e32 v1, vcc_lo, 0, v1, vcc_lo
	s_cbranch_scc1 .LBB261_22
.LBB261_23:
	s_nop 0
	s_sendmsg sendmsg(MSG_DEALLOC_VGPRS)
	s_endpgm
	.section	.rodata,"a",@progbits
	.p2align	6, 0x0
	.amdhsa_kernel _ZN4vllm3moe17topkGatingSoftmaxItLi16ELi32ELi8ELi32ELb0ELi1ELNS0_23SharedExpertScoringFuncE1EEEvPKT_PKbPfiPiS9_iiiiii
		.amdhsa_group_segment_fixed_size 0
		.amdhsa_private_segment_fixed_size 0
		.amdhsa_kernarg_size 72
		.amdhsa_user_sgpr_count 15
		.amdhsa_user_sgpr_dispatch_ptr 0
		.amdhsa_user_sgpr_queue_ptr 0
		.amdhsa_user_sgpr_kernarg_segment_ptr 1
		.amdhsa_user_sgpr_dispatch_id 0
		.amdhsa_user_sgpr_private_segment_size 0
		.amdhsa_wavefront_size32 1
		.amdhsa_uses_dynamic_stack 0
		.amdhsa_enable_private_segment 0
		.amdhsa_system_sgpr_workgroup_id_x 1
		.amdhsa_system_sgpr_workgroup_id_y 0
		.amdhsa_system_sgpr_workgroup_id_z 0
		.amdhsa_system_sgpr_workgroup_info 0
		.amdhsa_system_vgpr_workitem_id 1
		.amdhsa_next_free_vgpr 53
		.amdhsa_next_free_sgpr 19
		.amdhsa_reserve_vcc 1
		.amdhsa_float_round_mode_32 0
		.amdhsa_float_round_mode_16_64 0
		.amdhsa_float_denorm_mode_32 3
		.amdhsa_float_denorm_mode_16_64 3
		.amdhsa_dx10_clamp 1
		.amdhsa_ieee_mode 1
		.amdhsa_fp16_overflow 0
		.amdhsa_workgroup_processor_mode 1
		.amdhsa_memory_ordered 1
		.amdhsa_forward_progress 0
		.amdhsa_shared_vgpr_count 0
		.amdhsa_exception_fp_ieee_invalid_op 0
		.amdhsa_exception_fp_denorm_src 0
		.amdhsa_exception_fp_ieee_div_zero 0
		.amdhsa_exception_fp_ieee_overflow 0
		.amdhsa_exception_fp_ieee_underflow 0
		.amdhsa_exception_fp_ieee_inexact 0
		.amdhsa_exception_int_div_zero 0
	.end_amdhsa_kernel
	.section	.text._ZN4vllm3moe17topkGatingSoftmaxItLi16ELi32ELi8ELi32ELb0ELi1ELNS0_23SharedExpertScoringFuncE1EEEvPKT_PKbPfiPiS9_iiiiii,"axG",@progbits,_ZN4vllm3moe17topkGatingSoftmaxItLi16ELi32ELi8ELi32ELb0ELi1ELNS0_23SharedExpertScoringFuncE1EEEvPKT_PKbPfiPiS9_iiiiii,comdat
.Lfunc_end261:
	.size	_ZN4vllm3moe17topkGatingSoftmaxItLi16ELi32ELi8ELi32ELb0ELi1ELNS0_23SharedExpertScoringFuncE1EEEvPKT_PKbPfiPiS9_iiiiii, .Lfunc_end261-_ZN4vllm3moe17topkGatingSoftmaxItLi16ELi32ELi8ELi32ELb0ELi1ELNS0_23SharedExpertScoringFuncE1EEEvPKT_PKbPfiPiS9_iiiiii
                                        ; -- End function
	.section	.AMDGPU.csdata,"",@progbits
; Kernel info:
; codeLenInByte = 4588
; NumSgprs: 21
; NumVgprs: 53
; ScratchSize: 0
; MemoryBound: 0
; FloatMode: 240
; IeeeMode: 1
; LDSByteSize: 0 bytes/workgroup (compile time only)
; SGPRBlocks: 2
; VGPRBlocks: 6
; NumSGPRsForWavesPerEU: 21
; NumVGPRsForWavesPerEU: 53
; Occupancy: 16
; WaveLimiterHint : 0
; COMPUTE_PGM_RSRC2:SCRATCH_EN: 0
; COMPUTE_PGM_RSRC2:USER_SGPR: 15
; COMPUTE_PGM_RSRC2:TRAP_HANDLER: 0
; COMPUTE_PGM_RSRC2:TGID_X_EN: 1
; COMPUTE_PGM_RSRC2:TGID_Y_EN: 0
; COMPUTE_PGM_RSRC2:TGID_Z_EN: 0
; COMPUTE_PGM_RSRC2:TIDIG_COMP_CNT: 1
	.section	.text._ZN4vllm3moe17topkGatingSoftmaxItLi16ELi32ELi8ELi32ELb1ELi2ELNS0_23SharedExpertScoringFuncE1EEEvPKT_PKbPfiPiS9_iiiiii,"axG",@progbits,_ZN4vllm3moe17topkGatingSoftmaxItLi16ELi32ELi8ELi32ELb1ELi2ELNS0_23SharedExpertScoringFuncE1EEEvPKT_PKbPfiPiS9_iiiiii,comdat
	.protected	_ZN4vllm3moe17topkGatingSoftmaxItLi16ELi32ELi8ELi32ELb1ELi2ELNS0_23SharedExpertScoringFuncE1EEEvPKT_PKbPfiPiS9_iiiiii ; -- Begin function _ZN4vllm3moe17topkGatingSoftmaxItLi16ELi32ELi8ELi32ELb1ELi2ELNS0_23SharedExpertScoringFuncE1EEEvPKT_PKbPfiPiS9_iiiiii
	.globl	_ZN4vllm3moe17topkGatingSoftmaxItLi16ELi32ELi8ELi32ELb1ELi2ELNS0_23SharedExpertScoringFuncE1EEEvPKT_PKbPfiPiS9_iiiiii
	.p2align	8
	.type	_ZN4vllm3moe17topkGatingSoftmaxItLi16ELi32ELi8ELi32ELb1ELi2ELNS0_23SharedExpertScoringFuncE1EEEvPKT_PKbPfiPiS9_iiiiii,@function
_ZN4vllm3moe17topkGatingSoftmaxItLi16ELi32ELi8ELi32ELb1ELi2ELNS0_23SharedExpertScoringFuncE1EEEvPKT_PKbPfiPiS9_iiiiii: ; @_ZN4vllm3moe17topkGatingSoftmaxItLi16ELi32ELi8ELi32ELb1ELi2ELNS0_23SharedExpertScoringFuncE1EEEvPKT_PKbPfiPiS9_iiiiii
; %bb.0:
	s_load_b32 s3, s[0:1], 0x18
	v_bfe_u32 v1, v0, 10, 10
	v_and_b32_e32 v0, 0x3ff, v0
	s_lshl_b32 s17, s15, 7
	s_mov_b32 s2, exec_lo
	s_delay_alu instid0(VALU_DEP_2) | instskip(NEXT) | instid1(VALU_DEP_2)
	v_lshlrev_b32_e32 v6, 4, v1
	v_lshrrev_b32_e32 v35, 1, v0
	s_delay_alu instid0(VALU_DEP_1) | instskip(SKIP_1) | instid1(VALU_DEP_1)
	v_add3_u32 v43, s17, v6, v35
	s_waitcnt lgkmcnt(0)
	v_cmpx_gt_i32_e64 s3, v43
	s_cbranch_execz .LBB262_20
; %bb.1:
	s_clause 0x1
	s_load_b128 s[4:7], s[0:1], 0x0
	s_load_b64 s[12:13], s[0:1], 0x10
	s_waitcnt lgkmcnt(0)
	s_cmp_eq_u64 s[6:7], 0
	s_cbranch_scc1 .LBB262_3
; %bb.2:
	v_ashrrev_i32_e32 v2, 31, v43
	v_add_co_u32 v1, vcc_lo, s6, v43
	s_delay_alu instid0(VALU_DEP_2) | instskip(SKIP_3) | instid1(VALU_DEP_1)
	v_add_co_ci_u32_e32 v2, vcc_lo, s7, v2, vcc_lo
	global_load_u8 v1, v[1:2], off
	s_waitcnt vmcnt(0)
	v_and_b32_e32 v1, 1, v1
	v_cmp_eq_u32_e32 vcc_lo, 1, v1
	s_xor_b32 s2, vcc_lo, -1
	s_delay_alu instid0(SALU_CYCLE_1)
	s_or_not1_b32 s16, s2, exec_lo
	s_branch .LBB262_4
.LBB262_3:
	s_mov_b32 s16, -1
.LBB262_4:
	s_load_b64 s[14:15], s[0:1], 0x40
	v_and_b32_e32 v7, 1, v0
	s_delay_alu instid0(VALU_DEP_1) | instskip(SKIP_2) | instid1(VALU_DEP_1)
	v_dual_mov_b32 v41, 0 :: v_dual_lshlrev_b32 v10, 1, v7
	s_waitcnt lgkmcnt(0)
	v_mul_lo_u32 v1, v43, s15
	v_ashrrev_i32_e32 v2, 31, v1
	s_delay_alu instid0(VALU_DEP_1) | instskip(SKIP_1) | instid1(VALU_DEP_2)
	v_lshlrev_b64 v[0:1], 1, v[1:2]
	v_lshlrev_b32_e32 v2, 5, v7
	v_add_co_u32 v8, vcc_lo, s4, v0
	s_delay_alu instid0(VALU_DEP_3) | instskip(SKIP_1) | instid1(VALU_DEP_2)
	v_add_co_ci_u32_e32 v9, vcc_lo, s5, v1, vcc_lo
	s_load_b128 s[4:7], s[0:1], 0x30
	v_add_co_u32 v4, vcc_lo, v8, v2
	s_delay_alu instid0(VALU_DEP_2)
	v_add_co_ci_u32_e32 v5, vcc_lo, 0, v9, vcc_lo
	v_add_co_u32 v8, vcc_lo, v8, v10
	v_add_co_ci_u32_e32 v9, vcc_lo, 0, v9, vcc_lo
	s_clause 0x2
	global_load_b128 v[0:3], v[4:5], off
	global_load_u16 v20, v[8:9], off offset:64
	global_load_b128 v[36:39], v[4:5], off offset:16
	v_lshlrev_b32_e32 v8, 4, v7
	s_delay_alu instid0(VALU_DEP_1)
	v_or_b32_e32 v11, 1, v8
	v_or_b32_e32 v13, 2, v8
	;; [unrolled: 1-line block ×3, first 2 shown]
	s_waitcnt lgkmcnt(0)
	s_cmp_gt_i32 s4, 0
	s_waitcnt vmcnt(2)
	v_lshrrev_b32_e32 v4, 16, v0
	v_and_b32_e32 v0, 0xffff, v0
	s_waitcnt vmcnt(0)
	v_and_b32_e32 v24, 0xffff, v36
	s_delay_alu instid0(VALU_DEP_3) | instskip(NEXT) | instid1(VALU_DEP_3)
	v_cvt_f32_u32_e32 v9, v4
	v_cvt_f32_u32_e32 v10, v0
	v_and_b32_e32 v0, 0xffff, v1
	v_lshrrev_b32_e32 v1, 16, v1
	v_cvt_f32_u32_e32 v24, v24
	s_delay_alu instid0(VALU_DEP_4) | instskip(NEXT) | instid1(VALU_DEP_4)
	v_cmp_lt_f32_e32 vcc_lo, v10, v9
	v_cvt_f32_u32_e32 v12, v0
	s_delay_alu instid0(VALU_DEP_4) | instskip(SKIP_2) | instid1(VALU_DEP_2)
	v_cvt_f32_u32_e32 v14, v1
	v_cndmask_b32_e32 v4, v10, v9, vcc_lo
	v_cndmask_b32_e32 v0, v8, v11, vcc_lo
	v_cmp_lt_f32_e32 vcc_lo, v4, v12
	v_dual_cndmask_b32 v1, v4, v12 :: v_dual_and_b32 v4, 0xffff, v2
	v_lshrrev_b32_e32 v2, 16, v2
	s_delay_alu instid0(VALU_DEP_2) | instskip(NEXT) | instid1(VALU_DEP_2)
	v_cvt_f32_u32_e32 v16, v4
	v_cvt_f32_u32_e32 v18, v2
	v_and_b32_e32 v2, 0xffff, v3
	v_cvt_f32_u32_e32 v4, v20
	v_cndmask_b32_e32 v0, v0, v13, vcc_lo
	v_cmp_lt_f32_e32 vcc_lo, v1, v14
	s_delay_alu instid0(VALU_DEP_4) | instskip(SKIP_4) | instid1(VALU_DEP_4)
	v_cvt_f32_u32_e32 v20, v2
	v_lshrrev_b32_e32 v2, 16, v3
	v_mul_f32_e32 v3, 0xbfb8aa3b, v4
	v_dual_cndmask_b32 v1, v1, v14 :: v_dual_cndmask_b32 v0, v0, v15
	v_cmp_nlt_f32_e64 s2, 0x42ce8ed0, v4
	v_cvt_f32_u32_e32 v22, v2
	s_delay_alu instid0(VALU_DEP_4) | instskip(SKIP_2) | instid1(VALU_DEP_2)
	v_fma_f32 v2, 0xbfb8aa3b, v4, -v3
	v_rndne_f32_e32 v5, v3
	v_cmp_lt_f32_e32 vcc_lo, v1, v16
	v_dual_fmamk_f32 v2, v4, 0xb2a5705f, v2 :: v_dual_sub_f32 v3, v3, v5
	v_cndmask_b32_e32 v1, v1, v16, vcc_lo
	v_or_b32_e32 v17, 4, v8
	v_or_b32_e32 v19, 5, v8
	;; [unrolled: 1-line block ×3, first 2 shown]
	v_add_f32_e32 v2, v3, v2
	v_lshrrev_b32_e32 v3, 16, v36
	v_or_b32_e32 v23, 7, v8
	v_or_b32_e32 v25, 8, v8
	;; [unrolled: 1-line block ×4, first 2 shown]
	v_cvt_f32_u32_e32 v26, v3
	v_cndmask_b32_e32 v0, v0, v17, vcc_lo
	v_cmp_lt_f32_e32 vcc_lo, v1, v18
	v_cvt_i32_f32_e32 v3, v5
	v_and_b32_e32 v5, 0xffff, v37
	v_or_b32_e32 v31, 11, v8
	v_or_b32_e32 v33, 12, v8
	v_dual_cndmask_b32 v0, v0, v19 :: v_dual_cndmask_b32 v1, v1, v18
	s_delay_alu instid0(VALU_DEP_4)
	v_cvt_f32_u32_e32 v28, v5
	v_and_b32_e32 v5, 0xffff, v39
	v_exp_f32_e32 v2, v2
	v_or_b32_e32 v36, 13, v8
	v_cmp_lt_f32_e32 vcc_lo, v1, v20
	v_lshrrev_b32_e32 v39, 16, v39
	v_cndmask_b32_e32 v1, v1, v20, vcc_lo
	s_delay_alu instid0(VALU_DEP_2) | instskip(SKIP_4) | instid1(VALU_DEP_3)
	v_cvt_f32_u32_e32 v39, v39
	s_waitcnt_depctr 0xfff
	v_ldexp_f32 v2, v2, v3
	v_lshrrev_b32_e32 v3, 16, v37
	v_cvt_f32_u32_e32 v37, v5
	v_cndmask_b32_e64 v2, 0, v2, s2
	s_delay_alu instid0(VALU_DEP_3) | instskip(SKIP_2) | instid1(VALU_DEP_2)
	v_cvt_f32_u32_e32 v30, v3
	v_cndmask_b32_e32 v0, v0, v21, vcc_lo
	v_cmp_lt_f32_e32 vcc_lo, v1, v22
	v_dual_cndmask_b32 v1, v1, v22 :: v_dual_cndmask_b32 v0, v0, v23
	s_delay_alu instid0(VALU_DEP_1) | instskip(NEXT) | instid1(VALU_DEP_2)
	v_cmp_lt_f32_e32 vcc_lo, v1, v24
	v_dual_cndmask_b32 v1, v1, v24 :: v_dual_cndmask_b32 v0, v0, v25
	s_delay_alu instid0(VALU_DEP_1) | instskip(NEXT) | instid1(VALU_DEP_2)
	v_cmp_lt_f32_e32 vcc_lo, v1, v26
	v_dual_cndmask_b32 v0, v0, v27 :: v_dual_cndmask_b32 v1, v1, v26
	v_cmp_ngt_f32_e32 vcc_lo, 0xc2b17218, v4
	v_lshrrev_b32_e32 v4, 16, v38
	v_cndmask_b32_e32 v2, 0x7f800000, v2, vcc_lo
	s_delay_alu instid0(VALU_DEP_4) | instskip(NEXT) | instid1(VALU_DEP_3)
	v_cmp_lt_f32_e32 vcc_lo, v1, v28
	v_cvt_f32_u32_e32 v34, v4
	s_delay_alu instid0(VALU_DEP_3) | instskip(SKIP_3) | instid1(VALU_DEP_4)
	v_dual_add_f32 v42, 1.0, v2 :: v_dual_cndmask_b32 v1, v1, v28
	v_cndmask_b32_e32 v0, v0, v29, vcc_lo
	v_and_b32_e32 v2, 0xffff, v38
	v_or_b32_e32 v38, 14, v8
	v_div_scale_f32 v3, null, v42, v42, 1.0
	v_cmp_lt_f32_e32 vcc_lo, v1, v30
	s_delay_alu instid0(VALU_DEP_4) | instskip(NEXT) | instid1(VALU_DEP_3)
	v_cvt_f32_u32_e32 v32, v2
	v_rcp_f32_e32 v44, v3
	v_dual_cndmask_b32 v1, v1, v30 :: v_dual_cndmask_b32 v2, v0, v31
	v_mul_lo_u32 v0, v43, s7
	s_cselect_b32 s7, -1, 0
	s_cmp_lt_i32 s4, 1
	s_delay_alu instid0(VALU_DEP_2) | instskip(SKIP_4) | instid1(VALU_DEP_3)
	v_cmp_lt_f32_e32 vcc_lo, v1, v32
	s_waitcnt_depctr 0xfff
	v_fma_f32 v4, -v3, v44, 1.0
	v_dual_cndmask_b32 v1, v1, v32 :: v_dual_cndmask_b32 v2, v2, v33
	v_div_scale_f32 v45, vcc_lo, 1.0, v42, 1.0
	v_fmac_f32_e32 v44, v4, v44
	s_delay_alu instid0(VALU_DEP_3) | instskip(NEXT) | instid1(VALU_DEP_2)
	v_cmp_lt_f32_e64 s2, v1, v34
	v_mul_f32_e32 v46, v45, v44
	s_delay_alu instid0(VALU_DEP_2) | instskip(SKIP_2) | instid1(VALU_DEP_4)
	v_cndmask_b32_e64 v5, v1, v34, s2
	v_cndmask_b32_e64 v4, v2, v36, s2
	v_add3_u32 v1, v0, s4, v7
	v_fma_f32 v40, -v3, v46, v45
	s_delay_alu instid0(VALU_DEP_4) | instskip(NEXT) | instid1(VALU_DEP_3)
	v_cmp_lt_f32_e64 s2, v5, v37
	v_ashrrev_i32_e32 v2, 31, v1
	s_delay_alu instid0(VALU_DEP_3) | instskip(NEXT) | instid1(VALU_DEP_3)
	v_fmac_f32_e32 v46, v40, v44
	v_cndmask_b32_e64 v48, v5, v37, s2
	v_cndmask_b32_e64 v47, v4, v38, s2
	v_or_b32_e32 v40, 15, v8
	v_lshlrev_b64 v[4:5], 2, v[1:2]
	v_fma_f32 v3, -v3, v46, v45
	v_cmp_lt_f32_e64 s2, v48, v39
	s_delay_alu instid0(VALU_DEP_2) | instskip(NEXT) | instid1(VALU_DEP_2)
	v_div_fmas_f32 v2, v3, v44, v46
	v_cndmask_b32_e64 v1, v47, v40, s2
	v_cndmask_b32_e64 v3, v48, v39, s2
	v_add_co_u32 v44, vcc_lo, s12, v4
	v_add_co_ci_u32_e32 v45, vcc_lo, s13, v5, vcc_lo
	v_div_fixup_f32 v2, v2, v42, 1.0
	v_mov_b32_dpp v5, v1 quad_perm:[1,0,3,2] row_mask:0xf bank_mask:0xf
	v_mov_b32_dpp v42, v3 quad_perm:[1,0,3,2] row_mask:0xf bank_mask:0xf
	v_cmp_eq_u32_e32 vcc_lo, 0, v7
	global_store_b32 v[44:45], v2, off
	s_cbranch_scc1 .LBB262_16
; %bb.5:
	s_load_b128 s[8:11], s[0:1], 0x20
	v_cmp_eq_f32_e64 s0, v3, v42
	v_cmp_lt_i32_e64 s1, v5, v1
	v_cmp_lt_f32_e64 s2, v3, v42
	v_mul_lo_u32 v2, v43, s14
	v_mul_lo_u32 v4, v43, s4
	v_mov_b32_e32 v41, 0
	s_and_b32 s0, s0, s1
	s_delay_alu instid0(SALU_CYCLE_1) | instskip(NEXT) | instid1(SALU_CYCLE_1)
	s_or_b32 s0, s2, s0
	v_cndmask_b32_e64 v44, v1, v5, s0
	v_cndmask_b32_e64 v42, v3, v42, s0
	s_and_saveexec_b32 s2, vcc_lo
	s_cbranch_execz .LBB262_7
; %bb.6:
	s_delay_alu instid0(VALU_DEP_1)
	v_sub_f32_e32 v41, v42, v42
	v_cmp_le_i32_e64 s0, s5, v44
	v_cmp_gt_i32_e64 s1, s6, v44
	v_subrev_nc_u32_e32 v51, s5, v44
	v_ashrrev_i32_e32 v5, 31, v4
	v_mul_f32_e32 v1, 0x3fb8aa3b, v41
	s_delay_alu instid0(VALU_DEP_4) | instskip(NEXT) | instid1(SALU_CYCLE_1)
	s_and_b32 s0, s0, s1
	s_and_b32 s0, s16, s0
	s_delay_alu instid0(VALU_DEP_1) | instskip(SKIP_2) | instid1(VALU_DEP_3)
	v_rndne_f32_e32 v47, v1
	v_fma_f32 v3, 0x3fb8aa3b, v41, -v1
	v_lshlrev_b64 v[49:50], 2, v[4:5]
	v_sub_f32_e32 v1, v1, v47
	s_delay_alu instid0(VALU_DEP_3) | instskip(NEXT) | instid1(VALU_DEP_1)
	v_fmamk_f32 v3, v41, 0x32a5705f, v3
	v_add_f32_e32 v3, v1, v3
	v_ashrrev_i32_e32 v1, 31, v0
	s_delay_alu instid0(VALU_DEP_2) | instskip(NEXT) | instid1(VALU_DEP_1)
	v_exp_f32_e32 v52, v3
	v_lshlrev_b64 v[45:46], 2, v[0:1]
	v_ashrrev_i32_e32 v3, 31, v2
	v_cvt_i32_f32_e32 v1, v47
	s_delay_alu instid0(VALU_DEP_2) | instskip(SKIP_2) | instid1(VALU_DEP_1)
	v_lshlrev_b64 v[47:48], 2, v[2:3]
	v_cndmask_b32_e64 v3, 32, v51, s0
	v_add_co_u32 v45, s0, s12, v45
	v_add_co_ci_u32_e64 v46, s0, s13, v46, s0
	s_delay_alu instid0(TRANS32_DEP_1) | instskip(SKIP_1) | instid1(VALU_DEP_1)
	v_ldexp_f32 v1, v52, v1
	v_cmp_ngt_f32_e64 s0, 0xc2ce8ed0, v41
	v_cndmask_b32_e64 v1, 0, v1, s0
	s_waitcnt lgkmcnt(0)
	v_add_co_u32 v47, s0, s8, v47
	s_delay_alu instid0(VALU_DEP_1) | instskip(SKIP_1) | instid1(VALU_DEP_1)
	v_add_co_ci_u32_e64 v48, s0, s9, v48, s0
	v_cmp_nlt_f32_e64 s0, 0x42b17218, v41
	v_cndmask_b32_e64 v41, 0x7f800000, v1, s0
	v_add_co_u32 v49, s0, s10, v49
	s_delay_alu instid0(VALU_DEP_1)
	v_add_co_ci_u32_e64 v50, s0, s11, v50, s0
	global_store_b32 v[47:48], v3, off
	global_store_b32 v[45:46], v41, off
	;; [unrolled: 1-line block ×3, first 2 shown]
.LBB262_7:
	s_or_b32 exec_lo, exec_lo, s2
	v_ashrrev_i32_e32 v3, 31, v44
	s_mov_b32 s1, exec_lo
	s_delay_alu instid0(VALU_DEP_1) | instskip(NEXT) | instid1(VALU_DEP_1)
	v_lshrrev_b32_e32 v1, 28, v3
	v_add_nc_u32_e32 v5, v44, v1
	s_delay_alu instid0(VALU_DEP_1) | instskip(SKIP_1) | instid1(VALU_DEP_1)
	v_ashrrev_i32_e32 v1, 4, v5
	v_lshrrev_b32_e32 v5, 31, v5
	v_add_nc_u32_e32 v5, v1, v5
	s_delay_alu instid0(VALU_DEP_1) | instskip(NEXT) | instid1(VALU_DEP_1)
	v_and_b32_e32 v5, -2, v5
	v_sub_nc_u32_e32 v5, v1, v5
	s_delay_alu instid0(VALU_DEP_1)
	v_cmpx_eq_u32_e64 v7, v5
	s_cbranch_execz .LBB262_9
; %bb.8:
	v_lshrrev_b32_e32 v3, 27, v3
	v_lshlrev_b32_e32 v1, 4, v1
	s_delay_alu instid0(VALU_DEP_2) | instskip(NEXT) | instid1(VALU_DEP_2)
	v_add_nc_u32_e32 v3, v44, v3
	v_sub_nc_u32_e32 v1, v44, v1
	s_delay_alu instid0(VALU_DEP_2) | instskip(NEXT) | instid1(VALU_DEP_1)
	v_ashrrev_i32_e32 v3, 5, v3
	v_lshl_add_u32 v1, v3, 4, v1
	s_delay_alu instid0(VALU_DEP_1) | instskip(NEXT) | instid1(VALU_DEP_1)
	v_cmp_ne_u32_e64 s0, 15, v1
	v_cndmask_b32_e64 v39, 0xff800000, v39, s0
	v_cmp_ne_u32_e64 s0, 14, v1
	s_delay_alu instid0(VALU_DEP_1) | instskip(SKIP_1) | instid1(VALU_DEP_1)
	v_cndmask_b32_e64 v37, 0xff800000, v37, s0
	v_cmp_ne_u32_e64 s0, 13, v1
	v_cndmask_b32_e64 v34, 0xff800000, v34, s0
	v_cmp_ne_u32_e64 s0, 12, v1
	s_delay_alu instid0(VALU_DEP_1) | instskip(SKIP_1) | instid1(VALU_DEP_1)
	v_cndmask_b32_e64 v32, 0xff800000, v32, s0
	;; [unrolled: 5-line block ×7, first 2 shown]
	v_cmp_ne_u32_e64 s0, 1, v1
	v_cndmask_b32_e64 v9, 0xff800000, v9, s0
	v_cmp_ne_u32_e64 s0, 0, v1
	s_delay_alu instid0(VALU_DEP_1)
	v_cndmask_b32_e64 v10, 0xff800000, v10, s0
.LBB262_9:
	s_or_b32 exec_lo, exec_lo, s1
	s_cmp_eq_u32 s4, 1
	s_cbranch_scc1 .LBB262_16
; %bb.10:
	s_add_i32 s17, s17, s3
	v_add_nc_u32_e32 v1, 1, v4
	v_add3_u32 v35, s17, v35, v6
	v_add_nc_u32_e32 v3, 1, v2
	v_add_nc_u32_e32 v5, 1, v0
	s_add_i32 s14, s4, -1
	s_branch .LBB262_12
.LBB262_11:                             ;   in Loop: Header=BB262_12 Depth=1
	s_or_b32 exec_lo, exec_lo, s1
	v_add_nc_u32_e32 v35, s3, v35
	v_add_nc_u32_e32 v1, 1, v1
	;; [unrolled: 1-line block ×4, first 2 shown]
	s_add_i32 s14, s14, -1
	s_delay_alu instid0(SALU_CYCLE_1)
	s_cmp_eq_u32 s14, 0
	s_cbranch_scc1 .LBB262_16
.LBB262_12:                             ; =>This Inner Loop Header: Depth=1
	v_cmp_gt_f32_e64 s0, v9, v10
	s_delay_alu instid0(VALU_DEP_1) | instskip(SKIP_1) | instid1(VALU_DEP_2)
	v_cndmask_b32_e64 v4, v10, v9, s0
	v_cndmask_b32_e64 v2, v8, v11, s0
	v_cmp_gt_f32_e64 s0, v12, v4
	s_delay_alu instid0(VALU_DEP_1) | instskip(NEXT) | instid1(VALU_DEP_3)
	v_cndmask_b32_e64 v4, v4, v12, s0
	v_cndmask_b32_e64 v2, v2, v13, s0
	s_delay_alu instid0(VALU_DEP_2) | instskip(NEXT) | instid1(VALU_DEP_1)
	v_cmp_gt_f32_e64 s0, v14, v4
	v_cndmask_b32_e64 v4, v4, v14, s0
	s_delay_alu instid0(VALU_DEP_3) | instskip(NEXT) | instid1(VALU_DEP_2)
	v_cndmask_b32_e64 v2, v2, v15, s0
	v_cmp_gt_f32_e64 s0, v16, v4
	s_delay_alu instid0(VALU_DEP_1) | instskip(NEXT) | instid1(VALU_DEP_3)
	v_cndmask_b32_e64 v4, v4, v16, s0
	v_cndmask_b32_e64 v2, v2, v17, s0
	s_delay_alu instid0(VALU_DEP_2) | instskip(NEXT) | instid1(VALU_DEP_1)
	v_cmp_gt_f32_e64 s0, v18, v4
	v_cndmask_b32_e64 v4, v4, v18, s0
	s_delay_alu instid0(VALU_DEP_3) | instskip(NEXT) | instid1(VALU_DEP_2)
	;; [unrolled: 9-line block ×6, first 2 shown]
	v_cndmask_b32_e64 v2, v2, v36, s0
	v_cmp_gt_f32_e64 s0, v37, v4
	s_delay_alu instid0(VALU_DEP_1) | instskip(NEXT) | instid1(VALU_DEP_3)
	v_cndmask_b32_e64 v4, v4, v37, s0
	v_cndmask_b32_e64 v2, v2, v38, s0
	s_delay_alu instid0(VALU_DEP_2) | instskip(NEXT) | instid1(VALU_DEP_1)
	v_cmp_gt_f32_e64 s0, v39, v4
	v_cndmask_b32_e64 v6, v2, v40, s0
	v_cndmask_b32_e64 v2, v4, v39, s0
	s_delay_alu instid0(VALU_DEP_2) | instskip(NEXT) | instid1(VALU_DEP_2)
	v_mov_b32_dpp v43, v6 quad_perm:[1,0,3,2] row_mask:0xf bank_mask:0xf
	v_mov_b32_dpp v4, v2 quad_perm:[1,0,3,2] row_mask:0xf bank_mask:0xf
	s_delay_alu instid0(VALU_DEP_2) | instskip(NEXT) | instid1(VALU_DEP_2)
	v_cmp_lt_i32_e64 s0, v43, v6
	v_cmp_eq_f32_e64 s1, v2, v4
	v_cmp_lt_f32_e64 s2, v2, v4
	s_delay_alu instid0(VALU_DEP_2)
	s_and_b32 s0, s1, s0
	s_delay_alu instid0(VALU_DEP_1) | instid1(SALU_CYCLE_1)
	s_or_b32 s0, s2, s0
	s_delay_alu instid0(SALU_CYCLE_1)
	v_cndmask_b32_e64 v43, v6, v43, s0
	s_and_saveexec_b32 s2, vcc_lo
	s_cbranch_execz .LBB262_14
; %bb.13:                               ;   in Loop: Header=BB262_12 Depth=1
	v_cndmask_b32_e64 v2, v2, v4, s0
	s_delay_alu instid0(VALU_DEP_2) | instskip(SKIP_4) | instid1(VALU_DEP_4)
	v_cmp_le_i32_e64 s0, s5, v43
	v_cmp_gt_i32_e64 s1, s6, v43
	v_ashrrev_i32_e32 v6, 31, v5
	v_subrev_nc_u32_e32 v51, s5, v43
	v_sub_f32_e32 v50, v2, v42
	s_and_b32 s0, s0, s1
	s_delay_alu instid0(SALU_CYCLE_1) | instskip(NEXT) | instid1(VALU_DEP_1)
	s_and_b32 s0, s16, s0
	v_mul_f32_e32 v2, 0x3fb8aa3b, v50
	s_delay_alu instid0(VALU_DEP_1) | instskip(SKIP_1) | instid1(VALU_DEP_2)
	v_fma_f32 v4, 0x3fb8aa3b, v50, -v2
	v_rndne_f32_e32 v44, v2
	v_fmac_f32_e32 v4, 0x32a5705f, v50
	s_delay_alu instid0(VALU_DEP_2) | instskip(SKIP_2) | instid1(VALU_DEP_3)
	v_sub_f32_e32 v2, v2, v44
	v_cvt_i32_f32_e32 v49, v44
	v_lshlrev_b64 v[44:45], 2, v[5:6]
	v_add_f32_e32 v2, v2, v4
	v_ashrrev_i32_e32 v4, 31, v3
	s_delay_alu instid0(VALU_DEP_2) | instskip(SKIP_1) | instid1(VALU_DEP_2)
	v_exp_f32_e32 v48, v2
	v_ashrrev_i32_e32 v2, 31, v1
	v_lshlrev_b64 v[46:47], 2, v[3:4]
	s_waitcnt_depctr 0xfff
	v_ldexp_f32 v4, v48, v49
	v_lshlrev_b64 v[48:49], 2, v[1:2]
	v_cndmask_b32_e64 v2, 32, v51, s0
	v_cmp_ngt_f32_e64 s0, 0xc2ce8ed0, v50
	s_delay_alu instid0(VALU_DEP_1) | instskip(SKIP_1) | instid1(VALU_DEP_1)
	v_cndmask_b32_e64 v4, 0, v4, s0
	v_add_co_u32 v44, s0, s12, v44
	v_add_co_ci_u32_e64 v45, s0, s13, v45, s0
	v_cmp_nlt_f32_e64 s0, 0x42b17218, v50
	s_delay_alu instid0(VALU_DEP_1) | instskip(SKIP_2) | instid1(VALU_DEP_1)
	v_cndmask_b32_e64 v4, 0x7f800000, v4, s0
	s_waitcnt lgkmcnt(0)
	v_add_co_u32 v46, s0, s8, v46
	v_add_co_ci_u32_e64 v47, s0, s9, v47, s0
	s_delay_alu instid0(VALU_DEP_3) | instskip(SKIP_1) | instid1(VALU_DEP_1)
	v_add_f32_e32 v41, v41, v4
	v_add_co_u32 v48, s0, s10, v48
	v_add_co_ci_u32_e64 v49, s0, s11, v49, s0
	global_store_b32 v[44:45], v4, off
	global_store_b32 v[46:47], v2, off
	;; [unrolled: 1-line block ×3, first 2 shown]
.LBB262_14:                             ;   in Loop: Header=BB262_12 Depth=1
	s_or_b32 exec_lo, exec_lo, s2
	s_delay_alu instid0(VALU_DEP_1) | instskip(SKIP_1) | instid1(VALU_DEP_1)
	v_ashrrev_i32_e32 v4, 31, v43
	s_mov_b32 s1, exec_lo
	v_lshrrev_b32_e32 v2, 28, v4
	s_delay_alu instid0(VALU_DEP_1) | instskip(NEXT) | instid1(VALU_DEP_1)
	v_add_nc_u32_e32 v6, v43, v2
	v_ashrrev_i32_e32 v2, 4, v6
	v_lshrrev_b32_e32 v6, 31, v6
	s_delay_alu instid0(VALU_DEP_1) | instskip(NEXT) | instid1(VALU_DEP_1)
	v_add_nc_u32_e32 v6, v2, v6
	v_and_b32_e32 v6, -2, v6
	s_delay_alu instid0(VALU_DEP_1) | instskip(NEXT) | instid1(VALU_DEP_1)
	v_sub_nc_u32_e32 v6, v2, v6
	v_cmpx_eq_u32_e64 v7, v6
	s_cbranch_execz .LBB262_11
; %bb.15:                               ;   in Loop: Header=BB262_12 Depth=1
	v_lshrrev_b32_e32 v4, 27, v4
	v_lshlrev_b32_e32 v2, 4, v2
	s_delay_alu instid0(VALU_DEP_2) | instskip(NEXT) | instid1(VALU_DEP_2)
	v_add_nc_u32_e32 v4, v43, v4
	v_sub_nc_u32_e32 v2, v43, v2
	s_delay_alu instid0(VALU_DEP_2) | instskip(NEXT) | instid1(VALU_DEP_1)
	v_ashrrev_i32_e32 v4, 5, v4
	v_lshl_add_u32 v2, v4, 4, v2
	s_delay_alu instid0(VALU_DEP_1) | instskip(NEXT) | instid1(VALU_DEP_1)
	v_cmp_ne_u32_e64 s0, 15, v2
	v_cndmask_b32_e64 v39, 0xff800000, v39, s0
	v_cmp_ne_u32_e64 s0, 14, v2
	s_delay_alu instid0(VALU_DEP_1) | instskip(SKIP_1) | instid1(VALU_DEP_1)
	v_cndmask_b32_e64 v37, 0xff800000, v37, s0
	v_cmp_ne_u32_e64 s0, 13, v2
	v_cndmask_b32_e64 v34, 0xff800000, v34, s0
	v_cmp_ne_u32_e64 s0, 12, v2
	s_delay_alu instid0(VALU_DEP_1) | instskip(SKIP_1) | instid1(VALU_DEP_1)
	v_cndmask_b32_e64 v32, 0xff800000, v32, s0
	;; [unrolled: 5-line block ×7, first 2 shown]
	v_cmp_ne_u32_e64 s0, 1, v2
	v_cndmask_b32_e64 v9, 0xff800000, v9, s0
	v_cmp_ne_u32_e64 s0, 0, v2
	s_delay_alu instid0(VALU_DEP_1)
	v_cndmask_b32_e64 v10, 0xff800000, v10, s0
	s_branch .LBB262_11
.LBB262_16:
	v_cmp_eq_u32_e32 vcc_lo, 0, v7
	v_cmp_neq_f32_e64 s0, 0, v41
	s_delay_alu instid0(VALU_DEP_1) | instskip(NEXT) | instid1(SALU_CYCLE_1)
	s_and_b32 s0, vcc_lo, s0
	s_and_b32 exec_lo, exec_lo, s0
	s_cbranch_execz .LBB262_20
; %bb.17:
	s_and_not1_b32 vcc_lo, exec_lo, s7
	s_cbranch_vccnz .LBB262_20
; %bb.18:
	v_div_scale_f32 v1, null, v41, v41, 1.0
	v_div_scale_f32 v4, vcc_lo, 1.0, v41, 1.0
	s_delay_alu instid0(VALU_DEP_2) | instskip(SKIP_2) | instid1(VALU_DEP_1)
	v_rcp_f32_e32 v2, v1
	s_waitcnt_depctr 0xfff
	v_fma_f32 v3, -v1, v2, 1.0
	v_fmac_f32_e32 v2, v3, v2
	s_delay_alu instid0(VALU_DEP_1) | instskip(NEXT) | instid1(VALU_DEP_1)
	v_mul_f32_e32 v3, v4, v2
	v_fma_f32 v5, -v1, v3, v4
	s_delay_alu instid0(VALU_DEP_1) | instskip(NEXT) | instid1(VALU_DEP_1)
	v_fmac_f32_e32 v3, v5, v2
	v_fma_f32 v4, -v1, v3, v4
	v_ashrrev_i32_e32 v1, 31, v0
	s_delay_alu instid0(VALU_DEP_2) | instskip(NEXT) | instid1(VALU_DEP_2)
	v_div_fmas_f32 v2, v4, v2, v3
	v_lshlrev_b64 v[0:1], 2, v[0:1]
	s_delay_alu instid0(VALU_DEP_2) | instskip(NEXT) | instid1(VALU_DEP_2)
	v_div_fixup_f32 v2, v2, v41, 1.0
	v_add_co_u32 v0, vcc_lo, s12, v0
	s_delay_alu instid0(VALU_DEP_3)
	v_add_co_ci_u32_e32 v1, vcc_lo, s13, v1, vcc_lo
.LBB262_19:                             ; =>This Inner Loop Header: Depth=1
	global_load_b32 v3, v[0:1], off
	s_add_i32 s4, s4, -1
	s_delay_alu instid0(SALU_CYCLE_1)
	s_cmp_lg_u32 s4, 0
	s_waitcnt vmcnt(0)
	v_mul_f32_e32 v3, v2, v3
	global_store_b32 v[0:1], v3, off
	v_add_co_u32 v0, vcc_lo, v0, 4
	v_add_co_ci_u32_e32 v1, vcc_lo, 0, v1, vcc_lo
	s_cbranch_scc1 .LBB262_19
.LBB262_20:
	s_nop 0
	s_sendmsg sendmsg(MSG_DEALLOC_VGPRS)
	s_endpgm
	.section	.rodata,"a",@progbits
	.p2align	6, 0x0
	.amdhsa_kernel _ZN4vllm3moe17topkGatingSoftmaxItLi16ELi32ELi8ELi32ELb1ELi2ELNS0_23SharedExpertScoringFuncE1EEEvPKT_PKbPfiPiS9_iiiiii
		.amdhsa_group_segment_fixed_size 0
		.amdhsa_private_segment_fixed_size 0
		.amdhsa_kernarg_size 72
		.amdhsa_user_sgpr_count 15
		.amdhsa_user_sgpr_dispatch_ptr 0
		.amdhsa_user_sgpr_queue_ptr 0
		.amdhsa_user_sgpr_kernarg_segment_ptr 1
		.amdhsa_user_sgpr_dispatch_id 0
		.amdhsa_user_sgpr_private_segment_size 0
		.amdhsa_wavefront_size32 1
		.amdhsa_uses_dynamic_stack 0
		.amdhsa_enable_private_segment 0
		.amdhsa_system_sgpr_workgroup_id_x 1
		.amdhsa_system_sgpr_workgroup_id_y 0
		.amdhsa_system_sgpr_workgroup_id_z 0
		.amdhsa_system_sgpr_workgroup_info 0
		.amdhsa_system_vgpr_workitem_id 1
		.amdhsa_next_free_vgpr 53
		.amdhsa_next_free_sgpr 18
		.amdhsa_reserve_vcc 1
		.amdhsa_float_round_mode_32 0
		.amdhsa_float_round_mode_16_64 0
		.amdhsa_float_denorm_mode_32 3
		.amdhsa_float_denorm_mode_16_64 3
		.amdhsa_dx10_clamp 1
		.amdhsa_ieee_mode 1
		.amdhsa_fp16_overflow 0
		.amdhsa_workgroup_processor_mode 1
		.amdhsa_memory_ordered 1
		.amdhsa_forward_progress 0
		.amdhsa_shared_vgpr_count 0
		.amdhsa_exception_fp_ieee_invalid_op 0
		.amdhsa_exception_fp_denorm_src 0
		.amdhsa_exception_fp_ieee_div_zero 0
		.amdhsa_exception_fp_ieee_overflow 0
		.amdhsa_exception_fp_ieee_underflow 0
		.amdhsa_exception_fp_ieee_inexact 0
		.amdhsa_exception_int_div_zero 0
	.end_amdhsa_kernel
	.section	.text._ZN4vllm3moe17topkGatingSoftmaxItLi16ELi32ELi8ELi32ELb1ELi2ELNS0_23SharedExpertScoringFuncE1EEEvPKT_PKbPfiPiS9_iiiiii,"axG",@progbits,_ZN4vllm3moe17topkGatingSoftmaxItLi16ELi32ELi8ELi32ELb1ELi2ELNS0_23SharedExpertScoringFuncE1EEEvPKT_PKbPfiPiS9_iiiiii,comdat
.Lfunc_end262:
	.size	_ZN4vllm3moe17topkGatingSoftmaxItLi16ELi32ELi8ELi32ELb1ELi2ELNS0_23SharedExpertScoringFuncE1EEEvPKT_PKbPfiPiS9_iiiiii, .Lfunc_end262-_ZN4vllm3moe17topkGatingSoftmaxItLi16ELi32ELi8ELi32ELb1ELi2ELNS0_23SharedExpertScoringFuncE1EEEvPKT_PKbPfiPiS9_iiiiii
                                        ; -- End function
	.section	.AMDGPU.csdata,"",@progbits
; Kernel info:
; codeLenInByte = 3532
; NumSgprs: 20
; NumVgprs: 53
; ScratchSize: 0
; MemoryBound: 0
; FloatMode: 240
; IeeeMode: 1
; LDSByteSize: 0 bytes/workgroup (compile time only)
; SGPRBlocks: 2
; VGPRBlocks: 6
; NumSGPRsForWavesPerEU: 20
; NumVGPRsForWavesPerEU: 53
; Occupancy: 16
; WaveLimiterHint : 0
; COMPUTE_PGM_RSRC2:SCRATCH_EN: 0
; COMPUTE_PGM_RSRC2:USER_SGPR: 15
; COMPUTE_PGM_RSRC2:TRAP_HANDLER: 0
; COMPUTE_PGM_RSRC2:TGID_X_EN: 1
; COMPUTE_PGM_RSRC2:TGID_Y_EN: 0
; COMPUTE_PGM_RSRC2:TGID_Z_EN: 0
; COMPUTE_PGM_RSRC2:TIDIG_COMP_CNT: 1
	.section	.text._ZN4vllm3moe17topkGatingSoftmaxItLi16ELi32ELi8ELi32ELb0ELi2ELNS0_23SharedExpertScoringFuncE1EEEvPKT_PKbPfiPiS9_iiiiii,"axG",@progbits,_ZN4vllm3moe17topkGatingSoftmaxItLi16ELi32ELi8ELi32ELb0ELi2ELNS0_23SharedExpertScoringFuncE1EEEvPKT_PKbPfiPiS9_iiiiii,comdat
	.protected	_ZN4vllm3moe17topkGatingSoftmaxItLi16ELi32ELi8ELi32ELb0ELi2ELNS0_23SharedExpertScoringFuncE1EEEvPKT_PKbPfiPiS9_iiiiii ; -- Begin function _ZN4vllm3moe17topkGatingSoftmaxItLi16ELi32ELi8ELi32ELb0ELi2ELNS0_23SharedExpertScoringFuncE1EEEvPKT_PKbPfiPiS9_iiiiii
	.globl	_ZN4vllm3moe17topkGatingSoftmaxItLi16ELi32ELi8ELi32ELb0ELi2ELNS0_23SharedExpertScoringFuncE1EEEvPKT_PKbPfiPiS9_iiiiii
	.p2align	8
	.type	_ZN4vllm3moe17topkGatingSoftmaxItLi16ELi32ELi8ELi32ELb0ELi2ELNS0_23SharedExpertScoringFuncE1EEEvPKT_PKbPfiPiS9_iiiiii,@function
_ZN4vllm3moe17topkGatingSoftmaxItLi16ELi32ELi8ELi32ELb0ELi2ELNS0_23SharedExpertScoringFuncE1EEEvPKT_PKbPfiPiS9_iiiiii: ; @_ZN4vllm3moe17topkGatingSoftmaxItLi16ELi32ELi8ELi32ELb0ELi2ELNS0_23SharedExpertScoringFuncE1EEEvPKT_PKbPfiPiS9_iiiiii
; %bb.0:
	s_load_b32 s16, s[0:1], 0x18
	v_bfe_u32 v1, v0, 10, 10
	v_and_b32_e32 v0, 0x3ff, v0
	s_lshl_b32 s18, s15, 7
	s_mov_b32 s2, exec_lo
	s_delay_alu instid0(VALU_DEP_2) | instskip(NEXT) | instid1(VALU_DEP_2)
	v_lshlrev_b32_e32 v6, 4, v1
	v_lshrrev_b32_e32 v38, 1, v0
	s_delay_alu instid0(VALU_DEP_1) | instskip(SKIP_1) | instid1(VALU_DEP_1)
	v_add3_u32 v43, s18, v6, v38
	s_waitcnt lgkmcnt(0)
	v_cmpx_gt_i32_e64 s16, v43
	s_cbranch_execz .LBB263_21
; %bb.1:
	s_clause 0x1
	s_load_b128 s[4:7], s[0:1], 0x0
	s_load_b64 s[12:13], s[0:1], 0x10
	s_waitcnt lgkmcnt(0)
	s_cmp_eq_u64 s[6:7], 0
	s_cbranch_scc1 .LBB263_3
; %bb.2:
	v_ashrrev_i32_e32 v2, 31, v43
	v_add_co_u32 v1, vcc_lo, s6, v43
	s_delay_alu instid0(VALU_DEP_2) | instskip(SKIP_3) | instid1(VALU_DEP_1)
	v_add_co_ci_u32_e32 v2, vcc_lo, s7, v2, vcc_lo
	global_load_u8 v1, v[1:2], off
	s_waitcnt vmcnt(0)
	v_and_b32_e32 v1, 1, v1
	v_cmp_eq_u32_e32 vcc_lo, 1, v1
	s_xor_b32 s2, vcc_lo, -1
	s_delay_alu instid0(SALU_CYCLE_1)
	s_or_not1_b32 s17, s2, exec_lo
	s_branch .LBB263_4
.LBB263_3:
	s_mov_b32 s17, -1
.LBB263_4:
	s_clause 0x1
	s_load_b64 s[14:15], s[0:1], 0x40
	s_load_b128 s[8:11], s[0:1], 0x30
	v_and_b32_e32 v7, 1, v0
	s_delay_alu instid0(VALU_DEP_1) | instskip(SKIP_2) | instid1(VALU_DEP_1)
	v_lshlrev_b32_e32 v10, 1, v7
	s_waitcnt lgkmcnt(0)
	v_mul_lo_u32 v1, v43, s15
	v_ashrrev_i32_e32 v2, 31, v1
	s_delay_alu instid0(VALU_DEP_1) | instskip(SKIP_1) | instid1(VALU_DEP_2)
	v_lshlrev_b64 v[0:1], 1, v[1:2]
	v_lshlrev_b32_e32 v2, 5, v7
	v_add_co_u32 v8, vcc_lo, s4, v0
	s_delay_alu instid0(VALU_DEP_3) | instskip(NEXT) | instid1(VALU_DEP_2)
	v_add_co_ci_u32_e32 v9, vcc_lo, s5, v1, vcc_lo
	v_add_co_u32 v4, vcc_lo, v8, v2
	s_delay_alu instid0(VALU_DEP_2)
	v_add_co_ci_u32_e32 v5, vcc_lo, 0, v9, vcc_lo
	v_add_co_u32 v8, vcc_lo, v8, v10
	v_add_co_ci_u32_e32 v9, vcc_lo, 0, v9, vcc_lo
	global_load_b128 v[0:3], v[4:5], off
	v_mov_b32_e32 v10, 0
	s_clause 0x1
	global_load_u16 v8, v[8:9], off offset:64
	global_load_b128 v[39:42], v[4:5], off offset:16
	s_waitcnt vmcnt(2)
	v_lshrrev_b32_e32 v4, 16, v0
	v_and_b32_e32 v0, 0xffff, v0
	s_delay_alu instid0(VALU_DEP_2) | instskip(NEXT) | instid1(VALU_DEP_2)
	v_cvt_f32_u32_e32 v21, v4
	v_cvt_f32_u32_e32 v22, v0
	v_and_b32_e32 v0, 0xffff, v1
	v_lshrrev_b32_e32 v1, 16, v1
	s_delay_alu instid0(VALU_DEP_3) | instskip(SKIP_1) | instid1(VALU_DEP_4)
	v_cmp_lt_f32_e32 vcc_lo, v22, v21
	v_lshlrev_b32_e32 v25, 4, v7
	v_cvt_f32_u32_e32 v26, v0
	s_delay_alu instid0(VALU_DEP_4) | instskip(SKIP_1) | instid1(VALU_DEP_4)
	v_cvt_f32_u32_e32 v24, v1
	v_cndmask_b32_e32 v4, v22, v21, vcc_lo
	v_or_b32_e32 v27, 1, v25
	v_or_b32_e32 v28, 2, v25
	;; [unrolled: 1-line block ×5, first 2 shown]
	v_cndmask_b32_e32 v0, v25, v27, vcc_lo
	v_cmp_lt_f32_e32 vcc_lo, v4, v26
	v_or_b32_e32 v32, 6, v25
	v_or_b32_e32 v33, 7, v25
	;; [unrolled: 1-line block ×4, first 2 shown]
	v_cndmask_b32_e32 v1, v4, v26, vcc_lo
	v_and_b32_e32 v4, 0xffff, v2
	v_lshrrev_b32_e32 v2, 16, v2
	v_or_b32_e32 v36, 10, v25
	v_or_b32_e32 v37, 11, v25
	s_delay_alu instid0(VALU_DEP_4) | instskip(NEXT) | instid1(VALU_DEP_4)
	v_cvt_f32_u32_e32 v23, v4
	v_cvt_f32_u32_e32 v20, v2
	v_and_b32_e32 v2, 0xffff, v3
	s_delay_alu instid0(VALU_DEP_1)
	v_cvt_f32_u32_e32 v19, v2
	v_cndmask_b32_e32 v0, v0, v28, vcc_lo
	v_cmp_lt_f32_e32 vcc_lo, v1, v24
	v_lshrrev_b32_e32 v2, 16, v3
	s_waitcnt vmcnt(1)
	v_cvt_f32_u32_e32 v3, v8
	s_waitcnt vmcnt(0)
	v_lshrrev_b32_e32 v8, 16, v39
	v_cndmask_b32_e32 v1, v1, v24, vcc_lo
	v_cvt_f32_u32_e32 v18, v2
	v_cndmask_b32_e32 v0, v0, v29, vcc_lo
	v_and_b32_e32 v2, 0xffff, v39
	v_mul_f32_e32 v4, 0xbfb8aa3b, v3
	v_cmp_lt_f32_e32 vcc_lo, v1, v23
	v_cvt_f32_u32_e32 v16, v8
	v_cmp_nlt_f32_e64 s2, 0x42ce8ed0, v3
	v_cvt_f32_u32_e32 v17, v2
	v_fma_f32 v2, 0xbfb8aa3b, v3, -v4
	v_dual_cndmask_b32 v1, v1, v23 :: v_dual_cndmask_b32 v0, v0, v30
	v_rndne_f32_e32 v5, v4
	v_or_b32_e32 v39, 12, v25
	s_delay_alu instid0(VALU_DEP_4) | instskip(NEXT) | instid1(VALU_DEP_4)
	v_fmamk_f32 v2, v3, 0xb2a5705f, v2
	v_cmp_lt_f32_e32 vcc_lo, v1, v20
	s_delay_alu instid0(VALU_DEP_4) | instskip(SKIP_1) | instid1(VALU_DEP_2)
	v_dual_sub_f32 v4, v4, v5 :: v_dual_cndmask_b32 v1, v1, v20
	v_cndmask_b32_e32 v0, v0, v31, vcc_lo
	v_add_f32_e32 v2, v4, v2
	v_and_b32_e32 v4, 0xffff, v40
	s_delay_alu instid0(VALU_DEP_4) | instskip(NEXT) | instid1(VALU_DEP_3)
	v_cmp_lt_f32_e32 vcc_lo, v1, v19
	v_exp_f32_e32 v2, v2
	s_delay_alu instid0(VALU_DEP_2) | instskip(SKIP_4) | instid1(VALU_DEP_3)
	v_cvt_f32_u32_e32 v15, v4
	v_cvt_i32_f32_e32 v4, v5
	v_dual_cndmask_b32 v1, v1, v19 :: v_dual_cndmask_b32 v0, v0, v32
	v_lshrrev_b32_e32 v5, 16, v40
	v_or_b32_e32 v40, 13, v25
	v_cmp_lt_f32_e32 vcc_lo, v1, v18
	s_delay_alu instid0(TRANS32_DEP_1) | instskip(NEXT) | instid1(VALU_DEP_4)
	v_ldexp_f32 v2, v2, v4
	v_cvt_f32_u32_e32 v14, v5
	v_dual_cndmask_b32 v1, v1, v18 :: v_dual_and_b32 v4, 0xffff, v41
	v_cndmask_b32_e32 v0, v0, v33, vcc_lo
	s_delay_alu instid0(VALU_DEP_4) | instskip(NEXT) | instid1(VALU_DEP_3)
	v_cndmask_b32_e64 v2, 0, v2, s2
	v_cvt_f32_u32_e32 v12, v4
	s_delay_alu instid0(VALU_DEP_4) | instskip(NEXT) | instid1(VALU_DEP_4)
	v_cmp_lt_f32_e32 vcc_lo, v1, v17
	v_dual_cndmask_b32 v1, v1, v17 :: v_dual_cndmask_b32 v0, v0, v34
	s_delay_alu instid0(VALU_DEP_1) | instskip(NEXT) | instid1(VALU_DEP_2)
	v_cmp_lt_f32_e32 vcc_lo, v1, v16
	v_dual_cndmask_b32 v1, v1, v16 :: v_dual_cndmask_b32 v0, v0, v35
	s_delay_alu instid0(VALU_DEP_1) | instskip(NEXT) | instid1(VALU_DEP_2)
	v_cmp_lt_f32_e32 vcc_lo, v1, v15
	v_dual_cndmask_b32 v0, v0, v36 :: v_dual_cndmask_b32 v1, v1, v15
	v_cmp_ngt_f32_e32 vcc_lo, 0xc2b17218, v3
	v_lshrrev_b32_e32 v3, 16, v42
	v_cndmask_b32_e32 v2, 0x7f800000, v2, vcc_lo
	s_delay_alu instid0(VALU_DEP_4) | instskip(NEXT) | instid1(VALU_DEP_3)
	v_cmp_lt_f32_e32 vcc_lo, v1, v14
	v_cvt_f32_u32_e32 v8, v3
	s_delay_alu instid0(VALU_DEP_3) | instskip(SKIP_3) | instid1(VALU_DEP_4)
	v_add_f32_e32 v13, 1.0, v2
	v_dual_cndmask_b32 v1, v1, v14 :: v_dual_cndmask_b32 v0, v0, v37
	v_lshrrev_b32_e32 v2, 16, v41
	v_or_b32_e32 v41, 14, v25
	v_div_scale_f32 v44, null, v13, v13, 1.0
	s_delay_alu instid0(VALU_DEP_4) | instskip(NEXT) | instid1(VALU_DEP_4)
	v_cmp_lt_f32_e32 vcc_lo, v1, v12
	v_cvt_f32_u32_e32 v11, v2
	v_and_b32_e32 v2, 0xffff, v42
	s_delay_alu instid0(VALU_DEP_4) | instskip(SKIP_2) | instid1(VALU_DEP_3)
	v_rcp_f32_e32 v45, v44
	v_or_b32_e32 v42, 15, v25
	v_dual_cndmask_b32 v1, v1, v12 :: v_dual_cndmask_b32 v0, v0, v39
	v_cvt_f32_u32_e32 v9, v2
	s_delay_alu instid0(VALU_DEP_2) | instskip(SKIP_4) | instid1(VALU_DEP_3)
	v_cmp_lt_f32_e32 vcc_lo, v1, v11
	s_waitcnt_depctr 0xfff
	v_fma_f32 v2, -v44, v45, 1.0
	v_dual_cndmask_b32 v1, v1, v11 :: v_dual_cndmask_b32 v4, v0, v40
	v_div_scale_f32 v46, vcc_lo, 1.0, v13, 1.0
	v_fmac_f32_e32 v45, v2, v45
	s_delay_alu instid0(VALU_DEP_3) | instskip(SKIP_1) | instid1(VALU_DEP_3)
	v_cmp_lt_f32_e64 s2, v1, v9
	v_mul_lo_u32 v0, v43, s11
	v_mul_f32_e32 v47, v46, v45
	s_delay_alu instid0(VALU_DEP_3) | instskip(SKIP_1) | instid1(VALU_DEP_4)
	v_cndmask_b32_e64 v5, v1, v9, s2
	v_cndmask_b32_e64 v4, v4, v41, s2
	v_add3_u32 v2, v0, s8, v7
	s_delay_alu instid0(VALU_DEP_4) | instskip(NEXT) | instid1(VALU_DEP_4)
	v_fma_f32 v1, -v44, v47, v46
	v_cmp_lt_f32_e64 s2, v5, v8
	s_delay_alu instid0(VALU_DEP_3) | instskip(NEXT) | instid1(VALU_DEP_3)
	v_ashrrev_i32_e32 v3, 31, v2
	v_fmac_f32_e32 v47, v1, v45
	s_delay_alu instid0(VALU_DEP_3)
	v_cndmask_b32_e64 v1, v4, v42, s2
	v_cndmask_b32_e64 v48, v5, v8, s2
	v_cmp_eq_u32_e64 s2, 0, v7
	v_lshlrev_b64 v[4:5], 2, v[2:3]
	v_fma_f32 v2, -v44, v47, v46
	v_mov_b32_dpp v3, v1 quad_perm:[1,0,3,2] row_mask:0xf bank_mask:0xf
	v_mov_b32_dpp v44, v48 quad_perm:[1,0,3,2] row_mask:0xf bank_mask:0xf
	s_delay_alu instid0(VALU_DEP_3) | instskip(NEXT) | instid1(VALU_DEP_3)
	v_div_fmas_f32 v2, v2, v45, v47
	v_cmp_lt_i32_e32 vcc_lo, v3, v1
	s_delay_alu instid0(VALU_DEP_3) | instskip(SKIP_2) | instid1(VALU_DEP_1)
	v_cmp_eq_f32_e64 s4, v48, v44
	v_cmp_lt_f32_e64 s3, v48, v44
	v_add_co_u32 v4, s5, s12, v4
	v_add_co_ci_u32_e64 v5, s5, s13, v5, s5
	s_delay_alu instid0(VALU_DEP_4)
	s_and_b32 s4, s4, vcc_lo
	v_div_fixup_f32 v2, v2, v13, 1.0
	s_or_b32 vcc_lo, s3, s4
	s_cmp_gt_i32 s8, 0
	v_cndmask_b32_e32 v13, v48, v44, vcc_lo
	s_cselect_b32 s3, -1, 0
	s_cmp_lt_i32 s8, 1
	global_store_b32 v[4:5], v2, off
	s_cbranch_scc1 .LBB263_16
; %bb.5:
	s_load_b128 s[4:7], s[0:1], 0x20
	v_mul_lo_u32 v2, v43, s14
	v_mul_lo_u32 v4, v43, s8
	v_cndmask_b32_e32 v44, v1, v3, vcc_lo
	v_mov_b32_e32 v10, 0
	s_and_saveexec_b32 s1, s2
	s_cbranch_execz .LBB263_7
; %bb.6:
	s_delay_alu instid0(VALU_DEP_2) | instskip(SKIP_3) | instid1(VALU_DEP_3)
	v_cmp_le_i32_e32 vcc_lo, s9, v44
	v_cmp_gt_i32_e64 s0, s10, v44
	v_subrev_nc_u32_e32 v51, s9, v44
	v_ashrrev_i32_e32 v5, 31, v4
	s_and_b32 s0, vcc_lo, s0
	s_delay_alu instid0(SALU_CYCLE_1) | instskip(SKIP_1) | instid1(VALU_DEP_2)
	s_and_b32 vcc_lo, s17, s0
	v_sub_f32_e32 v10, v13, v13
	v_lshlrev_b64 v[49:50], 2, v[4:5]
	s_delay_alu instid0(VALU_DEP_2) | instskip(NEXT) | instid1(VALU_DEP_1)
	v_mul_f32_e32 v1, 0x3fb8aa3b, v10
	v_rndne_f32_e32 v47, v1
	v_fma_f32 v3, 0x3fb8aa3b, v10, -v1
	s_delay_alu instid0(VALU_DEP_2) | instskip(NEXT) | instid1(VALU_DEP_2)
	v_sub_f32_e32 v1, v1, v47
	v_fmamk_f32 v3, v10, 0x32a5705f, v3
	s_delay_alu instid0(VALU_DEP_1) | instskip(SKIP_1) | instid1(VALU_DEP_2)
	v_add_f32_e32 v3, v1, v3
	v_ashrrev_i32_e32 v1, 31, v0
	v_exp_f32_e32 v52, v3
	s_delay_alu instid0(VALU_DEP_1) | instskip(SKIP_2) | instid1(VALU_DEP_2)
	v_lshlrev_b64 v[45:46], 2, v[0:1]
	v_ashrrev_i32_e32 v3, 31, v2
	v_cvt_i32_f32_e32 v1, v47
	v_lshlrev_b64 v[47:48], 2, v[2:3]
	v_cndmask_b32_e32 v3, 32, v51, vcc_lo
	v_add_co_u32 v45, vcc_lo, s12, v45
	v_add_co_ci_u32_e32 v46, vcc_lo, s13, v46, vcc_lo
	s_delay_alu instid0(TRANS32_DEP_1) | instskip(SKIP_1) | instid1(VALU_DEP_2)
	v_ldexp_f32 v1, v52, v1
	v_cmp_ngt_f32_e32 vcc_lo, 0xc2ce8ed0, v10
	v_cndmask_b32_e32 v1, 0, v1, vcc_lo
	s_waitcnt lgkmcnt(0)
	v_add_co_u32 v47, vcc_lo, s4, v47
	v_add_co_ci_u32_e32 v48, vcc_lo, s5, v48, vcc_lo
	v_cmp_nlt_f32_e32 vcc_lo, 0x42b17218, v10
	v_cndmask_b32_e32 v10, 0x7f800000, v1, vcc_lo
	v_add_co_u32 v49, vcc_lo, s6, v49
	v_add_co_ci_u32_e32 v50, vcc_lo, s7, v50, vcc_lo
	global_store_b32 v[47:48], v3, off
	global_store_b32 v[45:46], v10, off
	;; [unrolled: 1-line block ×3, first 2 shown]
.LBB263_7:
	s_or_b32 exec_lo, exec_lo, s1
	v_ashrrev_i32_e32 v3, 31, v44
	s_mov_b32 s0, exec_lo
	s_delay_alu instid0(VALU_DEP_1) | instskip(NEXT) | instid1(VALU_DEP_1)
	v_lshrrev_b32_e32 v1, 28, v3
	v_add_nc_u32_e32 v5, v44, v1
	s_delay_alu instid0(VALU_DEP_1) | instskip(SKIP_1) | instid1(VALU_DEP_1)
	v_ashrrev_i32_e32 v1, 4, v5
	v_lshrrev_b32_e32 v5, 31, v5
	v_add_nc_u32_e32 v5, v1, v5
	s_delay_alu instid0(VALU_DEP_1) | instskip(NEXT) | instid1(VALU_DEP_1)
	v_and_b32_e32 v5, -2, v5
	v_sub_nc_u32_e32 v5, v1, v5
	s_delay_alu instid0(VALU_DEP_1)
	v_cmpx_eq_u32_e64 v7, v5
	s_cbranch_execz .LBB263_9
; %bb.8:
	v_lshrrev_b32_e32 v3, 27, v3
	v_lshlrev_b32_e32 v1, 4, v1
	s_delay_alu instid0(VALU_DEP_2) | instskip(NEXT) | instid1(VALU_DEP_2)
	v_add_nc_u32_e32 v3, v44, v3
	v_sub_nc_u32_e32 v1, v44, v1
	s_delay_alu instid0(VALU_DEP_2) | instskip(NEXT) | instid1(VALU_DEP_1)
	v_ashrrev_i32_e32 v3, 5, v3
	v_lshl_add_u32 v1, v3, 4, v1
	s_delay_alu instid0(VALU_DEP_1)
	v_cmp_ne_u32_e32 vcc_lo, 15, v1
	v_cndmask_b32_e32 v8, 0xff800000, v8, vcc_lo
	v_cmp_ne_u32_e32 vcc_lo, 14, v1
	v_cndmask_b32_e32 v9, 0xff800000, v9, vcc_lo
	;; [unrolled: 2-line block ×16, first 2 shown]
.LBB263_9:
	s_or_b32 exec_lo, exec_lo, s0
	s_cmp_eq_u32 s8, 1
	s_cbranch_scc1 .LBB263_16
; %bb.10:
	s_add_i32 s18, s18, s16
	v_add_nc_u32_e32 v1, 1, v4
	v_add3_u32 v38, s18, v38, v6
	v_add_nc_u32_e32 v3, 1, v2
	v_add_nc_u32_e32 v5, 1, v0
	s_add_i32 s11, s8, -1
	s_branch .LBB263_12
.LBB263_11:                             ;   in Loop: Header=BB263_12 Depth=1
	s_or_b32 exec_lo, exec_lo, s0
	v_add_nc_u32_e32 v38, s16, v38
	v_add_nc_u32_e32 v1, 1, v1
	;; [unrolled: 1-line block ×4, first 2 shown]
	s_add_i32 s11, s11, -1
	s_delay_alu instid0(SALU_CYCLE_1)
	s_cmp_eq_u32 s11, 0
	s_cbranch_scc1 .LBB263_16
.LBB263_12:                             ; =>This Inner Loop Header: Depth=1
	v_cmp_gt_f32_e32 vcc_lo, v21, v22
	v_cndmask_b32_e32 v4, v22, v21, vcc_lo
	v_cndmask_b32_e32 v2, v25, v27, vcc_lo
	s_delay_alu instid0(VALU_DEP_2) | instskip(SKIP_1) | instid1(VALU_DEP_3)
	v_cmp_gt_f32_e32 vcc_lo, v26, v4
	v_cndmask_b32_e32 v4, v4, v26, vcc_lo
	v_cndmask_b32_e32 v2, v2, v28, vcc_lo
	s_delay_alu instid0(VALU_DEP_2) | instskip(SKIP_1) | instid1(VALU_DEP_3)
	;; [unrolled: 4-line block ×13, first 2 shown]
	v_cmp_gt_f32_e32 vcc_lo, v9, v4
	v_cndmask_b32_e32 v4, v4, v9, vcc_lo
	v_cndmask_b32_e32 v2, v2, v41, vcc_lo
	s_delay_alu instid0(VALU_DEP_2) | instskip(NEXT) | instid1(VALU_DEP_2)
	v_cmp_gt_f32_e32 vcc_lo, v8, v4
	v_cndmask_b32_e32 v6, v2, v42, vcc_lo
	v_cndmask_b32_e32 v2, v4, v8, vcc_lo
	s_delay_alu instid0(VALU_DEP_2) | instskip(NEXT) | instid1(VALU_DEP_2)
	v_mov_b32_dpp v43, v6 quad_perm:[1,0,3,2] row_mask:0xf bank_mask:0xf
	v_mov_b32_dpp v4, v2 quad_perm:[1,0,3,2] row_mask:0xf bank_mask:0xf
	s_delay_alu instid0(VALU_DEP_2) | instskip(NEXT) | instid1(VALU_DEP_2)
	v_cmp_lt_i32_e32 vcc_lo, v43, v6
	v_cmp_eq_f32_e64 s0, v2, v4
	v_cmp_lt_f32_e64 s1, v2, v4
	s_delay_alu instid0(VALU_DEP_2)
	s_and_b32 s0, s0, vcc_lo
	s_delay_alu instid0(VALU_DEP_1) | instid1(SALU_CYCLE_1)
	s_or_b32 vcc_lo, s1, s0
	v_cndmask_b32_e32 v43, v6, v43, vcc_lo
	s_and_saveexec_b32 s1, s2
	s_cbranch_execz .LBB263_14
; %bb.13:                               ;   in Loop: Header=BB263_12 Depth=1
	v_cndmask_b32_e32 v2, v2, v4, vcc_lo
	s_delay_alu instid0(VALU_DEP_2) | instskip(SKIP_4) | instid1(VALU_DEP_4)
	v_cmp_le_i32_e32 vcc_lo, s9, v43
	v_cmp_gt_i32_e64 s0, s10, v43
	v_ashrrev_i32_e32 v6, 31, v5
	v_subrev_nc_u32_e32 v51, s9, v43
	v_sub_f32_e32 v50, v2, v13
	s_and_b32 s0, vcc_lo, s0
	s_delay_alu instid0(SALU_CYCLE_1) | instskip(NEXT) | instid1(VALU_DEP_1)
	s_and_b32 vcc_lo, s17, s0
	v_mul_f32_e32 v2, 0x3fb8aa3b, v50
	s_delay_alu instid0(VALU_DEP_1) | instskip(SKIP_1) | instid1(VALU_DEP_2)
	v_fma_f32 v4, 0x3fb8aa3b, v50, -v2
	v_rndne_f32_e32 v44, v2
	v_fmac_f32_e32 v4, 0x32a5705f, v50
	s_delay_alu instid0(VALU_DEP_2) | instskip(SKIP_2) | instid1(VALU_DEP_3)
	v_sub_f32_e32 v2, v2, v44
	v_cvt_i32_f32_e32 v49, v44
	v_lshlrev_b64 v[44:45], 2, v[5:6]
	v_add_f32_e32 v2, v2, v4
	v_ashrrev_i32_e32 v4, 31, v3
	s_delay_alu instid0(VALU_DEP_2) | instskip(SKIP_1) | instid1(VALU_DEP_2)
	v_exp_f32_e32 v48, v2
	v_ashrrev_i32_e32 v2, 31, v1
	v_lshlrev_b64 v[46:47], 2, v[3:4]
	s_waitcnt_depctr 0xfff
	v_ldexp_f32 v4, v48, v49
	v_lshlrev_b64 v[48:49], 2, v[1:2]
	v_cndmask_b32_e32 v2, 32, v51, vcc_lo
	v_cmp_ngt_f32_e32 vcc_lo, 0xc2ce8ed0, v50
	s_delay_alu instid0(VALU_DEP_4) | instskip(SKIP_3) | instid1(VALU_DEP_4)
	v_cndmask_b32_e32 v4, 0, v4, vcc_lo
	v_add_co_u32 v44, vcc_lo, s12, v44
	v_add_co_ci_u32_e32 v45, vcc_lo, s13, v45, vcc_lo
	v_cmp_nlt_f32_e32 vcc_lo, 0x42b17218, v50
	v_cndmask_b32_e32 v4, 0x7f800000, v4, vcc_lo
	s_waitcnt lgkmcnt(0)
	v_add_co_u32 v46, vcc_lo, s4, v46
	v_add_co_ci_u32_e32 v47, vcc_lo, s5, v47, vcc_lo
	v_add_co_u32 v48, vcc_lo, s6, v48
	v_add_f32_e32 v10, v10, v4
	v_add_co_ci_u32_e32 v49, vcc_lo, s7, v49, vcc_lo
	global_store_b32 v[44:45], v4, off
	global_store_b32 v[46:47], v2, off
	;; [unrolled: 1-line block ×3, first 2 shown]
.LBB263_14:                             ;   in Loop: Header=BB263_12 Depth=1
	s_or_b32 exec_lo, exec_lo, s1
	s_delay_alu instid0(VALU_DEP_1) | instskip(SKIP_1) | instid1(VALU_DEP_1)
	v_ashrrev_i32_e32 v4, 31, v43
	s_mov_b32 s0, exec_lo
	v_lshrrev_b32_e32 v2, 28, v4
	s_delay_alu instid0(VALU_DEP_1) | instskip(NEXT) | instid1(VALU_DEP_1)
	v_add_nc_u32_e32 v6, v43, v2
	v_ashrrev_i32_e32 v2, 4, v6
	v_lshrrev_b32_e32 v6, 31, v6
	s_delay_alu instid0(VALU_DEP_1) | instskip(NEXT) | instid1(VALU_DEP_1)
	v_add_nc_u32_e32 v6, v2, v6
	v_and_b32_e32 v6, -2, v6
	s_delay_alu instid0(VALU_DEP_1) | instskip(NEXT) | instid1(VALU_DEP_1)
	v_sub_nc_u32_e32 v6, v2, v6
	v_cmpx_eq_u32_e64 v7, v6
	s_cbranch_execz .LBB263_11
; %bb.15:                               ;   in Loop: Header=BB263_12 Depth=1
	v_lshrrev_b32_e32 v4, 27, v4
	v_lshlrev_b32_e32 v2, 4, v2
	s_delay_alu instid0(VALU_DEP_2) | instskip(NEXT) | instid1(VALU_DEP_2)
	v_add_nc_u32_e32 v4, v43, v4
	v_sub_nc_u32_e32 v2, v43, v2
	s_delay_alu instid0(VALU_DEP_2) | instskip(NEXT) | instid1(VALU_DEP_1)
	v_ashrrev_i32_e32 v4, 5, v4
	v_lshl_add_u32 v2, v4, 4, v2
	s_delay_alu instid0(VALU_DEP_1)
	v_cmp_ne_u32_e32 vcc_lo, 15, v2
	v_cndmask_b32_e32 v8, 0xff800000, v8, vcc_lo
	v_cmp_ne_u32_e32 vcc_lo, 14, v2
	v_cndmask_b32_e32 v9, 0xff800000, v9, vcc_lo
	v_cmp_ne_u32_e32 vcc_lo, 13, v2
	v_cndmask_b32_e32 v11, 0xff800000, v11, vcc_lo
	v_cmp_ne_u32_e32 vcc_lo, 12, v2
	v_cndmask_b32_e32 v12, 0xff800000, v12, vcc_lo
	v_cmp_ne_u32_e32 vcc_lo, 11, v2
	v_cndmask_b32_e32 v14, 0xff800000, v14, vcc_lo
	v_cmp_ne_u32_e32 vcc_lo, 10, v2
	v_cndmask_b32_e32 v15, 0xff800000, v15, vcc_lo
	v_cmp_ne_u32_e32 vcc_lo, 9, v2
	v_cndmask_b32_e32 v16, 0xff800000, v16, vcc_lo
	v_cmp_ne_u32_e32 vcc_lo, 8, v2
	v_cndmask_b32_e32 v17, 0xff800000, v17, vcc_lo
	v_cmp_ne_u32_e32 vcc_lo, 7, v2
	v_cndmask_b32_e32 v18, 0xff800000, v18, vcc_lo
	v_cmp_ne_u32_e32 vcc_lo, 6, v2
	v_cndmask_b32_e32 v19, 0xff800000, v19, vcc_lo
	v_cmp_ne_u32_e32 vcc_lo, 5, v2
	v_cndmask_b32_e32 v20, 0xff800000, v20, vcc_lo
	v_cmp_ne_u32_e32 vcc_lo, 4, v2
	v_cndmask_b32_e32 v23, 0xff800000, v23, vcc_lo
	v_cmp_ne_u32_e32 vcc_lo, 3, v2
	v_cndmask_b32_e32 v24, 0xff800000, v24, vcc_lo
	v_cmp_ne_u32_e32 vcc_lo, 2, v2
	v_cndmask_b32_e32 v26, 0xff800000, v26, vcc_lo
	v_cmp_ne_u32_e32 vcc_lo, 1, v2
	v_cndmask_b32_e32 v21, 0xff800000, v21, vcc_lo
	v_cmp_ne_u32_e32 vcc_lo, 0, v2
	v_cndmask_b32_e32 v22, 0xff800000, v22, vcc_lo
	s_branch .LBB263_11
.LBB263_16:
	v_sub_f32_e32 v4, v26, v13
	v_sub_f32_e32 v1, v22, v13
	;; [unrolled: 1-line block ×5, first 2 shown]
	s_delay_alu instid0(VALU_DEP_4)
	v_dual_mul_f32 v26, 0x3fb8aa3b, v4 :: v_dual_mul_f32 v3, 0x3fb8aa3b, v1
	v_sub_f32_e32 v2, v21, v13
	v_sub_f32_e32 v21, v23, v13
	v_cmp_ngt_f32_e32 vcc_lo, 0xc2ce8ed0, v1
	v_sub_f32_e32 v15, v15, v13
	v_rndne_f32_e32 v23, v3
	v_fma_f32 v22, 0x3fb8aa3b, v1, -v3
	v_sub_f32_e32 v11, v11, v13
	v_sub_f32_e32 v9, v9, v13
	s_delay_alu instid0(VALU_DEP_4) | instskip(SKIP_4) | instid1(VALU_DEP_4)
	v_sub_f32_e32 v3, v3, v23
	v_mul_f32_e32 v5, 0x3fb8aa3b, v2
	v_fmac_f32_e32 v22, 0x32a5705f, v1
	v_sub_f32_e32 v6, v24, v13
	v_cvt_i32_f32_e32 v23, v23
	v_fma_f32 v24, 0x3fb8aa3b, v2, -v5
	v_rndne_f32_e32 v25, v5
	s_delay_alu instid0(VALU_DEP_1) | instskip(SKIP_1) | instid1(VALU_DEP_2)
	v_dual_fmac_f32 v24, 0x32a5705f, v2 :: v_dual_sub_f32 v5, v5, v25
	v_cvt_i32_f32_e32 v25, v25
	v_dual_mul_f32 v28, 0x3fb8aa3b, v21 :: v_dual_add_f32 v5, v5, v24
	v_add_f32_e32 v3, v3, v22
	v_fma_f32 v22, 0x3fb8aa3b, v4, -v26
	v_rndne_f32_e32 v24, v26
	v_mul_f32_e32 v27, 0x3fb8aa3b, v6
	v_exp_f32_e32 v5, v5
	v_exp_f32_e32 v3, v3
	v_fmac_f32_e32 v22, 0x32a5705f, v4
	v_sub_f32_e32 v26, v26, v24
	v_fma_f32 v29, 0x3fb8aa3b, v6, -v27
	v_rndne_f32_e32 v30, v27
	v_cvt_i32_f32_e32 v24, v24
	s_delay_alu instid0(TRANS32_DEP_2) | instskip(NEXT) | instid1(TRANS32_DEP_1)
	v_ldexp_f32 v5, v5, v25
	v_ldexp_f32 v3, v3, v23
	s_delay_alu instid0(VALU_DEP_1) | instskip(SKIP_1) | instid1(VALU_DEP_2)
	v_dual_add_f32 v22, v26, v22 :: v_dual_cndmask_b32 v3, 0, v3
	v_cmp_ngt_f32_e32 vcc_lo, 0xc2ce8ed0, v2
	v_exp_f32_e32 v22, v22
	v_cndmask_b32_e32 v5, 0, v5, vcc_lo
	v_cmp_nlt_f32_e32 vcc_lo, 0x42b17218, v1
	v_cndmask_b32_e32 v1, 0x7f800000, v3, vcc_lo
	v_cmp_nlt_f32_e32 vcc_lo, 0x42b17218, v2
	v_sub_f32_e32 v23, v27, v30
	v_fma_f32 v3, 0x3fb8aa3b, v21, -v28
	v_cndmask_b32_e32 v2, 0x7f800000, v5, vcc_lo
	s_delay_alu instid0(TRANS32_DEP_1) | instskip(SKIP_3) | instid1(VALU_DEP_4)
	v_ldexp_f32 v5, v22, v24
	v_cmp_ngt_f32_e32 vcc_lo, 0xc2ce8ed0, v4
	v_fmac_f32_e32 v29, 0x32a5705f, v6
	v_rndne_f32_e32 v22, v28
	v_dual_add_f32 v1, v1, v2 :: v_dual_cndmask_b32 v2, 0, v5
	v_cmp_nlt_f32_e32 vcc_lo, 0x42b17218, v4
	s_delay_alu instid0(VALU_DEP_4) | instskip(SKIP_3) | instid1(VALU_DEP_4)
	v_add_f32_e32 v23, v23, v29
	v_cvt_i32_f32_e32 v5, v30
	v_sub_f32_e32 v24, v28, v22
	v_cndmask_b32_e32 v2, 0x7f800000, v2, vcc_lo
	v_exp_f32_e32 v23, v23
	v_cmp_ngt_f32_e32 vcc_lo, 0xc2ce8ed0, v6
	s_delay_alu instid0(VALU_DEP_2) | instskip(SKIP_3) | instid1(VALU_DEP_2)
	v_add_f32_e32 v1, v1, v2
	s_waitcnt_depctr 0xfff
	v_ldexp_f32 v4, v23, v5
	v_mul_f32_e32 v5, 0x3fb8aa3b, v20
	v_cndmask_b32_e32 v2, 0, v4, vcc_lo
	v_cmp_nlt_f32_e32 vcc_lo, 0x42b17218, v6
	v_cvt_i32_f32_e32 v6, v22
	v_mul_f32_e32 v22, 0x3fb8aa3b, v19
	v_fma_f32 v4, 0x3fb8aa3b, v20, -v5
	v_fmac_f32_e32 v3, 0x32a5705f, v21
	v_cndmask_b32_e32 v2, 0x7f800000, v2, vcc_lo
	v_rndne_f32_e32 v23, v5
	v_cmp_ngt_f32_e32 vcc_lo, 0xc2ce8ed0, v21
	s_delay_alu instid0(VALU_DEP_4) | instskip(NEXT) | instid1(VALU_DEP_4)
	v_dual_fmac_f32 v4, 0x32a5705f, v20 :: v_dual_add_f32 v3, v24, v3
	v_add_f32_e32 v1, v1, v2
	s_delay_alu instid0(VALU_DEP_4) | instskip(NEXT) | instid1(VALU_DEP_3)
	v_sub_f32_e32 v5, v5, v23
	v_exp_f32_e32 v3, v3
	s_waitcnt_depctr 0xfff
	v_ldexp_f32 v2, v3, v6
	s_delay_alu instid0(VALU_DEP_1)
	v_cndmask_b32_e32 v2, 0, v2, vcc_lo
	v_cmp_nlt_f32_e32 vcc_lo, 0x42b17218, v21
	v_add_f32_e32 v3, v5, v4
	v_fma_f32 v4, 0x3fb8aa3b, v19, -v22
	v_rndne_f32_e32 v5, v22
	v_cvt_i32_f32_e32 v21, v23
	v_cndmask_b32_e32 v2, 0x7f800000, v2, vcc_lo
	v_exp_f32_e32 v3, v3
	v_fmac_f32_e32 v4, 0x32a5705f, v19
	v_sub_f32_e32 v6, v22, v5
	v_cmp_ngt_f32_e32 vcc_lo, 0xc2ce8ed0, v20
	v_add_f32_e32 v1, v1, v2
	v_cvt_i32_f32_e32 v5, v5
	s_delay_alu instid0(VALU_DEP_4) | instskip(SKIP_1) | instid1(TRANS32_DEP_1)
	v_add_f32_e32 v4, v6, v4
	v_mul_f32_e32 v6, 0x3fb8aa3b, v18
	v_ldexp_f32 v2, v3, v21
	s_delay_alu instid0(VALU_DEP_3)
	v_exp_f32_e32 v3, v4
	s_waitcnt_depctr 0xfff
	v_ldexp_f32 v3, v3, v5
	v_dual_sub_f32 v5, v17, v13 :: v_dual_cndmask_b32 v2, 0, v2
	v_cmp_nlt_f32_e32 vcc_lo, 0x42b17218, v20
	v_fma_f32 v4, 0x3fb8aa3b, v18, -v6
	v_rndne_f32_e32 v21, v6
	s_delay_alu instid0(VALU_DEP_4) | instskip(SKIP_1) | instid1(VALU_DEP_4)
	v_cndmask_b32_e32 v2, 0x7f800000, v2, vcc_lo
	v_cmp_ngt_f32_e32 vcc_lo, 0xc2ce8ed0, v19
	v_fmac_f32_e32 v4, 0x32a5705f, v18
	s_delay_alu instid0(VALU_DEP_3) | instskip(SKIP_2) | instid1(VALU_DEP_2)
	v_dual_sub_f32 v6, v6, v21 :: v_dual_add_f32 v1, v1, v2
	v_cndmask_b32_e32 v2, 0, v3, vcc_lo
	v_cmp_nlt_f32_e32 vcc_lo, 0x42b17218, v19
	v_cndmask_b32_e32 v2, 0x7f800000, v2, vcc_lo
	s_delay_alu instid0(VALU_DEP_4)
	v_add_f32_e32 v4, v6, v4
	v_sub_f32_e32 v6, v16, v13
	v_cvt_i32_f32_e32 v16, v21
	v_cmp_ngt_f32_e32 vcc_lo, 0xc2ce8ed0, v18
	v_add_f32_e32 v1, v1, v2
	v_exp_f32_e32 v3, v4
	v_mul_f32_e32 v20, 0x3fb8aa3b, v6
	s_waitcnt_depctr 0xfff
	v_ldexp_f32 v2, v3, v16
	v_rndne_f32_e32 v16, v20
	v_mul_f32_e32 v4, 0x3fb8aa3b, v5
	s_delay_alu instid0(VALU_DEP_3) | instskip(SKIP_1) | instid1(VALU_DEP_3)
	v_cndmask_b32_e32 v2, 0, v2, vcc_lo
	v_cmp_nlt_f32_e32 vcc_lo, 0x42b17218, v18
	v_fma_f32 v17, 0x3fb8aa3b, v5, -v4
	v_rndne_f32_e32 v19, v4
	s_delay_alu instid0(VALU_DEP_4) | instskip(NEXT) | instid1(VALU_DEP_3)
	v_cndmask_b32_e32 v2, 0x7f800000, v2, vcc_lo
	v_fmac_f32_e32 v17, 0x32a5705f, v5
	s_delay_alu instid0(VALU_DEP_3) | instskip(SKIP_1) | instid1(VALU_DEP_4)
	v_sub_f32_e32 v3, v4, v19
	v_fma_f32 v4, 0x3fb8aa3b, v6, -v20
	v_dual_sub_f32 v14, v14, v13 :: v_dual_add_f32 v1, v1, v2
	v_cvt_i32_f32_e32 v19, v19
	s_delay_alu instid0(VALU_DEP_3) | instskip(SKIP_1) | instid1(VALU_DEP_4)
	v_dual_add_f32 v3, v3, v17 :: v_dual_fmac_f32 v4, 0x32a5705f, v6
	v_dual_sub_f32 v17, v20, v16 :: v_dual_mul_f32 v20, 0x3fb8aa3b, v15
	v_mul_f32_e32 v21, 0x3fb8aa3b, v14
	s_delay_alu instid0(VALU_DEP_3) | instskip(SKIP_1) | instid1(VALU_DEP_3)
	v_exp_f32_e32 v3, v3
	v_cmp_ngt_f32_e32 vcc_lo, 0xc2ce8ed0, v5
	v_add_f32_e32 v4, v17, v4
	v_fma_f32 v17, 0x3fb8aa3b, v15, -v20
	v_rndne_f32_e32 v18, v20
	s_delay_alu instid0(VALU_DEP_1) | instskip(SKIP_4) | instid1(VALU_DEP_3)
	v_dual_fmac_f32 v17, 0x32a5705f, v15 :: v_dual_sub_f32 v20, v20, v18
	s_waitcnt_depctr 0xfff
	v_ldexp_f32 v2, v3, v19
	v_cvt_i32_f32_e32 v3, v16
	v_rndne_f32_e32 v19, v21
	v_cndmask_b32_e32 v2, 0, v2, vcc_lo
	v_cmp_nlt_f32_e32 vcc_lo, 0x42b17218, v5
	v_cvt_i32_f32_e32 v5, v18
	s_delay_alu instid0(VALU_DEP_3) | instskip(SKIP_3) | instid1(VALU_DEP_4)
	v_cndmask_b32_e32 v2, 0x7f800000, v2, vcc_lo
	v_add_f32_e32 v16, v20, v17
	v_fma_f32 v17, 0x3fb8aa3b, v14, -v21
	v_cmp_ngt_f32_e32 vcc_lo, 0xc2ce8ed0, v6
	v_add_f32_e32 v1, v1, v2
	s_delay_alu instid0(VALU_DEP_3)
	v_fmac_f32_e32 v17, 0x32a5705f, v14
	v_exp_f32_e32 v4, v4
	s_waitcnt_depctr 0xfff
	v_ldexp_f32 v3, v4, v3
	v_exp_f32_e32 v4, v16
	v_sub_f32_e32 v16, v21, v19
	s_delay_alu instid0(VALU_DEP_2)
	v_cndmask_b32_e32 v3, 0, v3, vcc_lo
	v_cmp_nlt_f32_e32 vcc_lo, 0x42b17218, v6
	s_waitcnt_depctr 0xfff
	v_ldexp_f32 v2, v4, v5
	v_cndmask_b32_e32 v3, 0x7f800000, v3, vcc_lo
	v_cmp_ngt_f32_e32 vcc_lo, 0xc2ce8ed0, v15
	v_sub_f32_e32 v5, v12, v13
	s_delay_alu instid0(VALU_DEP_3) | instskip(SKIP_2) | instid1(VALU_DEP_4)
	v_dual_add_f32 v1, v1, v3 :: v_dual_cndmask_b32 v2, 0, v2
	v_cmp_nlt_f32_e32 vcc_lo, 0x42b17218, v15
	v_cvt_i32_f32_e32 v3, v19
	v_mul_f32_e32 v6, 0x3fb8aa3b, v5
	s_delay_alu instid0(VALU_DEP_4) | instskip(SKIP_2) | instid1(VALU_DEP_3)
	v_cndmask_b32_e32 v2, 0x7f800000, v2, vcc_lo
	v_add_f32_e32 v16, v16, v17
	v_cmp_ngt_f32_e32 vcc_lo, 0xc2ce8ed0, v14
	v_add_f32_e32 v1, v1, v2
	s_delay_alu instid0(VALU_DEP_3) | instskip(SKIP_1) | instid1(VALU_DEP_1)
	v_exp_f32_e32 v4, v16
	v_fma_f32 v2, 0x3fb8aa3b, v5, -v6
	v_fmac_f32_e32 v2, 0x32a5705f, v5
	s_waitcnt_depctr 0xfff
	v_ldexp_f32 v3, v4, v3
	v_rndne_f32_e32 v4, v6
	s_delay_alu instid0(VALU_DEP_2) | instskip(SKIP_1) | instid1(VALU_DEP_3)
	v_cndmask_b32_e32 v3, 0, v3, vcc_lo
	v_cmp_nlt_f32_e32 vcc_lo, 0x42b17218, v14
	v_sub_f32_e32 v6, v6, v4
	v_cvt_i32_f32_e32 v4, v4
	v_mul_f32_e32 v14, 0x3fb8aa3b, v9
	s_delay_alu instid0(VALU_DEP_3) | instskip(SKIP_1) | instid1(VALU_DEP_3)
	v_dual_cndmask_b32 v3, 0x7f800000, v3 :: v_dual_add_f32 v2, v6, v2
	v_cmp_ngt_f32_e32 vcc_lo, 0xc2ce8ed0, v5
	v_rndne_f32_e32 v15, v14
	s_delay_alu instid0(VALU_DEP_3) | instskip(NEXT) | instid1(VALU_DEP_4)
	v_add_f32_e32 v1, v1, v3
	v_exp_f32_e32 v2, v2
	s_waitcnt_depctr 0xfff
	v_ldexp_f32 v2, v2, v4
	s_delay_alu instid0(VALU_DEP_1) | instskip(SKIP_2) | instid1(VALU_DEP_3)
	v_cndmask_b32_e32 v2, 0, v2, vcc_lo
	v_cmp_nlt_f32_e32 vcc_lo, 0x42b17218, v5
	v_cvt_i32_f32_e32 v5, v15
	v_cndmask_b32_e32 v2, 0x7f800000, v2, vcc_lo
	v_mul_f32_e32 v12, 0x3fb8aa3b, v11
	v_cmp_ngt_f32_e32 vcc_lo, 0xc2ce8ed0, v11
	s_delay_alu instid0(VALU_DEP_3) | instskip(NEXT) | instid1(VALU_DEP_3)
	v_add_f32_e32 v1, v1, v2
	v_fma_f32 v3, 0x3fb8aa3b, v11, -v12
	v_rndne_f32_e32 v6, v12
	s_delay_alu instid0(VALU_DEP_1) | instskip(SKIP_1) | instid1(VALU_DEP_2)
	v_dual_fmac_f32 v3, 0x32a5705f, v11 :: v_dual_sub_f32 v12, v12, v6
	v_cvt_i32_f32_e32 v6, v6
	v_add_f32_e32 v3, v12, v3
	v_sub_f32_e32 v12, v14, v15
	s_delay_alu instid0(VALU_DEP_2) | instskip(SKIP_2) | instid1(VALU_DEP_1)
	v_exp_f32_e32 v3, v3
	s_waitcnt_depctr 0xfff
	v_ldexp_f32 v3, v3, v6
	v_cndmask_b32_e32 v3, 0, v3, vcc_lo
	v_cmp_nlt_f32_e32 vcc_lo, 0x42b17218, v11
	s_delay_alu instid0(VALU_DEP_2) | instskip(SKIP_1) | instid1(VALU_DEP_2)
	v_cndmask_b32_e32 v3, 0x7f800000, v3, vcc_lo
	v_cmp_ngt_f32_e32 vcc_lo, 0xc2ce8ed0, v9
	v_dual_add_f32 v1, v1, v3 :: v_dual_sub_f32 v8, v8, v13
	v_fma_f32 v13, 0x3fb8aa3b, v9, -v14
	s_delay_alu instid0(VALU_DEP_1) | instskip(NEXT) | instid1(VALU_DEP_1)
	v_fmac_f32_e32 v13, 0x32a5705f, v9
	v_add_f32_e32 v4, v12, v13
	s_delay_alu instid0(VALU_DEP_1) | instskip(SKIP_2) | instid1(VALU_DEP_1)
	v_exp_f32_e32 v4, v4
	s_waitcnt_depctr 0xfff
	v_ldexp_f32 v2, v4, v5
	v_cndmask_b32_e32 v2, 0, v2, vcc_lo
	v_cmp_nlt_f32_e32 vcc_lo, 0x42b17218, v9
	s_delay_alu instid0(VALU_DEP_2) | instskip(NEXT) | instid1(VALU_DEP_1)
	v_cndmask_b32_e32 v2, 0x7f800000, v2, vcc_lo
	v_dual_add_f32 v1, v1, v2 :: v_dual_mul_f32 v16, 0x3fb8aa3b, v8
	v_cmp_ngt_f32_e32 vcc_lo, 0xc2ce8ed0, v8
	s_delay_alu instid0(VALU_DEP_2) | instskip(SKIP_1) | instid1(VALU_DEP_2)
	v_fma_f32 v14, 0x3fb8aa3b, v8, -v16
	v_rndne_f32_e32 v17, v16
	v_fmac_f32_e32 v14, 0x32a5705f, v8
	s_delay_alu instid0(VALU_DEP_2) | instskip(SKIP_1) | instid1(VALU_DEP_2)
	v_sub_f32_e32 v12, v16, v17
	v_cvt_i32_f32_e32 v4, v17
	v_add_f32_e32 v12, v12, v14
	s_delay_alu instid0(VALU_DEP_1) | instskip(SKIP_2) | instid1(VALU_DEP_1)
	v_exp_f32_e32 v6, v12
	s_waitcnt_depctr 0xfff
	v_ldexp_f32 v4, v6, v4
	v_cndmask_b32_e32 v3, 0, v4, vcc_lo
	v_cmp_nlt_f32_e32 vcc_lo, 0x42b17218, v8
	s_delay_alu instid0(VALU_DEP_2) | instskip(SKIP_1) | instid1(VALU_DEP_2)
	v_cndmask_b32_e32 v2, 0x7f800000, v3, vcc_lo
	v_cmp_eq_u32_e32 vcc_lo, 0, v7
	v_add_f32_e32 v1, v1, v2
	s_delay_alu instid0(VALU_DEP_1)
	v_mov_b32_dpp v2, v1 quad_perm:[1,0,3,2] row_mask:0xf bank_mask:0xf
	s_and_b32 exec_lo, exec_lo, vcc_lo
	s_cbranch_execz .LBB263_21
; %bb.17:
	s_delay_alu instid0(VALU_DEP_1) | instskip(NEXT) | instid1(VALU_DEP_1)
	v_add_f32_e32 v1, v1, v2
	v_add_f32_e32 v2, v10, v1
	s_delay_alu instid0(VALU_DEP_1)
	v_cmp_neq_f32_e32 vcc_lo, 0, v2
	s_and_b32 exec_lo, exec_lo, vcc_lo
	s_cbranch_execz .LBB263_21
; %bb.18:
	s_and_not1_b32 vcc_lo, exec_lo, s3
	s_cbranch_vccnz .LBB263_21
; %bb.19:
	v_div_scale_f32 v1, null, v2, v2, 1.0
	v_div_scale_f32 v5, vcc_lo, 1.0, v2, 1.0
	s_delay_alu instid0(VALU_DEP_2) | instskip(SKIP_2) | instid1(VALU_DEP_1)
	v_rcp_f32_e32 v3, v1
	s_waitcnt_depctr 0xfff
	v_fma_f32 v4, -v1, v3, 1.0
	v_fmac_f32_e32 v3, v4, v3
	s_delay_alu instid0(VALU_DEP_1) | instskip(NEXT) | instid1(VALU_DEP_1)
	v_mul_f32_e32 v4, v5, v3
	v_fma_f32 v6, -v1, v4, v5
	s_delay_alu instid0(VALU_DEP_1) | instskip(NEXT) | instid1(VALU_DEP_1)
	v_fmac_f32_e32 v4, v6, v3
	v_fma_f32 v5, -v1, v4, v5
	v_ashrrev_i32_e32 v1, 31, v0
	s_delay_alu instid0(VALU_DEP_2) | instskip(NEXT) | instid1(VALU_DEP_2)
	v_div_fmas_f32 v3, v5, v3, v4
	v_lshlrev_b64 v[0:1], 2, v[0:1]
	s_delay_alu instid0(VALU_DEP_2) | instskip(NEXT) | instid1(VALU_DEP_2)
	v_div_fixup_f32 v2, v3, v2, 1.0
	v_add_co_u32 v0, vcc_lo, s12, v0
	s_delay_alu instid0(VALU_DEP_3)
	v_add_co_ci_u32_e32 v1, vcc_lo, s13, v1, vcc_lo
.LBB263_20:                             ; =>This Inner Loop Header: Depth=1
	global_load_b32 v3, v[0:1], off
	s_add_i32 s8, s8, -1
	s_delay_alu instid0(SALU_CYCLE_1)
	s_cmp_lg_u32 s8, 0
	s_waitcnt vmcnt(0)
	v_mul_f32_e32 v3, v2, v3
	global_store_b32 v[0:1], v3, off
	v_add_co_u32 v0, vcc_lo, v0, 4
	v_add_co_ci_u32_e32 v1, vcc_lo, 0, v1, vcc_lo
	s_cbranch_scc1 .LBB263_20
.LBB263_21:
	s_nop 0
	s_sendmsg sendmsg(MSG_DEALLOC_VGPRS)
	s_endpgm
	.section	.rodata,"a",@progbits
	.p2align	6, 0x0
	.amdhsa_kernel _ZN4vllm3moe17topkGatingSoftmaxItLi16ELi32ELi8ELi32ELb0ELi2ELNS0_23SharedExpertScoringFuncE1EEEvPKT_PKbPfiPiS9_iiiiii
		.amdhsa_group_segment_fixed_size 0
		.amdhsa_private_segment_fixed_size 0
		.amdhsa_kernarg_size 72
		.amdhsa_user_sgpr_count 15
		.amdhsa_user_sgpr_dispatch_ptr 0
		.amdhsa_user_sgpr_queue_ptr 0
		.amdhsa_user_sgpr_kernarg_segment_ptr 1
		.amdhsa_user_sgpr_dispatch_id 0
		.amdhsa_user_sgpr_private_segment_size 0
		.amdhsa_wavefront_size32 1
		.amdhsa_uses_dynamic_stack 0
		.amdhsa_enable_private_segment 0
		.amdhsa_system_sgpr_workgroup_id_x 1
		.amdhsa_system_sgpr_workgroup_id_y 0
		.amdhsa_system_sgpr_workgroup_id_z 0
		.amdhsa_system_sgpr_workgroup_info 0
		.amdhsa_system_vgpr_workitem_id 1
		.amdhsa_next_free_vgpr 53
		.amdhsa_next_free_sgpr 19
		.amdhsa_reserve_vcc 1
		.amdhsa_float_round_mode_32 0
		.amdhsa_float_round_mode_16_64 0
		.amdhsa_float_denorm_mode_32 3
		.amdhsa_float_denorm_mode_16_64 3
		.amdhsa_dx10_clamp 1
		.amdhsa_ieee_mode 1
		.amdhsa_fp16_overflow 0
		.amdhsa_workgroup_processor_mode 1
		.amdhsa_memory_ordered 1
		.amdhsa_forward_progress 0
		.amdhsa_shared_vgpr_count 0
		.amdhsa_exception_fp_ieee_invalid_op 0
		.amdhsa_exception_fp_denorm_src 0
		.amdhsa_exception_fp_ieee_div_zero 0
		.amdhsa_exception_fp_ieee_overflow 0
		.amdhsa_exception_fp_ieee_underflow 0
		.amdhsa_exception_fp_ieee_inexact 0
		.amdhsa_exception_int_div_zero 0
	.end_amdhsa_kernel
	.section	.text._ZN4vllm3moe17topkGatingSoftmaxItLi16ELi32ELi8ELi32ELb0ELi2ELNS0_23SharedExpertScoringFuncE1EEEvPKT_PKbPfiPiS9_iiiiii,"axG",@progbits,_ZN4vllm3moe17topkGatingSoftmaxItLi16ELi32ELi8ELi32ELb0ELi2ELNS0_23SharedExpertScoringFuncE1EEEvPKT_PKbPfiPiS9_iiiiii,comdat
.Lfunc_end263:
	.size	_ZN4vllm3moe17topkGatingSoftmaxItLi16ELi32ELi8ELi32ELb0ELi2ELNS0_23SharedExpertScoringFuncE1EEEvPKT_PKbPfiPiS9_iiiiii, .Lfunc_end263-_ZN4vllm3moe17topkGatingSoftmaxItLi16ELi32ELi8ELi32ELb0ELi2ELNS0_23SharedExpertScoringFuncE1EEEvPKT_PKbPfiPiS9_iiiiii
                                        ; -- End function
	.section	.AMDGPU.csdata,"",@progbits
; Kernel info:
; codeLenInByte = 4612
; NumSgprs: 21
; NumVgprs: 53
; ScratchSize: 0
; MemoryBound: 0
; FloatMode: 240
; IeeeMode: 1
; LDSByteSize: 0 bytes/workgroup (compile time only)
; SGPRBlocks: 2
; VGPRBlocks: 6
; NumSGPRsForWavesPerEU: 21
; NumVGPRsForWavesPerEU: 53
; Occupancy: 16
; WaveLimiterHint : 0
; COMPUTE_PGM_RSRC2:SCRATCH_EN: 0
; COMPUTE_PGM_RSRC2:USER_SGPR: 15
; COMPUTE_PGM_RSRC2:TRAP_HANDLER: 0
; COMPUTE_PGM_RSRC2:TGID_X_EN: 1
; COMPUTE_PGM_RSRC2:TGID_Y_EN: 0
; COMPUTE_PGM_RSRC2:TGID_Z_EN: 0
; COMPUTE_PGM_RSRC2:TIDIG_COMP_CNT: 1
	.section	.text._ZN4vllm3moe17topkGatingSoftmaxItLi16ELi32ELi8ELi32ELb1ELi4ELNS0_23SharedExpertScoringFuncE1EEEvPKT_PKbPfiPiS9_iiiiii,"axG",@progbits,_ZN4vllm3moe17topkGatingSoftmaxItLi16ELi32ELi8ELi32ELb1ELi4ELNS0_23SharedExpertScoringFuncE1EEEvPKT_PKbPfiPiS9_iiiiii,comdat
	.protected	_ZN4vllm3moe17topkGatingSoftmaxItLi16ELi32ELi8ELi32ELb1ELi4ELNS0_23SharedExpertScoringFuncE1EEEvPKT_PKbPfiPiS9_iiiiii ; -- Begin function _ZN4vllm3moe17topkGatingSoftmaxItLi16ELi32ELi8ELi32ELb1ELi4ELNS0_23SharedExpertScoringFuncE1EEEvPKT_PKbPfiPiS9_iiiiii
	.globl	_ZN4vllm3moe17topkGatingSoftmaxItLi16ELi32ELi8ELi32ELb1ELi4ELNS0_23SharedExpertScoringFuncE1EEEvPKT_PKbPfiPiS9_iiiiii
	.p2align	8
	.type	_ZN4vllm3moe17topkGatingSoftmaxItLi16ELi32ELi8ELi32ELb1ELi4ELNS0_23SharedExpertScoringFuncE1EEEvPKT_PKbPfiPiS9_iiiiii,@function
_ZN4vllm3moe17topkGatingSoftmaxItLi16ELi32ELi8ELi32ELb1ELi4ELNS0_23SharedExpertScoringFuncE1EEEvPKT_PKbPfiPiS9_iiiiii: ; @_ZN4vllm3moe17topkGatingSoftmaxItLi16ELi32ELi8ELi32ELb1ELi4ELNS0_23SharedExpertScoringFuncE1EEEvPKT_PKbPfiPiS9_iiiiii
; %bb.0:
	s_load_b32 s3, s[0:1], 0x18
	v_bfe_u32 v1, v0, 10, 10
	v_and_b32_e32 v0, 0x3ff, v0
	s_lshl_b32 s17, s15, 7
	s_mov_b32 s2, exec_lo
	s_delay_alu instid0(VALU_DEP_2) | instskip(NEXT) | instid1(VALU_DEP_2)
	v_lshlrev_b32_e32 v23, 4, v1
	v_lshrrev_b32_e32 v25, 1, v0
	s_delay_alu instid0(VALU_DEP_1) | instskip(SKIP_1) | instid1(VALU_DEP_1)
	v_add3_u32 v45, s17, v23, v25
	s_waitcnt lgkmcnt(0)
	v_cmpx_gt_i32_e64 s3, v45
	s_cbranch_execz .LBB264_23
; %bb.1:
	s_clause 0x1
	s_load_b128 s[8:11], s[0:1], 0x0
	s_load_b64 s[12:13], s[0:1], 0x10
	s_waitcnt lgkmcnt(0)
	s_cmp_eq_u64 s[10:11], 0
	s_cbranch_scc1 .LBB264_3
; %bb.2:
	v_ashrrev_i32_e32 v2, 31, v45
	v_add_co_u32 v1, vcc_lo, s10, v45
	s_delay_alu instid0(VALU_DEP_2) | instskip(SKIP_3) | instid1(VALU_DEP_1)
	v_add_co_ci_u32_e32 v2, vcc_lo, s11, v2, vcc_lo
	global_load_u8 v1, v[1:2], off
	s_waitcnt vmcnt(0)
	v_and_b32_e32 v1, 1, v1
	v_cmp_eq_u32_e32 vcc_lo, 1, v1
	s_xor_b32 s2, vcc_lo, -1
	s_delay_alu instid0(SALU_CYCLE_1)
	s_or_not1_b32 s16, s2, exec_lo
	s_branch .LBB264_4
.LBB264_3:
	s_mov_b32 s16, -1
.LBB264_4:
	s_clause 0x1
	s_load_b64 s[14:15], s[0:1], 0x40
	s_load_b128 s[4:7], s[0:1], 0x30
	v_and_b32_e32 v11, 1, v0
	s_delay_alu instid0(VALU_DEP_1)
	v_lshlrev_b32_e32 v0, 5, v11
	v_lshlrev_b32_e32 v12, 1, v11
	v_mov_b32_e32 v14, v11
	s_waitcnt lgkmcnt(0)
	v_mul_lo_u32 v1, v45, s15
	v_mul_lo_u32 v8, v45, s7
	s_mov_b32 s7, 0
	s_delay_alu instid0(VALU_DEP_2) | instskip(NEXT) | instid1(VALU_DEP_2)
	v_ashrrev_i32_e32 v2, 31, v1
	v_add_nc_u32_e32 v13, s4, v8
	s_delay_alu instid0(VALU_DEP_2) | instskip(NEXT) | instid1(VALU_DEP_1)
	v_lshlrev_b64 v[9:10], 1, v[1:2]
	v_add_co_u32 v1, vcc_lo, s8, v9
	s_delay_alu instid0(VALU_DEP_2) | instskip(NEXT) | instid1(VALU_DEP_2)
	v_add_co_ci_u32_e32 v2, vcc_lo, s9, v10, vcc_lo
	v_add_co_u32 v4, vcc_lo, v1, v0
	s_delay_alu instid0(VALU_DEP_2)
	v_add_co_ci_u32_e32 v5, vcc_lo, 0, v2, vcc_lo
	v_add_co_u32 v9, vcc_lo, v9, v12
	v_add_co_ci_u32_e32 v10, vcc_lo, 0, v10, vcc_lo
	s_clause 0x1
	global_load_b128 v[0:3], v[4:5], off offset:16
	global_load_b128 v[4:7], v[4:5], off
	v_add_co_u32 v9, vcc_lo, v9, s8
	v_add_co_ci_u32_e32 v10, vcc_lo, s9, v10, vcc_lo
	v_lshlrev_b32_e32 v12, 4, v11
	s_delay_alu instid0(VALU_DEP_3) | instskip(NEXT) | instid1(VALU_DEP_3)
	v_add_co_u32 v9, vcc_lo, v9, 64
	v_add_co_ci_u32_e32 v10, vcc_lo, 0, v10, vcc_lo
.LBB264_5:                              ; =>This Inner Loop Header: Depth=1
	global_load_u16 v15, v[9:10], off
	v_add_co_u32 v9, s2, v9, 4
	s_delay_alu instid0(VALU_DEP_1) | instskip(SKIP_2) | instid1(VALU_DEP_2)
	v_add_co_ci_u32_e64 v10, s2, 0, v10, s2
	v_cmp_lt_u32_e64 s2, 1, v14
	v_add_nc_u32_e32 v22, 2, v14
	s_or_b32 s7, s2, s7
	s_waitcnt vmcnt(0)
	v_cvt_f32_u32_e32 v15, v15
	s_delay_alu instid0(VALU_DEP_1) | instskip(SKIP_1) | instid1(VALU_DEP_2)
	v_mul_f32_e32 v16, 0xbfb8aa3b, v15
	v_cmp_nlt_f32_e32 vcc_lo, 0x42ce8ed0, v15
	v_rndne_f32_e32 v17, v16
	v_fma_f32 v18, 0xbfb8aa3b, v15, -v16
	s_delay_alu instid0(VALU_DEP_2) | instskip(NEXT) | instid1(VALU_DEP_2)
	v_sub_f32_e32 v16, v16, v17
	v_fmac_f32_e32 v18, 0xb2a5705f, v15
	v_cvt_i32_f32_e32 v17, v17
	s_delay_alu instid0(VALU_DEP_2) | instskip(NEXT) | instid1(VALU_DEP_1)
	v_add_f32_e32 v16, v16, v18
	v_exp_f32_e32 v16, v16
	s_waitcnt_depctr 0xfff
	v_ldexp_f32 v16, v16, v17
	s_delay_alu instid0(VALU_DEP_1) | instskip(SKIP_1) | instid1(VALU_DEP_2)
	v_cndmask_b32_e32 v16, 0, v16, vcc_lo
	v_cmp_ngt_f32_e32 vcc_lo, 0xc2b17218, v15
	v_cndmask_b32_e32 v15, 0x7f800000, v16, vcc_lo
	s_delay_alu instid0(VALU_DEP_1) | instskip(NEXT) | instid1(VALU_DEP_1)
	v_add_f32_e32 v18, 1.0, v15
	v_div_scale_f32 v17, null, v18, v18, 1.0
	v_div_scale_f32 v20, vcc_lo, 1.0, v18, 1.0
	s_delay_alu instid0(VALU_DEP_2) | instskip(SKIP_2) | instid1(VALU_DEP_1)
	v_rcp_f32_e32 v19, v17
	s_waitcnt_depctr 0xfff
	v_fma_f32 v15, -v17, v19, 1.0
	v_fmac_f32_e32 v19, v15, v19
	v_add_nc_u32_e32 v15, v13, v14
	s_delay_alu instid0(VALU_DEP_2) | instskip(NEXT) | instid1(VALU_DEP_1)
	v_mul_f32_e32 v21, v20, v19
	v_fma_f32 v16, -v17, v21, v20
	s_delay_alu instid0(VALU_DEP_1) | instskip(NEXT) | instid1(VALU_DEP_4)
	v_fmac_f32_e32 v21, v16, v19
	v_ashrrev_i32_e32 v16, 31, v15
	s_delay_alu instid0(VALU_DEP_2) | instskip(NEXT) | instid1(VALU_DEP_2)
	v_fma_f32 v17, -v17, v21, v20
	v_lshlrev_b64 v[14:15], 2, v[15:16]
	s_delay_alu instid0(VALU_DEP_2) | instskip(NEXT) | instid1(VALU_DEP_2)
	v_div_fmas_f32 v19, v17, v19, v21
	v_add_co_u32 v16, vcc_lo, s12, v14
	v_mov_b32_e32 v14, v22
	s_delay_alu instid0(VALU_DEP_4) | instskip(NEXT) | instid1(VALU_DEP_4)
	v_add_co_ci_u32_e32 v17, vcc_lo, s13, v15, vcc_lo
	v_div_fixup_f32 v15, v19, v18, 1.0
	global_store_b32 v[16:17], v15, off
	s_and_not1_b32 exec_lo, exec_lo, s7
	s_cbranch_execnz .LBB264_5
; %bb.6:
	s_or_b32 exec_lo, exec_lo, s7
	v_lshrrev_b32_e32 v9, 16, v4
	v_or_b32_e32 v14, 1, v12
	v_or_b32_e32 v16, 2, v12
	;; [unrolled: 1-line block ×4, first 2 shown]
	v_cvt_f32_u32_e32 v10, v9
	v_and_b32_e32 v4, 0xffff, v4
	v_or_b32_e32 v26, 7, v12
	v_or_b32_e32 v30, 9, v12
	;; [unrolled: 1-line block ×4, first 2 shown]
	v_cvt_f32_u32_e32 v13, v4
	v_or_b32_e32 v34, 11, v12
	v_or_b32_e32 v36, 12, v12
	;; [unrolled: 1-line block ×4, first 2 shown]
	v_cmp_lt_f32_e32 vcc_lo, v13, v10
	v_or_b32_e32 v42, 15, v12
	s_cmp_gt_i32 s4, 0
	v_cmp_eq_u32_e64 s2, 0, v11
	s_cselect_b32 s7, -1, 0
	v_dual_cndmask_b32 v9, v13, v10 :: v_dual_and_b32 v4, 0xffff, v5
	v_lshrrev_b32_e32 v5, 16, v5
	s_delay_alu instid0(VALU_DEP_2) | instskip(NEXT) | instid1(VALU_DEP_2)
	v_cvt_f32_u32_e32 v15, v4
	v_cvt_f32_u32_e32 v17, v5
	v_cndmask_b32_e32 v4, v12, v14, vcc_lo
	s_delay_alu instid0(VALU_DEP_3) | instskip(NEXT) | instid1(VALU_DEP_2)
	v_cmp_lt_f32_e32 vcc_lo, v9, v15
	v_dual_cndmask_b32 v5, v9, v15 :: v_dual_cndmask_b32 v4, v4, v16
	v_and_b32_e32 v9, 0xffff, v6
	s_delay_alu instid0(VALU_DEP_2) | instskip(NEXT) | instid1(VALU_DEP_2)
	v_cmp_lt_f32_e32 vcc_lo, v5, v17
	v_cvt_f32_u32_e32 v19, v9
	v_lshrrev_b32_e32 v9, 16, v6
	v_or_b32_e32 v6, 4, v12
	v_dual_cndmask_b32 v5, v5, v17 :: v_dual_cndmask_b32 v4, v4, v18
	s_delay_alu instid0(VALU_DEP_3) | instskip(SKIP_1) | instid1(VALU_DEP_3)
	v_cvt_f32_u32_e32 v20, v9
	v_and_b32_e32 v9, 0xffff, v7
	v_cmp_lt_f32_e32 vcc_lo, v5, v19
	s_delay_alu instid0(VALU_DEP_2) | instskip(SKIP_3) | instid1(VALU_DEP_3)
	v_cvt_f32_u32_e32 v22, v9
	v_dual_cndmask_b32 v5, v5, v19 :: v_dual_cndmask_b32 v4, v4, v6
	v_lshrrev_b32_e32 v9, 16, v7
	v_or_b32_e32 v7, 6, v12
	v_cmp_lt_f32_e32 vcc_lo, v5, v20
	s_delay_alu instid0(VALU_DEP_3) | instskip(SKIP_1) | instid1(VALU_DEP_1)
	v_cvt_f32_u32_e32 v24, v9
	v_dual_cndmask_b32 v4, v4, v21 :: v_dual_cndmask_b32 v5, v5, v20
	v_cmp_lt_f32_e32 vcc_lo, v5, v22
	s_delay_alu instid0(VALU_DEP_2) | instskip(NEXT) | instid1(VALU_DEP_1)
	v_dual_cndmask_b32 v4, v4, v7 :: v_dual_cndmask_b32 v5, v5, v22
	v_cmp_lt_f32_e32 vcc_lo, v5, v24
	v_and_b32_e32 v9, 0xffff, v0
	v_lshrrev_b32_e32 v0, 16, v0
	s_delay_alu instid0(VALU_DEP_4) | instskip(NEXT) | instid1(VALU_DEP_3)
	v_cndmask_b32_e32 v4, v4, v26, vcc_lo
	v_cvt_f32_u32_e32 v27, v9
	v_cndmask_b32_e32 v5, v5, v24, vcc_lo
	s_delay_alu instid0(VALU_DEP_4) | instskip(NEXT) | instid1(VALU_DEP_2)
	v_cvt_f32_u32_e32 v29, v0
	v_cmp_lt_f32_e32 vcc_lo, v5, v27
	v_cndmask_b32_e32 v0, v4, v28, vcc_lo
	v_dual_cndmask_b32 v4, v5, v27 :: v_dual_and_b32 v5, 0xffff, v1
	v_lshrrev_b32_e32 v1, 16, v1
	s_delay_alu instid0(VALU_DEP_2) | instskip(NEXT) | instid1(VALU_DEP_3)
	v_cmp_lt_f32_e32 vcc_lo, v4, v29
	v_cvt_f32_u32_e32 v31, v5
	s_delay_alu instid0(VALU_DEP_3) | instskip(SKIP_2) | instid1(VALU_DEP_2)
	v_cvt_f32_u32_e32 v33, v1
	v_cndmask_b32_e32 v4, v4, v29, vcc_lo
	v_cndmask_b32_e32 v0, v0, v30, vcc_lo
	v_cmp_lt_f32_e32 vcc_lo, v4, v31
	v_dual_cndmask_b32 v1, v4, v31 :: v_dual_and_b32 v4, 0xffff, v2
	s_delay_alu instid0(VALU_DEP_3) | instskip(SKIP_1) | instid1(VALU_DEP_3)
	v_cndmask_b32_e32 v0, v0, v32, vcc_lo
	v_lshrrev_b32_e32 v2, 16, v2
	v_cmp_lt_f32_e32 vcc_lo, v1, v33
	s_delay_alu instid0(VALU_DEP_4) | instskip(NEXT) | instid1(VALU_DEP_3)
	v_cvt_f32_u32_e32 v35, v4
	v_cvt_f32_u32_e32 v37, v2
	v_dual_cndmask_b32 v1, v1, v33 :: v_dual_and_b32 v2, 0xffff, v3
	v_cndmask_b32_e32 v0, v0, v34, vcc_lo
	s_delay_alu instid0(VALU_DEP_2) | instskip(NEXT) | instid1(VALU_DEP_3)
	v_cvt_f32_u32_e32 v39, v2
	v_cmp_lt_f32_e32 vcc_lo, v1, v35
	v_lshrrev_b32_e32 v2, 16, v3
	s_delay_alu instid0(VALU_DEP_4) | instskip(NEXT) | instid1(VALU_DEP_2)
	v_dual_cndmask_b32 v1, v1, v35 :: v_dual_cndmask_b32 v0, v0, v36
	v_cvt_f32_u32_e32 v41, v2
	s_delay_alu instid0(VALU_DEP_2) | instskip(NEXT) | instid1(VALU_DEP_3)
	v_cmp_lt_f32_e32 vcc_lo, v1, v37
	v_dual_cndmask_b32 v1, v1, v37 :: v_dual_cndmask_b32 v0, v0, v38
	s_delay_alu instid0(VALU_DEP_1) | instskip(NEXT) | instid1(VALU_DEP_2)
	v_cmp_lt_f32_e32 vcc_lo, v1, v39
	v_dual_cndmask_b32 v1, v1, v39 :: v_dual_cndmask_b32 v0, v0, v40
	s_delay_alu instid0(VALU_DEP_1) | instskip(NEXT) | instid1(VALU_DEP_2)
	v_cmp_lt_f32_e32 vcc_lo, v1, v41
	v_cndmask_b32_e32 v0, v0, v42, vcc_lo
	v_cndmask_b32_e32 v2, v1, v41, vcc_lo
	s_and_b32 vcc_lo, exec_lo, s7
	s_delay_alu instid0(VALU_DEP_2) | instskip(NEXT) | instid1(VALU_DEP_2)
	v_mov_b32_dpp v4, v0 quad_perm:[1,0,3,2] row_mask:0xf bank_mask:0xf
	v_mov_b32_dpp v5, v2 quad_perm:[1,0,3,2] row_mask:0xf bank_mask:0xf
	s_cbranch_vccz .LBB264_18
; %bb.7:
	s_load_b128 s[8:11], s[0:1], 0x20
	s_delay_alu instid0(VALU_DEP_1)
	v_cmp_eq_f32_e32 vcc_lo, v2, v5
	v_cmp_lt_i32_e64 s0, v4, v0
	v_cmp_lt_f32_e64 s1, v2, v5
	v_mul_lo_u32 v1, v45, s14
	v_mul_lo_u32 v3, v45, s4
	v_mov_b32_e32 v44, 0
	s_and_b32 s0, vcc_lo, s0
	s_delay_alu instid0(SALU_CYCLE_1)
	s_or_b32 vcc_lo, s1, s0
	v_dual_cndmask_b32 v0, v0, v4 :: v_dual_cndmask_b32 v43, v2, v5
	s_and_saveexec_b32 s1, s2
	s_cbranch_execz .LBB264_9
; %bb.8:
	s_delay_alu instid0(VALU_DEP_1)
	v_sub_f32_e32 v44, v43, v43
	v_ashrrev_i32_e32 v9, 31, v8
	v_cmp_le_i32_e32 vcc_lo, s5, v0
	v_cmp_gt_i32_e64 s0, s6, v0
	v_subrev_nc_u32_e32 v50, s5, v0
	v_mul_f32_e32 v2, 0x3fb8aa3b, v44
	v_lshlrev_b64 v[46:47], 2, v[8:9]
	s_delay_alu instid0(VALU_DEP_4) | instskip(NEXT) | instid1(SALU_CYCLE_1)
	s_and_b32 s0, vcc_lo, s0
	s_and_b32 vcc_lo, s16, s0
	s_delay_alu instid0(VALU_DEP_2) | instskip(SKIP_1) | instid1(VALU_DEP_2)
	v_rndne_f32_e32 v5, v2
	v_fma_f32 v4, 0x3fb8aa3b, v44, -v2
	v_sub_f32_e32 v2, v2, v5
	s_delay_alu instid0(VALU_DEP_2) | instskip(SKIP_1) | instid1(VALU_DEP_2)
	v_fmamk_f32 v4, v44, 0x32a5705f, v4
	v_cvt_i32_f32_e32 v9, v5
	v_add_f32_e32 v2, v2, v4
	v_ashrrev_i32_e32 v4, 31, v3
	s_delay_alu instid0(VALU_DEP_2) | instskip(SKIP_1) | instid1(VALU_DEP_2)
	v_exp_f32_e32 v51, v2
	v_ashrrev_i32_e32 v2, 31, v1
	v_lshlrev_b64 v[4:5], 2, v[3:4]
	s_delay_alu instid0(VALU_DEP_2) | instskip(SKIP_3) | instid1(TRANS32_DEP_1)
	v_lshlrev_b64 v[48:49], 2, v[1:2]
	v_cndmask_b32_e32 v2, 32, v50, vcc_lo
	v_add_co_u32 v46, vcc_lo, s12, v46
	v_add_co_ci_u32_e32 v47, vcc_lo, s13, v47, vcc_lo
	v_ldexp_f32 v9, v51, v9
	v_cmp_ngt_f32_e32 vcc_lo, 0xc2ce8ed0, v44
	s_delay_alu instid0(VALU_DEP_2)
	v_cndmask_b32_e32 v9, 0, v9, vcc_lo
	s_waitcnt lgkmcnt(0)
	v_add_co_u32 v48, vcc_lo, s8, v48
	v_add_co_ci_u32_e32 v49, vcc_lo, s9, v49, vcc_lo
	v_cmp_nlt_f32_e32 vcc_lo, 0x42b17218, v44
	v_cndmask_b32_e32 v44, 0x7f800000, v9, vcc_lo
	v_add_co_u32 v4, vcc_lo, s10, v4
	v_add_co_ci_u32_e32 v5, vcc_lo, s11, v5, vcc_lo
	global_store_b32 v[48:49], v2, off
	global_store_b32 v[46:47], v44, off
	;; [unrolled: 1-line block ×3, first 2 shown]
.LBB264_9:
	s_or_b32 exec_lo, exec_lo, s1
	s_delay_alu instid0(VALU_DEP_1) | instskip(SKIP_1) | instid1(VALU_DEP_1)
	v_ashrrev_i32_e32 v4, 31, v0
	s_mov_b32 s0, exec_lo
	v_lshrrev_b32_e32 v2, 28, v4
	s_delay_alu instid0(VALU_DEP_1) | instskip(NEXT) | instid1(VALU_DEP_1)
	v_add_nc_u32_e32 v5, v0, v2
	v_ashrrev_i32_e32 v2, 4, v5
	v_lshrrev_b32_e32 v5, 31, v5
	s_delay_alu instid0(VALU_DEP_1) | instskip(NEXT) | instid1(VALU_DEP_1)
	v_add_nc_u32_e32 v5, v2, v5
	v_and_b32_e32 v5, -2, v5
	s_delay_alu instid0(VALU_DEP_1) | instskip(NEXT) | instid1(VALU_DEP_1)
	v_sub_nc_u32_e32 v5, v2, v5
	v_cmpx_eq_u32_e64 v11, v5
	s_cbranch_execz .LBB264_11
; %bb.10:
	v_lshrrev_b32_e32 v4, 27, v4
	v_lshlrev_b32_e32 v2, 4, v2
	s_delay_alu instid0(VALU_DEP_2) | instskip(NEXT) | instid1(VALU_DEP_2)
	v_add_nc_u32_e32 v4, v0, v4
	v_sub_nc_u32_e32 v0, v0, v2
	s_delay_alu instid0(VALU_DEP_2) | instskip(NEXT) | instid1(VALU_DEP_1)
	v_ashrrev_i32_e32 v2, 5, v4
	v_lshl_add_u32 v0, v2, 4, v0
	s_delay_alu instid0(VALU_DEP_1)
	v_cmp_ne_u32_e32 vcc_lo, 15, v0
	v_cndmask_b32_e32 v41, 0xff800000, v41, vcc_lo
	v_cmp_ne_u32_e32 vcc_lo, 14, v0
	v_cndmask_b32_e32 v39, 0xff800000, v39, vcc_lo
	;; [unrolled: 2-line block ×16, first 2 shown]
.LBB264_11:
	s_or_b32 exec_lo, exec_lo, s0
	s_cmp_eq_u32 s4, 1
	s_cbranch_scc1 .LBB264_19
; %bb.12:
	s_add_i32 s17, s17, s3
	v_add_nc_u32_e32 v0, 1, v3
	v_add3_u32 v9, s17, v25, v23
	v_add_nc_u32_e32 v2, 1, v1
	v_add_nc_u32_e32 v4, 1, v8
	s_add_i32 s14, s4, -1
	s_branch .LBB264_14
.LBB264_13:                             ;   in Loop: Header=BB264_14 Depth=1
	s_or_b32 exec_lo, exec_lo, s0
	v_add_nc_u32_e32 v9, s3, v9
	v_add_nc_u32_e32 v0, 1, v0
	;; [unrolled: 1-line block ×4, first 2 shown]
	s_add_i32 s14, s14, -1
	s_delay_alu instid0(SALU_CYCLE_1)
	s_cmp_eq_u32 s14, 0
	s_cbranch_scc1 .LBB264_19
.LBB264_14:                             ; =>This Inner Loop Header: Depth=1
	v_cmp_gt_f32_e32 vcc_lo, v10, v13
	v_cndmask_b32_e32 v3, v13, v10, vcc_lo
	v_cndmask_b32_e32 v1, v12, v14, vcc_lo
	s_delay_alu instid0(VALU_DEP_2) | instskip(SKIP_1) | instid1(VALU_DEP_3)
	v_cmp_gt_f32_e32 vcc_lo, v15, v3
	v_cndmask_b32_e32 v3, v3, v15, vcc_lo
	v_cndmask_b32_e32 v1, v1, v16, vcc_lo
	s_delay_alu instid0(VALU_DEP_2) | instskip(SKIP_1) | instid1(VALU_DEP_3)
	v_cmp_gt_f32_e32 vcc_lo, v17, v3
	v_cndmask_b32_e32 v3, v3, v17, vcc_lo
	v_cndmask_b32_e32 v1, v1, v18, vcc_lo
	s_delay_alu instid0(VALU_DEP_2) | instskip(SKIP_1) | instid1(VALU_DEP_3)
	v_cmp_gt_f32_e32 vcc_lo, v19, v3
	v_cndmask_b32_e32 v3, v3, v19, vcc_lo
	v_cndmask_b32_e32 v1, v1, v6, vcc_lo
	s_delay_alu instid0(VALU_DEP_2) | instskip(SKIP_1) | instid1(VALU_DEP_3)
	v_cmp_gt_f32_e32 vcc_lo, v20, v3
	v_cndmask_b32_e32 v3, v3, v20, vcc_lo
	v_cndmask_b32_e32 v1, v1, v21, vcc_lo
	s_delay_alu instid0(VALU_DEP_2) | instskip(SKIP_1) | instid1(VALU_DEP_3)
	v_cmp_gt_f32_e32 vcc_lo, v22, v3
	v_cndmask_b32_e32 v3, v3, v22, vcc_lo
	v_cndmask_b32_e32 v1, v1, v7, vcc_lo
	s_delay_alu instid0(VALU_DEP_2) | instskip(SKIP_1) | instid1(VALU_DEP_3)
	v_cmp_gt_f32_e32 vcc_lo, v24, v3
	v_cndmask_b32_e32 v3, v3, v24, vcc_lo
	v_cndmask_b32_e32 v1, v1, v26, vcc_lo
	s_delay_alu instid0(VALU_DEP_2) | instskip(SKIP_1) | instid1(VALU_DEP_3)
	v_cmp_gt_f32_e32 vcc_lo, v27, v3
	v_cndmask_b32_e32 v3, v3, v27, vcc_lo
	v_cndmask_b32_e32 v1, v1, v28, vcc_lo
	s_delay_alu instid0(VALU_DEP_2) | instskip(SKIP_1) | instid1(VALU_DEP_3)
	v_cmp_gt_f32_e32 vcc_lo, v29, v3
	v_cndmask_b32_e32 v3, v3, v29, vcc_lo
	v_cndmask_b32_e32 v1, v1, v30, vcc_lo
	s_delay_alu instid0(VALU_DEP_2) | instskip(SKIP_1) | instid1(VALU_DEP_3)
	v_cmp_gt_f32_e32 vcc_lo, v31, v3
	v_cndmask_b32_e32 v3, v3, v31, vcc_lo
	v_cndmask_b32_e32 v1, v1, v32, vcc_lo
	s_delay_alu instid0(VALU_DEP_2) | instskip(SKIP_1) | instid1(VALU_DEP_3)
	v_cmp_gt_f32_e32 vcc_lo, v33, v3
	v_cndmask_b32_e32 v3, v3, v33, vcc_lo
	v_cndmask_b32_e32 v1, v1, v34, vcc_lo
	s_delay_alu instid0(VALU_DEP_2) | instskip(SKIP_1) | instid1(VALU_DEP_3)
	v_cmp_gt_f32_e32 vcc_lo, v35, v3
	v_cndmask_b32_e32 v3, v3, v35, vcc_lo
	v_cndmask_b32_e32 v1, v1, v36, vcc_lo
	s_delay_alu instid0(VALU_DEP_2) | instskip(SKIP_1) | instid1(VALU_DEP_3)
	v_cmp_gt_f32_e32 vcc_lo, v37, v3
	v_cndmask_b32_e32 v3, v3, v37, vcc_lo
	v_cndmask_b32_e32 v1, v1, v38, vcc_lo
	s_delay_alu instid0(VALU_DEP_2) | instskip(SKIP_1) | instid1(VALU_DEP_3)
	v_cmp_gt_f32_e32 vcc_lo, v39, v3
	v_cndmask_b32_e32 v3, v3, v39, vcc_lo
	v_cndmask_b32_e32 v1, v1, v40, vcc_lo
	s_delay_alu instid0(VALU_DEP_2) | instskip(NEXT) | instid1(VALU_DEP_2)
	v_cmp_gt_f32_e32 vcc_lo, v41, v3
	v_cndmask_b32_e32 v5, v1, v42, vcc_lo
	v_cndmask_b32_e32 v1, v3, v41, vcc_lo
	s_delay_alu instid0(VALU_DEP_2) | instskip(NEXT) | instid1(VALU_DEP_2)
	v_mov_b32_dpp v23, v5 quad_perm:[1,0,3,2] row_mask:0xf bank_mask:0xf
	v_mov_b32_dpp v3, v1 quad_perm:[1,0,3,2] row_mask:0xf bank_mask:0xf
	s_delay_alu instid0(VALU_DEP_2) | instskip(NEXT) | instid1(VALU_DEP_2)
	v_cmp_lt_i32_e32 vcc_lo, v23, v5
	v_cmp_eq_f32_e64 s0, v1, v3
	v_cmp_lt_f32_e64 s1, v1, v3
	s_delay_alu instid0(VALU_DEP_2)
	s_and_b32 s0, s0, vcc_lo
	s_delay_alu instid0(VALU_DEP_1) | instid1(SALU_CYCLE_1)
	s_or_b32 vcc_lo, s1, s0
	v_cndmask_b32_e32 v23, v5, v23, vcc_lo
	s_and_saveexec_b32 s1, s2
	s_cbranch_execz .LBB264_16
; %bb.15:                               ;   in Loop: Header=BB264_14 Depth=1
	v_cndmask_b32_e32 v1, v1, v3, vcc_lo
	s_delay_alu instid0(VALU_DEP_2) | instskip(SKIP_4) | instid1(VALU_DEP_4)
	v_cmp_le_i32_e32 vcc_lo, s5, v23
	v_cmp_gt_i32_e64 s0, s6, v23
	v_ashrrev_i32_e32 v5, 31, v4
	v_subrev_nc_u32_e32 v51, s5, v23
	v_sub_f32_e32 v25, v1, v43
	s_and_b32 s0, vcc_lo, s0
	s_delay_alu instid0(SALU_CYCLE_1) | instskip(NEXT) | instid1(VALU_DEP_1)
	s_and_b32 vcc_lo, s16, s0
	v_mul_f32_e32 v1, 0x3fb8aa3b, v25
	s_delay_alu instid0(VALU_DEP_1) | instskip(SKIP_1) | instid1(VALU_DEP_2)
	v_fma_f32 v3, 0x3fb8aa3b, v25, -v1
	v_rndne_f32_e32 v45, v1
	v_fmac_f32_e32 v3, 0x32a5705f, v25
	s_delay_alu instid0(VALU_DEP_2) | instskip(SKIP_2) | instid1(VALU_DEP_3)
	v_sub_f32_e32 v1, v1, v45
	v_cvt_i32_f32_e32 v50, v45
	v_lshlrev_b64 v[45:46], 2, v[4:5]
	v_add_f32_e32 v1, v1, v3
	v_ashrrev_i32_e32 v3, 31, v2
	s_delay_alu instid0(VALU_DEP_2) | instskip(SKIP_1) | instid1(VALU_DEP_2)
	v_exp_f32_e32 v49, v1
	v_ashrrev_i32_e32 v1, 31, v0
	v_lshlrev_b64 v[47:48], 2, v[2:3]
	s_waitcnt_depctr 0xfff
	v_ldexp_f32 v3, v49, v50
	v_lshlrev_b64 v[49:50], 2, v[0:1]
	v_cndmask_b32_e32 v1, 32, v51, vcc_lo
	v_cmp_ngt_f32_e32 vcc_lo, 0xc2ce8ed0, v25
	s_delay_alu instid0(VALU_DEP_4) | instskip(SKIP_3) | instid1(VALU_DEP_4)
	v_cndmask_b32_e32 v3, 0, v3, vcc_lo
	v_add_co_u32 v45, vcc_lo, s12, v45
	v_add_co_ci_u32_e32 v46, vcc_lo, s13, v46, vcc_lo
	v_cmp_nlt_f32_e32 vcc_lo, 0x42b17218, v25
	v_cndmask_b32_e32 v3, 0x7f800000, v3, vcc_lo
	s_waitcnt lgkmcnt(0)
	v_add_co_u32 v47, vcc_lo, s8, v47
	v_add_co_ci_u32_e32 v48, vcc_lo, s9, v48, vcc_lo
	s_delay_alu instid0(VALU_DEP_3)
	v_add_f32_e32 v44, v44, v3
	v_add_co_u32 v49, vcc_lo, s10, v49
	v_add_co_ci_u32_e32 v50, vcc_lo, s11, v50, vcc_lo
	global_store_b32 v[45:46], v3, off
	global_store_b32 v[47:48], v1, off
	;; [unrolled: 1-line block ×3, first 2 shown]
.LBB264_16:                             ;   in Loop: Header=BB264_14 Depth=1
	s_or_b32 exec_lo, exec_lo, s1
	s_delay_alu instid0(VALU_DEP_1) | instskip(SKIP_1) | instid1(VALU_DEP_1)
	v_ashrrev_i32_e32 v3, 31, v23
	s_mov_b32 s0, exec_lo
	v_lshrrev_b32_e32 v1, 28, v3
	s_delay_alu instid0(VALU_DEP_1) | instskip(NEXT) | instid1(VALU_DEP_1)
	v_add_nc_u32_e32 v5, v23, v1
	v_ashrrev_i32_e32 v1, 4, v5
	v_lshrrev_b32_e32 v5, 31, v5
	s_delay_alu instid0(VALU_DEP_1) | instskip(NEXT) | instid1(VALU_DEP_1)
	v_add_nc_u32_e32 v5, v1, v5
	v_and_b32_e32 v5, -2, v5
	s_delay_alu instid0(VALU_DEP_1) | instskip(NEXT) | instid1(VALU_DEP_1)
	v_sub_nc_u32_e32 v5, v1, v5
	v_cmpx_eq_u32_e64 v11, v5
	s_cbranch_execz .LBB264_13
; %bb.17:                               ;   in Loop: Header=BB264_14 Depth=1
	v_lshrrev_b32_e32 v3, 27, v3
	v_lshlrev_b32_e32 v1, 4, v1
	s_delay_alu instid0(VALU_DEP_2) | instskip(NEXT) | instid1(VALU_DEP_2)
	v_add_nc_u32_e32 v3, v23, v3
	v_sub_nc_u32_e32 v1, v23, v1
	s_delay_alu instid0(VALU_DEP_2) | instskip(NEXT) | instid1(VALU_DEP_1)
	v_ashrrev_i32_e32 v3, 5, v3
	v_lshl_add_u32 v1, v3, 4, v1
	s_delay_alu instid0(VALU_DEP_1)
	v_cmp_ne_u32_e32 vcc_lo, 15, v1
	v_cndmask_b32_e32 v41, 0xff800000, v41, vcc_lo
	v_cmp_ne_u32_e32 vcc_lo, 14, v1
	v_cndmask_b32_e32 v39, 0xff800000, v39, vcc_lo
	v_cmp_ne_u32_e32 vcc_lo, 13, v1
	v_cndmask_b32_e32 v37, 0xff800000, v37, vcc_lo
	v_cmp_ne_u32_e32 vcc_lo, 12, v1
	v_cndmask_b32_e32 v35, 0xff800000, v35, vcc_lo
	v_cmp_ne_u32_e32 vcc_lo, 11, v1
	v_cndmask_b32_e32 v33, 0xff800000, v33, vcc_lo
	v_cmp_ne_u32_e32 vcc_lo, 10, v1
	v_cndmask_b32_e32 v31, 0xff800000, v31, vcc_lo
	v_cmp_ne_u32_e32 vcc_lo, 9, v1
	v_cndmask_b32_e32 v29, 0xff800000, v29, vcc_lo
	v_cmp_ne_u32_e32 vcc_lo, 8, v1
	v_cndmask_b32_e32 v27, 0xff800000, v27, vcc_lo
	v_cmp_ne_u32_e32 vcc_lo, 7, v1
	v_cndmask_b32_e32 v24, 0xff800000, v24, vcc_lo
	v_cmp_ne_u32_e32 vcc_lo, 6, v1
	v_cndmask_b32_e32 v22, 0xff800000, v22, vcc_lo
	v_cmp_ne_u32_e32 vcc_lo, 5, v1
	v_cndmask_b32_e32 v20, 0xff800000, v20, vcc_lo
	v_cmp_ne_u32_e32 vcc_lo, 4, v1
	v_cndmask_b32_e32 v19, 0xff800000, v19, vcc_lo
	v_cmp_ne_u32_e32 vcc_lo, 3, v1
	v_cndmask_b32_e32 v17, 0xff800000, v17, vcc_lo
	v_cmp_ne_u32_e32 vcc_lo, 2, v1
	v_cndmask_b32_e32 v15, 0xff800000, v15, vcc_lo
	v_cmp_ne_u32_e32 vcc_lo, 1, v1
	v_cndmask_b32_e32 v10, 0xff800000, v10, vcc_lo
	v_cmp_ne_u32_e32 vcc_lo, 0, v1
	v_cndmask_b32_e32 v13, 0xff800000, v13, vcc_lo
	s_branch .LBB264_13
.LBB264_18:
	v_mov_b32_e32 v44, 0
.LBB264_19:
	v_cmp_eq_u32_e32 vcc_lo, 0, v11
	s_delay_alu instid0(VALU_DEP_2) | instskip(NEXT) | instid1(VALU_DEP_1)
	v_cmp_neq_f32_e64 s0, 0, v44
	s_and_b32 s0, vcc_lo, s0
	s_delay_alu instid0(SALU_CYCLE_1)
	s_and_b32 exec_lo, exec_lo, s0
	s_cbranch_execz .LBB264_23
; %bb.20:
	s_and_not1_b32 vcc_lo, exec_lo, s7
	s_cbranch_vccnz .LBB264_23
; %bb.21:
	v_div_scale_f32 v0, null, v44, v44, 1.0
	v_div_scale_f32 v3, vcc_lo, 1.0, v44, 1.0
	v_ashrrev_i32_e32 v9, 31, v8
	s_delay_alu instid0(VALU_DEP_3) | instskip(SKIP_2) | instid1(VALU_DEP_1)
	v_rcp_f32_e32 v1, v0
	s_waitcnt_depctr 0xfff
	v_fma_f32 v2, -v0, v1, 1.0
	v_fmac_f32_e32 v1, v2, v1
	s_delay_alu instid0(VALU_DEP_1) | instskip(NEXT) | instid1(VALU_DEP_1)
	v_mul_f32_e32 v2, v3, v1
	v_fma_f32 v4, -v0, v2, v3
	s_delay_alu instid0(VALU_DEP_1) | instskip(NEXT) | instid1(VALU_DEP_1)
	v_fmac_f32_e32 v2, v4, v1
	v_fma_f32 v0, -v0, v2, v3
	s_delay_alu instid0(VALU_DEP_1) | instskip(SKIP_1) | instid1(VALU_DEP_2)
	v_div_fmas_f32 v2, v0, v1, v2
	v_lshlrev_b64 v[0:1], 2, v[8:9]
	v_div_fixup_f32 v2, v2, v44, 1.0
	s_delay_alu instid0(VALU_DEP_2) | instskip(NEXT) | instid1(VALU_DEP_3)
	v_add_co_u32 v0, vcc_lo, s12, v0
	v_add_co_ci_u32_e32 v1, vcc_lo, s13, v1, vcc_lo
.LBB264_22:                             ; =>This Inner Loop Header: Depth=1
	global_load_b32 v3, v[0:1], off
	s_add_i32 s4, s4, -1
	s_delay_alu instid0(SALU_CYCLE_1)
	s_cmp_lg_u32 s4, 0
	s_waitcnt vmcnt(0)
	v_mul_f32_e32 v3, v2, v3
	global_store_b32 v[0:1], v3, off
	v_add_co_u32 v0, vcc_lo, v0, 4
	v_add_co_ci_u32_e32 v1, vcc_lo, 0, v1, vcc_lo
	s_cbranch_scc1 .LBB264_22
.LBB264_23:
	s_nop 0
	s_sendmsg sendmsg(MSG_DEALLOC_VGPRS)
	s_endpgm
	.section	.rodata,"a",@progbits
	.p2align	6, 0x0
	.amdhsa_kernel _ZN4vllm3moe17topkGatingSoftmaxItLi16ELi32ELi8ELi32ELb1ELi4ELNS0_23SharedExpertScoringFuncE1EEEvPKT_PKbPfiPiS9_iiiiii
		.amdhsa_group_segment_fixed_size 0
		.amdhsa_private_segment_fixed_size 0
		.amdhsa_kernarg_size 72
		.amdhsa_user_sgpr_count 15
		.amdhsa_user_sgpr_dispatch_ptr 0
		.amdhsa_user_sgpr_queue_ptr 0
		.amdhsa_user_sgpr_kernarg_segment_ptr 1
		.amdhsa_user_sgpr_dispatch_id 0
		.amdhsa_user_sgpr_private_segment_size 0
		.amdhsa_wavefront_size32 1
		.amdhsa_uses_dynamic_stack 0
		.amdhsa_enable_private_segment 0
		.amdhsa_system_sgpr_workgroup_id_x 1
		.amdhsa_system_sgpr_workgroup_id_y 0
		.amdhsa_system_sgpr_workgroup_id_z 0
		.amdhsa_system_sgpr_workgroup_info 0
		.amdhsa_system_vgpr_workitem_id 1
		.amdhsa_next_free_vgpr 52
		.amdhsa_next_free_sgpr 18
		.amdhsa_reserve_vcc 1
		.amdhsa_float_round_mode_32 0
		.amdhsa_float_round_mode_16_64 0
		.amdhsa_float_denorm_mode_32 3
		.amdhsa_float_denorm_mode_16_64 3
		.amdhsa_dx10_clamp 1
		.amdhsa_ieee_mode 1
		.amdhsa_fp16_overflow 0
		.amdhsa_workgroup_processor_mode 1
		.amdhsa_memory_ordered 1
		.amdhsa_forward_progress 0
		.amdhsa_shared_vgpr_count 0
		.amdhsa_exception_fp_ieee_invalid_op 0
		.amdhsa_exception_fp_denorm_src 0
		.amdhsa_exception_fp_ieee_div_zero 0
		.amdhsa_exception_fp_ieee_overflow 0
		.amdhsa_exception_fp_ieee_underflow 0
		.amdhsa_exception_fp_ieee_inexact 0
		.amdhsa_exception_int_div_zero 0
	.end_amdhsa_kernel
	.section	.text._ZN4vllm3moe17topkGatingSoftmaxItLi16ELi32ELi8ELi32ELb1ELi4ELNS0_23SharedExpertScoringFuncE1EEEvPKT_PKbPfiPiS9_iiiiii,"axG",@progbits,_ZN4vllm3moe17topkGatingSoftmaxItLi16ELi32ELi8ELi32ELb1ELi4ELNS0_23SharedExpertScoringFuncE1EEEvPKT_PKbPfiPiS9_iiiiii,comdat
.Lfunc_end264:
	.size	_ZN4vllm3moe17topkGatingSoftmaxItLi16ELi32ELi8ELi32ELb1ELi4ELNS0_23SharedExpertScoringFuncE1EEEvPKT_PKbPfiPiS9_iiiiii, .Lfunc_end264-_ZN4vllm3moe17topkGatingSoftmaxItLi16ELi32ELi8ELi32ELb1ELi4ELNS0_23SharedExpertScoringFuncE1EEEvPKT_PKbPfiPiS9_iiiiii
                                        ; -- End function
	.section	.AMDGPU.csdata,"",@progbits
; Kernel info:
; codeLenInByte = 2980
; NumSgprs: 20
; NumVgprs: 52
; ScratchSize: 0
; MemoryBound: 0
; FloatMode: 240
; IeeeMode: 1
; LDSByteSize: 0 bytes/workgroup (compile time only)
; SGPRBlocks: 2
; VGPRBlocks: 6
; NumSGPRsForWavesPerEU: 20
; NumVGPRsForWavesPerEU: 52
; Occupancy: 16
; WaveLimiterHint : 0
; COMPUTE_PGM_RSRC2:SCRATCH_EN: 0
; COMPUTE_PGM_RSRC2:USER_SGPR: 15
; COMPUTE_PGM_RSRC2:TRAP_HANDLER: 0
; COMPUTE_PGM_RSRC2:TGID_X_EN: 1
; COMPUTE_PGM_RSRC2:TGID_Y_EN: 0
; COMPUTE_PGM_RSRC2:TGID_Z_EN: 0
; COMPUTE_PGM_RSRC2:TIDIG_COMP_CNT: 1
	.section	.text._ZN4vllm3moe17topkGatingSoftmaxItLi16ELi32ELi8ELi32ELb0ELi4ELNS0_23SharedExpertScoringFuncE1EEEvPKT_PKbPfiPiS9_iiiiii,"axG",@progbits,_ZN4vllm3moe17topkGatingSoftmaxItLi16ELi32ELi8ELi32ELb0ELi4ELNS0_23SharedExpertScoringFuncE1EEEvPKT_PKbPfiPiS9_iiiiii,comdat
	.protected	_ZN4vllm3moe17topkGatingSoftmaxItLi16ELi32ELi8ELi32ELb0ELi4ELNS0_23SharedExpertScoringFuncE1EEEvPKT_PKbPfiPiS9_iiiiii ; -- Begin function _ZN4vllm3moe17topkGatingSoftmaxItLi16ELi32ELi8ELi32ELb0ELi4ELNS0_23SharedExpertScoringFuncE1EEEvPKT_PKbPfiPiS9_iiiiii
	.globl	_ZN4vllm3moe17topkGatingSoftmaxItLi16ELi32ELi8ELi32ELb0ELi4ELNS0_23SharedExpertScoringFuncE1EEEvPKT_PKbPfiPiS9_iiiiii
	.p2align	8
	.type	_ZN4vllm3moe17topkGatingSoftmaxItLi16ELi32ELi8ELi32ELb0ELi4ELNS0_23SharedExpertScoringFuncE1EEEvPKT_PKbPfiPiS9_iiiiii,@function
_ZN4vllm3moe17topkGatingSoftmaxItLi16ELi32ELi8ELi32ELb0ELi4ELNS0_23SharedExpertScoringFuncE1EEEvPKT_PKbPfiPiS9_iiiiii: ; @_ZN4vllm3moe17topkGatingSoftmaxItLi16ELi32ELi8ELi32ELb0ELi4ELNS0_23SharedExpertScoringFuncE1EEEvPKT_PKbPfiPiS9_iiiiii
; %bb.0:
	s_load_b32 s16, s[0:1], 0x18
	v_bfe_u32 v1, v0, 10, 10
	v_and_b32_e32 v0, 0x3ff, v0
	s_lshl_b32 s18, s15, 7
	s_mov_b32 s2, exec_lo
	s_delay_alu instid0(VALU_DEP_2) | instskip(NEXT) | instid1(VALU_DEP_2)
	v_lshlrev_b32_e32 v30, 4, v1
	v_lshrrev_b32_e32 v32, 1, v0
	s_delay_alu instid0(VALU_DEP_1) | instskip(SKIP_1) | instid1(VALU_DEP_1)
	v_add3_u32 v44, s18, v30, v32
	s_waitcnt lgkmcnt(0)
	v_cmpx_gt_i32_e64 s16, v44
	s_cbranch_execz .LBB265_24
; %bb.1:
	s_clause 0x1
	s_load_b128 s[8:11], s[0:1], 0x0
	s_load_b64 s[12:13], s[0:1], 0x10
	s_waitcnt lgkmcnt(0)
	s_cmp_eq_u64 s[10:11], 0
	s_cbranch_scc1 .LBB265_3
; %bb.2:
	v_ashrrev_i32_e32 v2, 31, v44
	v_add_co_u32 v1, vcc_lo, s10, v44
	s_delay_alu instid0(VALU_DEP_2) | instskip(SKIP_3) | instid1(VALU_DEP_1)
	v_add_co_ci_u32_e32 v2, vcc_lo, s11, v2, vcc_lo
	global_load_u8 v1, v[1:2], off
	s_waitcnt vmcnt(0)
	v_and_b32_e32 v1, 1, v1
	v_cmp_eq_u32_e32 vcc_lo, 1, v1
	s_xor_b32 s2, vcc_lo, -1
	s_delay_alu instid0(SALU_CYCLE_1)
	s_or_not1_b32 s17, s2, exec_lo
	s_branch .LBB265_4
.LBB265_3:
	s_mov_b32 s17, -1
.LBB265_4:
	s_clause 0x1
	s_load_b64 s[14:15], s[0:1], 0x40
	s_load_b128 s[4:7], s[0:1], 0x30
	v_and_b32_e32 v11, 1, v0
	s_mov_b32 s3, 0
	s_delay_alu instid0(VALU_DEP_1)
	v_dual_mov_b32 v13, v11 :: v_dual_lshlrev_b32 v0, 5, v11
	v_lshlrev_b32_e32 v12, 1, v11
	v_lshlrev_b32_e32 v20, 4, v11
	s_waitcnt lgkmcnt(0)
	v_mul_lo_u32 v1, v44, s15
	v_mul_lo_u32 v8, v44, s7
	s_delay_alu instid0(VALU_DEP_2) | instskip(NEXT) | instid1(VALU_DEP_1)
	v_ashrrev_i32_e32 v2, 31, v1
	v_lshlrev_b64 v[9:10], 1, v[1:2]
	s_delay_alu instid0(VALU_DEP_1) | instskip(NEXT) | instid1(VALU_DEP_2)
	v_add_co_u32 v1, vcc_lo, s8, v9
	v_add_co_ci_u32_e32 v2, vcc_lo, s9, v10, vcc_lo
	s_delay_alu instid0(VALU_DEP_2) | instskip(NEXT) | instid1(VALU_DEP_2)
	v_add_co_u32 v4, vcc_lo, v1, v0
	v_add_co_ci_u32_e32 v5, vcc_lo, 0, v2, vcc_lo
	v_add_co_u32 v9, vcc_lo, v9, v12
	v_add_co_ci_u32_e32 v10, vcc_lo, 0, v10, vcc_lo
	s_clause 0x1
	global_load_b128 v[0:3], v[4:5], off offset:16
	global_load_b128 v[4:7], v[4:5], off
	v_add_co_u32 v9, vcc_lo, v9, s8
	v_add_co_ci_u32_e32 v10, vcc_lo, s9, v10, vcc_lo
	v_add_nc_u32_e32 v12, s4, v8
	s_delay_alu instid0(VALU_DEP_3) | instskip(NEXT) | instid1(VALU_DEP_3)
	v_add_co_u32 v9, vcc_lo, v9, 64
	v_add_co_ci_u32_e32 v10, vcc_lo, 0, v10, vcc_lo
.LBB265_5:                              ; =>This Inner Loop Header: Depth=1
	global_load_u16 v14, v[9:10], off
	v_add_co_u32 v9, s2, v9, 4
	s_delay_alu instid0(VALU_DEP_1) | instskip(SKIP_2) | instid1(VALU_DEP_2)
	v_add_co_ci_u32_e64 v10, s2, 0, v10, s2
	v_cmp_lt_u32_e64 s2, 1, v13
	v_add_nc_u32_e32 v22, 2, v13
	s_or_b32 s3, s2, s3
	s_waitcnt vmcnt(0)
	v_cvt_f32_u32_e32 v14, v14
	s_delay_alu instid0(VALU_DEP_1) | instskip(SKIP_1) | instid1(VALU_DEP_2)
	v_mul_f32_e32 v15, 0xbfb8aa3b, v14
	v_cmp_nlt_f32_e32 vcc_lo, 0x42ce8ed0, v14
	v_rndne_f32_e32 v16, v15
	v_fma_f32 v17, 0xbfb8aa3b, v14, -v15
	s_delay_alu instid0(VALU_DEP_2) | instskip(NEXT) | instid1(VALU_DEP_2)
	v_sub_f32_e32 v15, v15, v16
	v_fmac_f32_e32 v17, 0xb2a5705f, v14
	v_cvt_i32_f32_e32 v16, v16
	s_delay_alu instid0(VALU_DEP_2) | instskip(NEXT) | instid1(VALU_DEP_1)
	v_add_f32_e32 v15, v15, v17
	v_exp_f32_e32 v15, v15
	s_waitcnt_depctr 0xfff
	v_ldexp_f32 v15, v15, v16
	s_delay_alu instid0(VALU_DEP_1) | instskip(SKIP_1) | instid1(VALU_DEP_2)
	v_cndmask_b32_e32 v15, 0, v15, vcc_lo
	v_cmp_ngt_f32_e32 vcc_lo, 0xc2b17218, v14
	v_cndmask_b32_e32 v14, 0x7f800000, v15, vcc_lo
	s_delay_alu instid0(VALU_DEP_1) | instskip(NEXT) | instid1(VALU_DEP_1)
	v_add_f32_e32 v17, 1.0, v14
	v_div_scale_f32 v16, null, v17, v17, 1.0
	v_div_scale_f32 v19, vcc_lo, 1.0, v17, 1.0
	s_delay_alu instid0(VALU_DEP_2) | instskip(SKIP_2) | instid1(VALU_DEP_1)
	v_rcp_f32_e32 v18, v16
	s_waitcnt_depctr 0xfff
	v_fma_f32 v14, -v16, v18, 1.0
	v_fmac_f32_e32 v18, v14, v18
	s_delay_alu instid0(VALU_DEP_1) | instskip(NEXT) | instid1(VALU_DEP_1)
	v_dual_mul_f32 v21, v19, v18 :: v_dual_add_nc_u32 v14, v12, v13
	v_fma_f32 v15, -v16, v21, v19
	s_delay_alu instid0(VALU_DEP_1) | instskip(NEXT) | instid1(VALU_DEP_3)
	v_fmac_f32_e32 v21, v15, v18
	v_ashrrev_i32_e32 v15, 31, v14
	s_delay_alu instid0(VALU_DEP_2) | instskip(NEXT) | instid1(VALU_DEP_2)
	v_fma_f32 v16, -v16, v21, v19
	v_lshlrev_b64 v[13:14], 2, v[14:15]
	s_delay_alu instid0(VALU_DEP_2) | instskip(NEXT) | instid1(VALU_DEP_2)
	v_div_fmas_f32 v18, v16, v18, v21
	v_add_co_u32 v15, vcc_lo, s12, v13
	s_delay_alu instid0(VALU_DEP_3) | instskip(NEXT) | instid1(VALU_DEP_3)
	v_add_co_ci_u32_e32 v16, vcc_lo, s13, v14, vcc_lo
	v_div_fixup_f32 v14, v18, v17, 1.0
	v_mov_b32_e32 v13, v22
	global_store_b32 v[15:16], v14, off
	s_and_not1_b32 exec_lo, exec_lo, s3
	s_cbranch_execnz .LBB265_5
; %bb.6:
	s_or_b32 exec_lo, exec_lo, s3
	v_lshrrev_b32_e32 v9, 16, v4
	v_or_b32_e32 v27, 1, v20
	v_or_b32_e32 v28, 2, v20
	;; [unrolled: 1-line block ×4, first 2 shown]
	v_cvt_f32_u32_e32 v22, v9
	v_and_b32_e32 v4, 0xffff, v4
	v_or_b32_e32 v33, 5, v20
	v_or_b32_e32 v34, 6, v20
	;; [unrolled: 1-line block ×4, first 2 shown]
	v_cvt_f32_u32_e32 v24, v4
	v_or_b32_e32 v37, 9, v20
	v_or_b32_e32 v38, 10, v20
	;; [unrolled: 1-line block ×4, first 2 shown]
	v_cmp_lt_f32_e32 vcc_lo, v24, v22
	v_or_b32_e32 v41, 13, v20
	v_or_b32_e32 v42, 14, v20
	;; [unrolled: 1-line block ×3, first 2 shown]
	v_dual_cndmask_b32 v9, v24, v22 :: v_dual_and_b32 v4, 0xffff, v5
	v_lshrrev_b32_e32 v5, 16, v5
	s_delay_alu instid0(VALU_DEP_2) | instskip(SKIP_1) | instid1(VALU_DEP_3)
	v_cvt_f32_u32_e32 v26, v4
	v_cndmask_b32_e32 v4, v20, v27, vcc_lo
	v_cvt_f32_u32_e32 v25, v5
	s_delay_alu instid0(VALU_DEP_3) | instskip(SKIP_1) | instid1(VALU_DEP_4)
	v_cmp_lt_f32_e32 vcc_lo, v9, v26
	v_cndmask_b32_e32 v5, v9, v26, vcc_lo
	v_dual_cndmask_b32 v4, v4, v28 :: v_dual_and_b32 v9, 0xffff, v6
	v_lshrrev_b32_e32 v6, 16, v6
	s_delay_alu instid0(VALU_DEP_3) | instskip(NEXT) | instid1(VALU_DEP_3)
	v_cmp_lt_f32_e32 vcc_lo, v5, v25
	v_cvt_f32_u32_e32 v23, v9
	s_delay_alu instid0(VALU_DEP_3) | instskip(SKIP_2) | instid1(VALU_DEP_2)
	v_cvt_f32_u32_e32 v21, v6
	v_dual_cndmask_b32 v5, v5, v25 :: v_dual_and_b32 v6, 0xffff, v7
	v_cndmask_b32_e32 v4, v4, v29, vcc_lo
	v_cvt_f32_u32_e32 v19, v6
	s_delay_alu instid0(VALU_DEP_3) | instskip(SKIP_3) | instid1(VALU_DEP_3)
	v_cmp_lt_f32_e32 vcc_lo, v5, v23
	v_lshrrev_b32_e32 v6, 16, v7
	v_cndmask_b32_e32 v5, v5, v23, vcc_lo
	v_cndmask_b32_e32 v4, v4, v31, vcc_lo
	v_cvt_f32_u32_e32 v18, v6
	v_and_b32_e32 v6, 0xffff, v0
	v_lshrrev_b32_e32 v0, 16, v0
	v_cmp_lt_f32_e32 vcc_lo, v5, v21
	s_delay_alu instid0(VALU_DEP_3) | instskip(NEXT) | instid1(VALU_DEP_3)
	v_cvt_f32_u32_e32 v17, v6
	v_cvt_f32_u32_e32 v16, v0
	v_cndmask_b32_e32 v5, v5, v21, vcc_lo
	v_cndmask_b32_e32 v4, v4, v33, vcc_lo
	s_delay_alu instid0(VALU_DEP_2) | instskip(NEXT) | instid1(VALU_DEP_2)
	v_cmp_lt_f32_e32 vcc_lo, v5, v19
	v_dual_cndmask_b32 v5, v5, v19 :: v_dual_cndmask_b32 v4, v4, v34
	s_delay_alu instid0(VALU_DEP_1) | instskip(NEXT) | instid1(VALU_DEP_2)
	v_cmp_lt_f32_e32 vcc_lo, v5, v18
	v_dual_cndmask_b32 v5, v5, v18 :: v_dual_cndmask_b32 v4, v4, v35
	s_delay_alu instid0(VALU_DEP_1) | instskip(NEXT) | instid1(VALU_DEP_2)
	v_cmp_lt_f32_e32 vcc_lo, v5, v17
	v_cndmask_b32_e32 v0, v4, v36, vcc_lo
	v_cndmask_b32_e32 v4, v5, v17, vcc_lo
	v_and_b32_e32 v5, 0xffff, v1
	v_lshrrev_b32_e32 v1, 16, v1
	s_delay_alu instid0(VALU_DEP_3) | instskip(NEXT) | instid1(VALU_DEP_3)
	v_cmp_lt_f32_e32 vcc_lo, v4, v16
	v_cvt_f32_u32_e32 v15, v5
	s_delay_alu instid0(VALU_DEP_3) | instskip(SKIP_2) | instid1(VALU_DEP_2)
	v_cvt_f32_u32_e32 v14, v1
	v_cndmask_b32_e32 v4, v4, v16, vcc_lo
	v_cndmask_b32_e32 v0, v0, v37, vcc_lo
	v_cmp_lt_f32_e32 vcc_lo, v4, v15
	v_dual_cndmask_b32 v1, v4, v15 :: v_dual_and_b32 v4, 0xffff, v2
	v_lshrrev_b32_e32 v2, 16, v2
	s_delay_alu instid0(VALU_DEP_4) | instskip(NEXT) | instid1(VALU_DEP_3)
	v_cndmask_b32_e32 v0, v0, v38, vcc_lo
	v_cmp_lt_f32_e32 vcc_lo, v1, v14
	s_delay_alu instid0(VALU_DEP_4) | instskip(NEXT) | instid1(VALU_DEP_4)
	v_cvt_f32_u32_e32 v13, v4
	v_cvt_f32_u32_e32 v12, v2
	v_dual_cndmask_b32 v1, v1, v14 :: v_dual_and_b32 v2, 0xffff, v3
	s_delay_alu instid0(VALU_DEP_1) | instskip(SKIP_1) | instid1(VALU_DEP_1)
	v_cvt_f32_u32_e32 v7, v2
	v_lshrrev_b32_e32 v2, 16, v3
	v_cvt_f32_u32_e32 v6, v2
	v_cndmask_b32_e32 v0, v0, v39, vcc_lo
	v_cmp_lt_f32_e32 vcc_lo, v1, v13
	s_delay_alu instid0(VALU_DEP_2) | instskip(NEXT) | instid1(VALU_DEP_1)
	v_dual_cndmask_b32 v1, v1, v13 :: v_dual_cndmask_b32 v0, v0, v40
	v_cmp_lt_f32_e32 vcc_lo, v1, v12
	s_delay_alu instid0(VALU_DEP_2) | instskip(NEXT) | instid1(VALU_DEP_1)
	v_dual_cndmask_b32 v1, v1, v12 :: v_dual_cndmask_b32 v0, v0, v41
	v_cmp_lt_f32_e32 vcc_lo, v1, v7
	s_delay_alu instid0(VALU_DEP_2) | instskip(NEXT) | instid1(VALU_DEP_1)
	v_dual_cndmask_b32 v1, v1, v7 :: v_dual_cndmask_b32 v0, v0, v42
	v_cmp_lt_f32_e32 vcc_lo, v1, v6
	s_delay_alu instid0(VALU_DEP_2) | instskip(NEXT) | instid1(VALU_DEP_1)
	v_dual_cndmask_b32 v1, v1, v6 :: v_dual_cndmask_b32 v0, v0, v43
	v_mov_b32_dpp v3, v1 quad_perm:[1,0,3,2] row_mask:0xf bank_mask:0xf
	s_delay_alu instid0(VALU_DEP_2) | instskip(NEXT) | instid1(VALU_DEP_2)
	v_mov_b32_dpp v2, v0 quad_perm:[1,0,3,2] row_mask:0xf bank_mask:0xf
	v_cmp_eq_f32_e64 s2, v1, v3
	s_delay_alu instid0(VALU_DEP_2) | instskip(SKIP_1) | instid1(VALU_DEP_3)
	v_cmp_lt_i32_e32 vcc_lo, v2, v0
	v_cmp_lt_f32_e64 s3, v1, v3
	s_and_b32 s2, s2, vcc_lo
	s_delay_alu instid0(VALU_DEP_1) | instid1(SALU_CYCLE_1)
	s_or_b32 s3, s3, s2
	s_cmp_gt_i32 s4, 0
	v_cndmask_b32_e64 v10, v1, v3, s3
	v_cmp_eq_u32_e64 s2, 0, v11
	s_cselect_b32 s7, -1, 0
	s_delay_alu instid0(SALU_CYCLE_1)
	s_and_b32 vcc_lo, exec_lo, s7
	s_cbranch_vccz .LBB265_18
; %bb.7:
	s_load_b128 s[8:11], s[0:1], 0x20
	v_mul_lo_u32 v1, v44, s14
	v_mul_lo_u32 v3, v44, s4
	v_cndmask_b32_e64 v0, v0, v2, s3
	v_mov_b32_e32 v9, 0
	s_and_saveexec_b32 s1, s2
	s_cbranch_execz .LBB265_9
; %bb.8:
	v_sub_f32_e32 v49, v10, v10
	v_ashrrev_i32_e32 v9, 31, v8
	v_cmp_le_i32_e32 vcc_lo, s5, v0
	v_cmp_gt_i32_e64 s0, s6, v0
	v_subrev_nc_u32_e32 v50, s5, v0
	v_mul_f32_e32 v2, 0x3fb8aa3b, v49
	v_lshlrev_b64 v[45:46], 2, v[8:9]
	s_delay_alu instid0(VALU_DEP_4) | instskip(NEXT) | instid1(SALU_CYCLE_1)
	s_and_b32 s0, vcc_lo, s0
	s_and_b32 vcc_lo, s17, s0
	s_delay_alu instid0(VALU_DEP_2) | instskip(SKIP_1) | instid1(VALU_DEP_2)
	v_rndne_f32_e32 v5, v2
	v_fma_f32 v4, 0x3fb8aa3b, v49, -v2
	v_sub_f32_e32 v2, v2, v5
	s_delay_alu instid0(VALU_DEP_2) | instskip(SKIP_1) | instid1(VALU_DEP_2)
	v_fmamk_f32 v4, v49, 0x32a5705f, v4
	v_cvt_i32_f32_e32 v9, v5
	v_add_f32_e32 v2, v2, v4
	v_ashrrev_i32_e32 v4, 31, v3
	s_delay_alu instid0(VALU_DEP_2) | instskip(SKIP_1) | instid1(VALU_DEP_2)
	v_exp_f32_e32 v51, v2
	v_ashrrev_i32_e32 v2, 31, v1
	v_lshlrev_b64 v[4:5], 2, v[3:4]
	s_delay_alu instid0(VALU_DEP_2) | instskip(SKIP_3) | instid1(TRANS32_DEP_1)
	v_lshlrev_b64 v[47:48], 2, v[1:2]
	v_cndmask_b32_e32 v2, 32, v50, vcc_lo
	v_add_co_u32 v45, vcc_lo, s12, v45
	v_add_co_ci_u32_e32 v46, vcc_lo, s13, v46, vcc_lo
	v_ldexp_f32 v9, v51, v9
	v_cmp_ngt_f32_e32 vcc_lo, 0xc2ce8ed0, v49
	s_delay_alu instid0(VALU_DEP_2)
	v_cndmask_b32_e32 v9, 0, v9, vcc_lo
	s_waitcnt lgkmcnt(0)
	v_add_co_u32 v47, vcc_lo, s8, v47
	v_add_co_ci_u32_e32 v48, vcc_lo, s9, v48, vcc_lo
	v_cmp_nlt_f32_e32 vcc_lo, 0x42b17218, v49
	v_cndmask_b32_e32 v9, 0x7f800000, v9, vcc_lo
	v_add_co_u32 v4, vcc_lo, s10, v4
	v_add_co_ci_u32_e32 v5, vcc_lo, s11, v5, vcc_lo
	global_store_b32 v[47:48], v2, off
	global_store_b32 v[45:46], v9, off
	;; [unrolled: 1-line block ×3, first 2 shown]
.LBB265_9:
	s_or_b32 exec_lo, exec_lo, s1
	v_ashrrev_i32_e32 v4, 31, v0
	s_mov_b32 s0, exec_lo
	s_delay_alu instid0(VALU_DEP_1) | instskip(NEXT) | instid1(VALU_DEP_1)
	v_lshrrev_b32_e32 v2, 28, v4
	v_add_nc_u32_e32 v5, v0, v2
	s_delay_alu instid0(VALU_DEP_1) | instskip(SKIP_1) | instid1(VALU_DEP_1)
	v_ashrrev_i32_e32 v2, 4, v5
	v_lshrrev_b32_e32 v5, 31, v5
	v_add_nc_u32_e32 v5, v2, v5
	s_delay_alu instid0(VALU_DEP_1) | instskip(NEXT) | instid1(VALU_DEP_1)
	v_and_b32_e32 v5, -2, v5
	v_sub_nc_u32_e32 v5, v2, v5
	s_delay_alu instid0(VALU_DEP_1)
	v_cmpx_eq_u32_e64 v11, v5
	s_cbranch_execz .LBB265_11
; %bb.10:
	v_lshrrev_b32_e32 v4, 27, v4
	v_lshlrev_b32_e32 v2, 4, v2
	s_delay_alu instid0(VALU_DEP_2) | instskip(NEXT) | instid1(VALU_DEP_2)
	v_add_nc_u32_e32 v4, v0, v4
	v_sub_nc_u32_e32 v0, v0, v2
	s_delay_alu instid0(VALU_DEP_2) | instskip(NEXT) | instid1(VALU_DEP_1)
	v_ashrrev_i32_e32 v2, 5, v4
	v_lshl_add_u32 v0, v2, 4, v0
	s_delay_alu instid0(VALU_DEP_1)
	v_cmp_ne_u32_e32 vcc_lo, 15, v0
	v_cndmask_b32_e32 v6, 0xff800000, v6, vcc_lo
	v_cmp_ne_u32_e32 vcc_lo, 14, v0
	v_cndmask_b32_e32 v7, 0xff800000, v7, vcc_lo
	;; [unrolled: 2-line block ×16, first 2 shown]
.LBB265_11:
	s_or_b32 exec_lo, exec_lo, s0
	s_cmp_eq_u32 s4, 1
	s_cbranch_scc1 .LBB265_19
; %bb.12:
	s_add_i32 s18, s18, s16
	v_add_nc_u32_e32 v0, 1, v3
	v_add3_u32 v30, s18, v32, v30
	v_add_nc_u32_e32 v2, 1, v1
	v_add_nc_u32_e32 v4, 1, v8
	s_add_i32 s3, s4, -1
	s_branch .LBB265_14
.LBB265_13:                             ;   in Loop: Header=BB265_14 Depth=1
	s_or_b32 exec_lo, exec_lo, s0
	v_add_nc_u32_e32 v30, s16, v30
	v_add_nc_u32_e32 v0, 1, v0
	v_add_nc_u32_e32 v2, 1, v2
	v_add_nc_u32_e32 v4, 1, v4
	s_add_i32 s3, s3, -1
	s_delay_alu instid0(SALU_CYCLE_1)
	s_cmp_eq_u32 s3, 0
	s_cbranch_scc1 .LBB265_19
.LBB265_14:                             ; =>This Inner Loop Header: Depth=1
	v_cmp_gt_f32_e32 vcc_lo, v22, v24
	v_cndmask_b32_e32 v3, v24, v22, vcc_lo
	v_cndmask_b32_e32 v1, v20, v27, vcc_lo
	s_delay_alu instid0(VALU_DEP_2) | instskip(SKIP_1) | instid1(VALU_DEP_3)
	v_cmp_gt_f32_e32 vcc_lo, v26, v3
	v_cndmask_b32_e32 v3, v3, v26, vcc_lo
	v_cndmask_b32_e32 v1, v1, v28, vcc_lo
	s_delay_alu instid0(VALU_DEP_2) | instskip(SKIP_1) | instid1(VALU_DEP_3)
	;; [unrolled: 4-line block ×13, first 2 shown]
	v_cmp_gt_f32_e32 vcc_lo, v7, v3
	v_cndmask_b32_e32 v3, v3, v7, vcc_lo
	v_cndmask_b32_e32 v1, v1, v42, vcc_lo
	s_delay_alu instid0(VALU_DEP_2) | instskip(NEXT) | instid1(VALU_DEP_2)
	v_cmp_gt_f32_e32 vcc_lo, v6, v3
	v_cndmask_b32_e32 v5, v1, v43, vcc_lo
	v_cndmask_b32_e32 v1, v3, v6, vcc_lo
	s_delay_alu instid0(VALU_DEP_2) | instskip(NEXT) | instid1(VALU_DEP_2)
	v_mov_b32_dpp v32, v5 quad_perm:[1,0,3,2] row_mask:0xf bank_mask:0xf
	v_mov_b32_dpp v3, v1 quad_perm:[1,0,3,2] row_mask:0xf bank_mask:0xf
	s_delay_alu instid0(VALU_DEP_2) | instskip(NEXT) | instid1(VALU_DEP_2)
	v_cmp_lt_i32_e32 vcc_lo, v32, v5
	v_cmp_eq_f32_e64 s0, v1, v3
	v_cmp_lt_f32_e64 s1, v1, v3
	s_delay_alu instid0(VALU_DEP_2)
	s_and_b32 s0, s0, vcc_lo
	s_delay_alu instid0(VALU_DEP_1) | instid1(SALU_CYCLE_1)
	s_or_b32 vcc_lo, s1, s0
	v_cndmask_b32_e32 v32, v5, v32, vcc_lo
	s_and_saveexec_b32 s1, s2
	s_cbranch_execz .LBB265_16
; %bb.15:                               ;   in Loop: Header=BB265_14 Depth=1
	v_cndmask_b32_e32 v1, v1, v3, vcc_lo
	s_delay_alu instid0(VALU_DEP_2) | instskip(SKIP_3) | instid1(VALU_DEP_3)
	v_cmp_le_i32_e32 vcc_lo, s5, v32
	v_cmp_gt_i32_e64 s0, s6, v32
	v_subrev_nc_u32_e32 v51, s5, v32
	v_ashrrev_i32_e32 v5, 31, v4
	s_and_b32 s0, vcc_lo, s0
	s_delay_alu instid0(SALU_CYCLE_1) | instskip(SKIP_1) | instid1(VALU_DEP_1)
	s_and_b32 vcc_lo, s17, s0
	v_sub_f32_e32 v50, v1, v10
	v_mul_f32_e32 v1, 0x3fb8aa3b, v50
	s_delay_alu instid0(VALU_DEP_1) | instskip(SKIP_1) | instid1(VALU_DEP_2)
	v_fma_f32 v3, 0x3fb8aa3b, v50, -v1
	v_rndne_f32_e32 v44, v1
	v_fmac_f32_e32 v3, 0x32a5705f, v50
	s_delay_alu instid0(VALU_DEP_2) | instskip(SKIP_2) | instid1(VALU_DEP_3)
	v_sub_f32_e32 v1, v1, v44
	v_cvt_i32_f32_e32 v49, v44
	v_lshlrev_b64 v[44:45], 2, v[4:5]
	v_add_f32_e32 v1, v1, v3
	v_ashrrev_i32_e32 v3, 31, v2
	s_delay_alu instid0(VALU_DEP_2) | instskip(SKIP_1) | instid1(VALU_DEP_2)
	v_exp_f32_e32 v48, v1
	v_ashrrev_i32_e32 v1, 31, v0
	v_lshlrev_b64 v[46:47], 2, v[2:3]
	s_waitcnt_depctr 0xfff
	v_ldexp_f32 v3, v48, v49
	v_lshlrev_b64 v[48:49], 2, v[0:1]
	v_cndmask_b32_e32 v1, 32, v51, vcc_lo
	v_cmp_ngt_f32_e32 vcc_lo, 0xc2ce8ed0, v50
	s_delay_alu instid0(VALU_DEP_4) | instskip(SKIP_3) | instid1(VALU_DEP_4)
	v_cndmask_b32_e32 v3, 0, v3, vcc_lo
	v_add_co_u32 v44, vcc_lo, s12, v44
	v_add_co_ci_u32_e32 v45, vcc_lo, s13, v45, vcc_lo
	v_cmp_nlt_f32_e32 vcc_lo, 0x42b17218, v50
	v_cndmask_b32_e32 v3, 0x7f800000, v3, vcc_lo
	s_waitcnt lgkmcnt(0)
	v_add_co_u32 v46, vcc_lo, s8, v46
	v_add_co_ci_u32_e32 v47, vcc_lo, s9, v47, vcc_lo
	v_add_co_u32 v48, vcc_lo, s10, v48
	v_add_f32_e32 v9, v9, v3
	v_add_co_ci_u32_e32 v49, vcc_lo, s11, v49, vcc_lo
	global_store_b32 v[44:45], v3, off
	global_store_b32 v[46:47], v1, off
	;; [unrolled: 1-line block ×3, first 2 shown]
.LBB265_16:                             ;   in Loop: Header=BB265_14 Depth=1
	s_or_b32 exec_lo, exec_lo, s1
	s_delay_alu instid0(VALU_DEP_1) | instskip(SKIP_1) | instid1(VALU_DEP_1)
	v_ashrrev_i32_e32 v3, 31, v32
	s_mov_b32 s0, exec_lo
	v_lshrrev_b32_e32 v1, 28, v3
	s_delay_alu instid0(VALU_DEP_1) | instskip(NEXT) | instid1(VALU_DEP_1)
	v_add_nc_u32_e32 v5, v32, v1
	v_ashrrev_i32_e32 v1, 4, v5
	v_lshrrev_b32_e32 v5, 31, v5
	s_delay_alu instid0(VALU_DEP_1) | instskip(NEXT) | instid1(VALU_DEP_1)
	v_add_nc_u32_e32 v5, v1, v5
	v_and_b32_e32 v5, -2, v5
	s_delay_alu instid0(VALU_DEP_1) | instskip(NEXT) | instid1(VALU_DEP_1)
	v_sub_nc_u32_e32 v5, v1, v5
	v_cmpx_eq_u32_e64 v11, v5
	s_cbranch_execz .LBB265_13
; %bb.17:                               ;   in Loop: Header=BB265_14 Depth=1
	v_lshrrev_b32_e32 v3, 27, v3
	v_lshlrev_b32_e32 v1, 4, v1
	s_delay_alu instid0(VALU_DEP_2) | instskip(NEXT) | instid1(VALU_DEP_2)
	v_add_nc_u32_e32 v3, v32, v3
	v_sub_nc_u32_e32 v1, v32, v1
	s_delay_alu instid0(VALU_DEP_2) | instskip(NEXT) | instid1(VALU_DEP_1)
	v_ashrrev_i32_e32 v3, 5, v3
	v_lshl_add_u32 v1, v3, 4, v1
	s_delay_alu instid0(VALU_DEP_1)
	v_cmp_ne_u32_e32 vcc_lo, 15, v1
	v_cndmask_b32_e32 v6, 0xff800000, v6, vcc_lo
	v_cmp_ne_u32_e32 vcc_lo, 14, v1
	v_cndmask_b32_e32 v7, 0xff800000, v7, vcc_lo
	;; [unrolled: 2-line block ×16, first 2 shown]
	s_branch .LBB265_13
.LBB265_18:
	v_mov_b32_e32 v9, 0
.LBB265_19:
	v_sub_f32_e32 v5, v25, v10
	v_sub_f32_e32 v0, v24, v10
	;; [unrolled: 1-line block ×5, first 2 shown]
	v_mul_f32_e32 v27, 0x3fb8aa3b, v5
	v_dual_sub_f32 v1, v22, v10 :: v_dual_mul_f32 v2, 0x3fb8aa3b, v0
	v_sub_f32_e32 v3, v26, v10
	v_cmp_ngt_f32_e32 vcc_lo, 0xc2ce8ed0, v0
	s_delay_alu instid0(VALU_DEP_4) | instskip(NEXT) | instid1(VALU_DEP_4)
	v_rndne_f32_e32 v30, v27
	v_mul_f32_e32 v4, 0x3fb8aa3b, v1
	v_fma_f32 v22, 0x3fb8aa3b, v0, -v2
	v_mul_f32_e32 v26, 0x3fb8aa3b, v3
	v_fma_f32 v29, 0x3fb8aa3b, v5, -v27
	v_sub_f32_e32 v20, v23, v10
	v_rndne_f32_e32 v23, v2
	v_fma_f32 v24, 0x3fb8aa3b, v1, -v4
	v_rndne_f32_e32 v25, v4
	v_dual_fmac_f32 v29, 0x32a5705f, v5 :: v_dual_fmac_f32 v22, 0x32a5705f, v0
	s_delay_alu instid0(VALU_DEP_4) | instskip(NEXT) | instid1(VALU_DEP_4)
	v_sub_f32_e32 v2, v2, v23
	v_fmac_f32_e32 v24, 0x32a5705f, v1
	s_delay_alu instid0(VALU_DEP_4) | instskip(SKIP_1) | instid1(VALU_DEP_4)
	v_dual_sub_f32 v4, v4, v25 :: v_dual_sub_f32 v21, v21, v10
	v_cvt_i32_f32_e32 v23, v23
	v_add_f32_e32 v2, v2, v22
	v_fma_f32 v22, 0x3fb8aa3b, v3, -v26
	s_delay_alu instid0(VALU_DEP_4)
	v_add_f32_e32 v4, v4, v24
	v_rndne_f32_e32 v24, v26
	v_cvt_i32_f32_e32 v25, v25
	v_exp_f32_e32 v2, v2
	v_dual_fmac_f32 v22, 0x32a5705f, v3 :: v_dual_sub_f32 v19, v19, v10
	v_exp_f32_e32 v4, v4
	v_sub_f32_e32 v26, v26, v24
	v_cvt_i32_f32_e32 v24, v24
	v_sub_f32_e32 v15, v15, v10
	v_sub_f32_e32 v14, v14, v10
	s_delay_alu instid0(VALU_DEP_4) | instskip(NEXT) | instid1(TRANS32_DEP_2)
	v_add_f32_e32 v22, v26, v22
	v_ldexp_f32 v2, v2, v23
	v_sub_f32_e32 v23, v27, v30
	s_delay_alu instid0(TRANS32_DEP_1) | instskip(NEXT) | instid1(VALU_DEP_4)
	v_ldexp_f32 v4, v4, v25
	v_exp_f32_e32 v22, v22
	s_delay_alu instid0(VALU_DEP_3) | instskip(SKIP_1) | instid1(VALU_DEP_3)
	v_cndmask_b32_e32 v2, 0, v2, vcc_lo
	v_cmp_ngt_f32_e32 vcc_lo, 0xc2ce8ed0, v1
	v_dual_add_f32 v23, v23, v29 :: v_dual_cndmask_b32 v4, 0, v4
	v_cmp_nlt_f32_e32 vcc_lo, 0x42b17218, v0
	s_delay_alu instid0(VALU_DEP_2) | instskip(SKIP_3) | instid1(TRANS32_DEP_2)
	v_exp_f32_e32 v23, v23
	v_cndmask_b32_e32 v0, 0x7f800000, v2, vcc_lo
	v_cmp_nlt_f32_e32 vcc_lo, 0x42b17218, v1
	v_cndmask_b32_e32 v1, 0x7f800000, v4, vcc_lo
	v_ldexp_f32 v4, v22, v24
	v_cmp_ngt_f32_e32 vcc_lo, 0xc2ce8ed0, v3
	s_delay_alu instid0(VALU_DEP_2)
	v_dual_add_f32 v0, v0, v1 :: v_dual_cndmask_b32 v1, 0, v4
	v_cvt_i32_f32_e32 v4, v30
	v_cmp_nlt_f32_e32 vcc_lo, 0x42b17218, v3
	s_delay_alu instid0(TRANS32_DEP_1) | instid1(VALU_DEP_2)
	v_ldexp_f32 v3, v23, v4
	s_delay_alu instid0(VALU_DEP_4) | instskip(SKIP_3) | instid1(VALU_DEP_4)
	v_cndmask_b32_e32 v1, 0x7f800000, v1, vcc_lo
	v_cmp_ngt_f32_e32 vcc_lo, 0xc2ce8ed0, v5
	v_mul_f32_e32 v28, 0x3fb8aa3b, v20
	v_mul_f32_e32 v4, 0x3fb8aa3b, v21
	v_dual_add_f32 v0, v0, v1 :: v_dual_cndmask_b32 v1, 0, v3
	s_delay_alu instid0(VALU_DEP_3) | instskip(SKIP_1) | instid1(VALU_DEP_4)
	v_fma_f32 v2, 0x3fb8aa3b, v20, -v28
	v_rndne_f32_e32 v22, v28
	v_fma_f32 v3, 0x3fb8aa3b, v21, -v4
	v_rndne_f32_e32 v23, v4
	v_cmp_nlt_f32_e32 vcc_lo, 0x42b17218, v5
	v_fmac_f32_e32 v2, 0x32a5705f, v20
	v_sub_f32_e32 v24, v28, v22
	v_cvt_i32_f32_e32 v5, v22
	v_fmac_f32_e32 v3, 0x32a5705f, v21
	v_dual_cndmask_b32 v1, 0x7f800000, v1 :: v_dual_sub_f32 v4, v4, v23
	s_delay_alu instid0(VALU_DEP_4) | instskip(SKIP_1) | instid1(VALU_DEP_3)
	v_add_f32_e32 v2, v24, v2
	v_cmp_ngt_f32_e32 vcc_lo, 0xc2ce8ed0, v20
	v_add_f32_e32 v0, v0, v1
	s_delay_alu instid0(VALU_DEP_3) | instskip(SKIP_2) | instid1(VALU_DEP_1)
	v_exp_f32_e32 v2, v2
	s_waitcnt_depctr 0xfff
	v_ldexp_f32 v1, v2, v5
	v_dual_add_f32 v2, v4, v3 :: v_dual_cndmask_b32 v1, 0, v1
	s_delay_alu instid0(VALU_DEP_1) | instskip(SKIP_2) | instid1(VALU_DEP_3)
	v_exp_f32_e32 v2, v2
	v_cmp_nlt_f32_e32 vcc_lo, 0x42b17218, v20
	v_cvt_i32_f32_e32 v20, v23
	v_cndmask_b32_e32 v1, 0x7f800000, v1, vcc_lo
	v_cmp_ngt_f32_e32 vcc_lo, 0xc2ce8ed0, v21
	s_delay_alu instid0(VALU_DEP_2) | instskip(SKIP_2) | instid1(VALU_DEP_1)
	v_add_f32_e32 v0, v0, v1
	s_waitcnt_depctr 0xfff
	v_ldexp_f32 v1, v2, v20
	v_cndmask_b32_e32 v1, 0, v1, vcc_lo
	v_cmp_nlt_f32_e32 vcc_lo, 0x42b17218, v21
	v_mul_f32_e32 v21, 0x3fb8aa3b, v14
	s_delay_alu instid0(VALU_DEP_3) | instskip(SKIP_2) | instid1(VALU_DEP_3)
	v_cndmask_b32_e32 v1, 0x7f800000, v1, vcc_lo
	v_cmp_ngt_f32_e32 vcc_lo, 0xc2ce8ed0, v19
	v_mul_f32_e32 v22, 0x3fb8aa3b, v19
	v_add_f32_e32 v0, v0, v1
	s_delay_alu instid0(VALU_DEP_2) | instskip(SKIP_1) | instid1(VALU_DEP_2)
	v_fma_f32 v3, 0x3fb8aa3b, v19, -v22
	v_rndne_f32_e32 v4, v22
	v_fmac_f32_e32 v3, 0x32a5705f, v19
	s_delay_alu instid0(VALU_DEP_2) | instskip(SKIP_1) | instid1(VALU_DEP_2)
	v_sub_f32_e32 v5, v22, v4
	v_cvt_i32_f32_e32 v4, v4
	v_add_f32_e32 v3, v5, v3
	s_delay_alu instid0(VALU_DEP_1) | instskip(SKIP_2) | instid1(VALU_DEP_1)
	v_exp_f32_e32 v2, v3
	s_waitcnt_depctr 0xfff
	v_ldexp_f32 v2, v2, v4
	v_cndmask_b32_e32 v1, 0, v2, vcc_lo
	v_cmp_nlt_f32_e32 vcc_lo, 0x42b17218, v19
	s_delay_alu instid0(VALU_DEP_2) | instskip(SKIP_2) | instid1(VALU_DEP_3)
	v_cndmask_b32_e32 v1, 0x7f800000, v1, vcc_lo
	v_mul_f32_e32 v5, 0x3fb8aa3b, v18
	v_cmp_ngt_f32_e32 vcc_lo, 0xc2ce8ed0, v18
	v_add_f32_e32 v0, v0, v1
	s_delay_alu instid0(VALU_DEP_3) | instskip(SKIP_1) | instid1(VALU_DEP_2)
	v_fma_f32 v3, 0x3fb8aa3b, v18, -v5
	v_rndne_f32_e32 v20, v5
	v_fmac_f32_e32 v3, 0x32a5705f, v18
	s_delay_alu instid0(VALU_DEP_2) | instskip(NEXT) | instid1(VALU_DEP_1)
	v_sub_f32_e32 v5, v5, v20
	v_add_f32_e32 v3, v5, v3
	v_sub_f32_e32 v5, v16, v10
	v_cvt_i32_f32_e32 v16, v20
	s_delay_alu instid0(VALU_DEP_3) | instskip(SKIP_2) | instid1(VALU_DEP_1)
	v_exp_f32_e32 v2, v3
	s_waitcnt_depctr 0xfff
	v_ldexp_f32 v1, v2, v16
	v_dual_sub_f32 v4, v17, v10 :: v_dual_cndmask_b32 v1, 0, v1
	s_delay_alu instid0(VALU_DEP_1) | instskip(SKIP_1) | instid1(VALU_DEP_2)
	v_mul_f32_e32 v3, 0x3fb8aa3b, v4
	v_cmp_nlt_f32_e32 vcc_lo, 0x42b17218, v18
	v_rndne_f32_e32 v19, v3
	v_fma_f32 v17, 0x3fb8aa3b, v4, -v3
	s_delay_alu instid0(VALU_DEP_2) | instskip(SKIP_1) | instid1(VALU_DEP_3)
	v_sub_f32_e32 v2, v3, v19
	v_mul_f32_e32 v20, 0x3fb8aa3b, v5
	v_fmac_f32_e32 v17, 0x32a5705f, v4
	v_cvt_i32_f32_e32 v19, v19
	s_delay_alu instid0(VALU_DEP_3) | instskip(SKIP_1) | instid1(VALU_DEP_4)
	v_fma_f32 v3, 0x3fb8aa3b, v5, -v20
	v_rndne_f32_e32 v16, v20
	v_add_f32_e32 v2, v2, v17
	s_delay_alu instid0(VALU_DEP_3) | instskip(NEXT) | instid1(VALU_DEP_3)
	v_fmac_f32_e32 v3, 0x32a5705f, v5
	v_dual_sub_f32 v17, v20, v16 :: v_dual_mul_f32 v20, 0x3fb8aa3b, v15
	s_delay_alu instid0(VALU_DEP_3) | instskip(NEXT) | instid1(VALU_DEP_1)
	v_exp_f32_e32 v2, v2
	v_add_f32_e32 v3, v17, v3
	s_delay_alu instid0(VALU_DEP_2) | instskip(SKIP_4) | instid1(VALU_DEP_3)
	v_fma_f32 v17, 0x3fb8aa3b, v15, -v20
	v_rndne_f32_e32 v18, v20
	v_cndmask_b32_e32 v1, 0x7f800000, v1, vcc_lo
	v_cmp_ngt_f32_e32 vcc_lo, 0xc2ce8ed0, v4
	v_exp_f32_e32 v3, v3
	v_dual_fmac_f32 v17, 0x32a5705f, v15 :: v_dual_sub_f32 v20, v20, v18
	s_delay_alu instid0(VALU_DEP_3) | instskip(NEXT) | instid1(TRANS32_DEP_2)
	v_add_f32_e32 v0, v0, v1
	v_ldexp_f32 v1, v2, v19
	v_cvt_i32_f32_e32 v2, v16
	v_rndne_f32_e32 v19, v21
	v_add_f32_e32 v16, v20, v17
	v_fma_f32 v17, 0x3fb8aa3b, v14, -v21
	v_cndmask_b32_e32 v1, 0, v1, vcc_lo
	s_delay_alu instid0(TRANS32_DEP_1)
	v_ldexp_f32 v2, v3, v2
	v_cmp_nlt_f32_e32 vcc_lo, 0x42b17218, v4
	v_exp_f32_e32 v3, v16
	v_sub_f32_e32 v16, v21, v19
	v_cvt_i32_f32_e32 v4, v18
	v_fmac_f32_e32 v17, 0x32a5705f, v14
	v_cndmask_b32_e32 v1, 0x7f800000, v1, vcc_lo
	v_cmp_ngt_f32_e32 vcc_lo, 0xc2ce8ed0, v5
	s_delay_alu instid0(VALU_DEP_2) | instskip(NEXT) | instid1(TRANS32_DEP_1)
	v_add_f32_e32 v0, v0, v1
	v_ldexp_f32 v1, v3, v4
	v_cndmask_b32_e32 v2, 0, v2, vcc_lo
	v_cmp_nlt_f32_e32 vcc_lo, 0x42b17218, v5
	v_dual_sub_f32 v4, v13, v10 :: v_dual_mul_f32 v13, 0x3fb8aa3b, v12
	s_delay_alu instid0(VALU_DEP_3) | instskip(SKIP_1) | instid1(VALU_DEP_3)
	v_cndmask_b32_e32 v2, 0x7f800000, v2, vcc_lo
	v_cmp_ngt_f32_e32 vcc_lo, 0xc2ce8ed0, v15
	v_mul_f32_e32 v5, 0x3fb8aa3b, v4
	v_cndmask_b32_e32 v1, 0, v1, vcc_lo
	v_cmp_nlt_f32_e32 vcc_lo, 0x42b17218, v15
	v_add_f32_e32 v0, v0, v2
	v_cvt_i32_f32_e32 v2, v19
	s_delay_alu instid0(VALU_DEP_4) | instskip(SKIP_1) | instid1(VALU_DEP_2)
	v_cndmask_b32_e32 v1, 0x7f800000, v1, vcc_lo
	v_cmp_ngt_f32_e32 vcc_lo, 0xc2ce8ed0, v14
	v_add_f32_e32 v0, v0, v1
	v_fma_f32 v1, 0x3fb8aa3b, v4, -v5
	s_delay_alu instid0(VALU_DEP_1) | instskip(NEXT) | instid1(VALU_DEP_1)
	v_dual_add_f32 v16, v16, v17 :: v_dual_fmac_f32 v1, 0x32a5705f, v4
	v_exp_f32_e32 v3, v16
	s_waitcnt_depctr 0xfff
	v_ldexp_f32 v2, v3, v2
	v_rndne_f32_e32 v3, v5
	s_delay_alu instid0(VALU_DEP_1) | instskip(SKIP_2) | instid1(VALU_DEP_3)
	v_dual_cndmask_b32 v2, 0, v2 :: v_dual_sub_f32 v5, v5, v3
	v_cmp_nlt_f32_e32 vcc_lo, 0x42b17218, v14
	v_cvt_i32_f32_e32 v3, v3
	v_dual_add_f32 v1, v5, v1 :: v_dual_cndmask_b32 v2, 0x7f800000, v2
	v_rndne_f32_e32 v5, v13
	v_cmp_ngt_f32_e32 vcc_lo, 0xc2ce8ed0, v4
	s_delay_alu instid0(VALU_DEP_3) | instskip(SKIP_4) | instid1(VALU_DEP_3)
	v_exp_f32_e32 v1, v1
	s_waitcnt_depctr 0xfff
	v_ldexp_f32 v1, v1, v3
	v_add_f32_e32 v0, v0, v2
	v_fma_f32 v2, 0x3fb8aa3b, v12, -v13
	v_cndmask_b32_e32 v1, 0, v1, vcc_lo
	v_cmp_nlt_f32_e32 vcc_lo, 0x42b17218, v4
	v_sub_f32_e32 v6, v6, v10
	s_delay_alu instid0(VALU_DEP_4)
	v_fmac_f32_e32 v2, 0x32a5705f, v12
	v_mul_f32_e32 v14, 0x3fb8aa3b, v7
	v_sub_f32_e32 v10, v13, v5
	v_cndmask_b32_e32 v1, 0x7f800000, v1, vcc_lo
	v_mul_f32_e32 v16, 0x3fb8aa3b, v6
	v_cvt_i32_f32_e32 v5, v5
	v_fma_f32 v13, 0x3fb8aa3b, v7, -v14
	v_rndne_f32_e32 v15, v14
	v_add_f32_e32 v2, v10, v2
	v_rndne_f32_e32 v17, v16
	s_delay_alu instid0(VALU_DEP_4) | instskip(NEXT) | instid1(VALU_DEP_4)
	v_dual_add_f32 v0, v0, v1 :: v_dual_fmac_f32 v13, 0x32a5705f, v7
	v_sub_f32_e32 v10, v14, v15
	s_delay_alu instid0(VALU_DEP_4) | instskip(SKIP_2) | instid1(VALU_DEP_3)
	v_exp_f32_e32 v2, v2
	v_fma_f32 v14, 0x3fb8aa3b, v6, -v16
	v_cvt_i32_f32_e32 v4, v15
	v_add_f32_e32 v3, v10, v13
	v_sub_f32_e32 v10, v16, v17
	s_delay_alu instid0(VALU_DEP_4) | instskip(SKIP_1) | instid1(VALU_DEP_4)
	v_fmac_f32_e32 v14, 0x32a5705f, v6
	v_cmp_ngt_f32_e32 vcc_lo, 0xc2ce8ed0, v12
	v_exp_f32_e32 v3, v3
	s_delay_alu instid0(TRANS32_DEP_2) | instskip(NEXT) | instid1(VALU_DEP_3)
	v_ldexp_f32 v2, v2, v5
	v_add_f32_e32 v10, v10, v14
	s_delay_alu instid0(VALU_DEP_2) | instskip(SKIP_1) | instid1(VALU_DEP_3)
	v_cndmask_b32_e32 v2, 0, v2, vcc_lo
	v_cmp_nlt_f32_e32 vcc_lo, 0x42b17218, v12
	v_exp_f32_e32 v5, v10
	s_waitcnt_depctr 0xfff
	v_ldexp_f32 v1, v3, v4
	v_cvt_i32_f32_e32 v3, v17
	v_cndmask_b32_e32 v2, 0x7f800000, v2, vcc_lo
	v_cmp_ngt_f32_e32 vcc_lo, 0xc2ce8ed0, v7
	s_delay_alu instid0(VALU_DEP_2) | instskip(SKIP_2) | instid1(VALU_DEP_3)
	v_dual_add_f32 v0, v0, v2 :: v_dual_cndmask_b32 v1, 0, v1
	v_cmp_nlt_f32_e32 vcc_lo, 0x42b17218, v7
	v_ldexp_f32 v3, v5, v3
	v_cndmask_b32_e32 v1, 0x7f800000, v1, vcc_lo
	v_cmp_ngt_f32_e32 vcc_lo, 0xc2ce8ed0, v6
	s_delay_alu instid0(VALU_DEP_2) | instskip(NEXT) | instid1(VALU_DEP_4)
	v_add_f32_e32 v0, v0, v1
	v_cndmask_b32_e32 v2, 0, v3, vcc_lo
	v_cmp_nlt_f32_e32 vcc_lo, 0x42b17218, v6
	s_delay_alu instid0(VALU_DEP_2) | instskip(SKIP_1) | instid1(VALU_DEP_2)
	v_cndmask_b32_e32 v1, 0x7f800000, v2, vcc_lo
	v_cmp_eq_u32_e32 vcc_lo, 0, v11
	v_add_f32_e32 v0, v0, v1
	s_delay_alu instid0(VALU_DEP_1)
	v_mov_b32_dpp v1, v0 quad_perm:[1,0,3,2] row_mask:0xf bank_mask:0xf
	s_and_b32 exec_lo, exec_lo, vcc_lo
	s_cbranch_execz .LBB265_24
; %bb.20:
	s_delay_alu instid0(VALU_DEP_1) | instskip(NEXT) | instid1(VALU_DEP_1)
	v_add_f32_e32 v0, v0, v1
	v_add_f32_e32 v0, v9, v0
	s_delay_alu instid0(VALU_DEP_1)
	v_cmp_neq_f32_e32 vcc_lo, 0, v0
	s_and_b32 exec_lo, exec_lo, vcc_lo
	s_cbranch_execz .LBB265_24
; %bb.21:
	s_and_not1_b32 vcc_lo, exec_lo, s7
	s_cbranch_vccnz .LBB265_24
; %bb.22:
	v_div_scale_f32 v1, null, v0, v0, 1.0
	v_div_scale_f32 v4, vcc_lo, 1.0, v0, 1.0
	v_ashrrev_i32_e32 v9, 31, v8
	s_delay_alu instid0(VALU_DEP_3) | instskip(SKIP_2) | instid1(VALU_DEP_1)
	v_rcp_f32_e32 v2, v1
	s_waitcnt_depctr 0xfff
	v_fma_f32 v3, -v1, v2, 1.0
	v_fmac_f32_e32 v2, v3, v2
	s_delay_alu instid0(VALU_DEP_1) | instskip(NEXT) | instid1(VALU_DEP_1)
	v_mul_f32_e32 v3, v4, v2
	v_fma_f32 v5, -v1, v3, v4
	s_delay_alu instid0(VALU_DEP_1) | instskip(NEXT) | instid1(VALU_DEP_1)
	v_fmac_f32_e32 v3, v5, v2
	v_fma_f32 v1, -v1, v3, v4
	s_delay_alu instid0(VALU_DEP_1) | instskip(SKIP_1) | instid1(VALU_DEP_2)
	v_div_fmas_f32 v1, v1, v2, v3
	v_lshlrev_b64 v[3:4], 2, v[8:9]
	v_div_fixup_f32 v2, v1, v0, 1.0
	s_delay_alu instid0(VALU_DEP_2) | instskip(NEXT) | instid1(VALU_DEP_3)
	v_add_co_u32 v0, vcc_lo, s12, v3
	v_add_co_ci_u32_e32 v1, vcc_lo, s13, v4, vcc_lo
.LBB265_23:                             ; =>This Inner Loop Header: Depth=1
	global_load_b32 v3, v[0:1], off
	s_add_i32 s4, s4, -1
	s_delay_alu instid0(SALU_CYCLE_1)
	s_cmp_lg_u32 s4, 0
	s_waitcnt vmcnt(0)
	v_mul_f32_e32 v3, v2, v3
	global_store_b32 v[0:1], v3, off
	v_add_co_u32 v0, vcc_lo, v0, 4
	v_add_co_ci_u32_e32 v1, vcc_lo, 0, v1, vcc_lo
	s_cbranch_scc1 .LBB265_23
.LBB265_24:
	s_nop 0
	s_sendmsg sendmsg(MSG_DEALLOC_VGPRS)
	s_endpgm
	.section	.rodata,"a",@progbits
	.p2align	6, 0x0
	.amdhsa_kernel _ZN4vllm3moe17topkGatingSoftmaxItLi16ELi32ELi8ELi32ELb0ELi4ELNS0_23SharedExpertScoringFuncE1EEEvPKT_PKbPfiPiS9_iiiiii
		.amdhsa_group_segment_fixed_size 0
		.amdhsa_private_segment_fixed_size 0
		.amdhsa_kernarg_size 72
		.amdhsa_user_sgpr_count 15
		.amdhsa_user_sgpr_dispatch_ptr 0
		.amdhsa_user_sgpr_queue_ptr 0
		.amdhsa_user_sgpr_kernarg_segment_ptr 1
		.amdhsa_user_sgpr_dispatch_id 0
		.amdhsa_user_sgpr_private_segment_size 0
		.amdhsa_wavefront_size32 1
		.amdhsa_uses_dynamic_stack 0
		.amdhsa_enable_private_segment 0
		.amdhsa_system_sgpr_workgroup_id_x 1
		.amdhsa_system_sgpr_workgroup_id_y 0
		.amdhsa_system_sgpr_workgroup_id_z 0
		.amdhsa_system_sgpr_workgroup_info 0
		.amdhsa_system_vgpr_workitem_id 1
		.amdhsa_next_free_vgpr 52
		.amdhsa_next_free_sgpr 19
		.amdhsa_reserve_vcc 1
		.amdhsa_float_round_mode_32 0
		.amdhsa_float_round_mode_16_64 0
		.amdhsa_float_denorm_mode_32 3
		.amdhsa_float_denorm_mode_16_64 3
		.amdhsa_dx10_clamp 1
		.amdhsa_ieee_mode 1
		.amdhsa_fp16_overflow 0
		.amdhsa_workgroup_processor_mode 1
		.amdhsa_memory_ordered 1
		.amdhsa_forward_progress 0
		.amdhsa_shared_vgpr_count 0
		.amdhsa_exception_fp_ieee_invalid_op 0
		.amdhsa_exception_fp_denorm_src 0
		.amdhsa_exception_fp_ieee_div_zero 0
		.amdhsa_exception_fp_ieee_overflow 0
		.amdhsa_exception_fp_ieee_underflow 0
		.amdhsa_exception_fp_ieee_inexact 0
		.amdhsa_exception_int_div_zero 0
	.end_amdhsa_kernel
	.section	.text._ZN4vllm3moe17topkGatingSoftmaxItLi16ELi32ELi8ELi32ELb0ELi4ELNS0_23SharedExpertScoringFuncE1EEEvPKT_PKbPfiPiS9_iiiiii,"axG",@progbits,_ZN4vllm3moe17topkGatingSoftmaxItLi16ELi32ELi8ELi32ELb0ELi4ELNS0_23SharedExpertScoringFuncE1EEEvPKT_PKbPfiPiS9_iiiiii,comdat
.Lfunc_end265:
	.size	_ZN4vllm3moe17topkGatingSoftmaxItLi16ELi32ELi8ELi32ELb0ELi4ELNS0_23SharedExpertScoringFuncE1EEEvPKT_PKbPfiPiS9_iiiiii, .Lfunc_end265-_ZN4vllm3moe17topkGatingSoftmaxItLi16ELi32ELi8ELi32ELb0ELi4ELNS0_23SharedExpertScoringFuncE1EEEvPKT_PKbPfiPiS9_iiiiii
                                        ; -- End function
	.section	.AMDGPU.csdata,"",@progbits
; Kernel info:
; codeLenInByte = 4680
; NumSgprs: 21
; NumVgprs: 52
; ScratchSize: 0
; MemoryBound: 0
; FloatMode: 240
; IeeeMode: 1
; LDSByteSize: 0 bytes/workgroup (compile time only)
; SGPRBlocks: 2
; VGPRBlocks: 6
; NumSGPRsForWavesPerEU: 21
; NumVGPRsForWavesPerEU: 52
; Occupancy: 16
; WaveLimiterHint : 0
; COMPUTE_PGM_RSRC2:SCRATCH_EN: 0
; COMPUTE_PGM_RSRC2:USER_SGPR: 15
; COMPUTE_PGM_RSRC2:TRAP_HANDLER: 0
; COMPUTE_PGM_RSRC2:TGID_X_EN: 1
; COMPUTE_PGM_RSRC2:TGID_Y_EN: 0
; COMPUTE_PGM_RSRC2:TGID_Z_EN: 0
; COMPUTE_PGM_RSRC2:TIDIG_COMP_CNT: 1
	.section	.text._ZN4vllm3moe17topkGatingSoftmaxItLi16ELi32ELi8ELi32ELb1ELi8ELNS0_23SharedExpertScoringFuncE1EEEvPKT_PKbPfiPiS9_iiiiii,"axG",@progbits,_ZN4vllm3moe17topkGatingSoftmaxItLi16ELi32ELi8ELi32ELb1ELi8ELNS0_23SharedExpertScoringFuncE1EEEvPKT_PKbPfiPiS9_iiiiii,comdat
	.protected	_ZN4vllm3moe17topkGatingSoftmaxItLi16ELi32ELi8ELi32ELb1ELi8ELNS0_23SharedExpertScoringFuncE1EEEvPKT_PKbPfiPiS9_iiiiii ; -- Begin function _ZN4vllm3moe17topkGatingSoftmaxItLi16ELi32ELi8ELi32ELb1ELi8ELNS0_23SharedExpertScoringFuncE1EEEvPKT_PKbPfiPiS9_iiiiii
	.globl	_ZN4vllm3moe17topkGatingSoftmaxItLi16ELi32ELi8ELi32ELb1ELi8ELNS0_23SharedExpertScoringFuncE1EEEvPKT_PKbPfiPiS9_iiiiii
	.p2align	8
	.type	_ZN4vllm3moe17topkGatingSoftmaxItLi16ELi32ELi8ELi32ELb1ELi8ELNS0_23SharedExpertScoringFuncE1EEEvPKT_PKbPfiPiS9_iiiiii,@function
_ZN4vllm3moe17topkGatingSoftmaxItLi16ELi32ELi8ELi32ELb1ELi8ELNS0_23SharedExpertScoringFuncE1EEEvPKT_PKbPfiPiS9_iiiiii: ; @_ZN4vllm3moe17topkGatingSoftmaxItLi16ELi32ELi8ELi32ELb1ELi8ELNS0_23SharedExpertScoringFuncE1EEEvPKT_PKbPfiPiS9_iiiiii
; %bb.0:
	s_load_b32 s3, s[0:1], 0x18
	v_bfe_u32 v1, v0, 10, 10
	v_and_b32_e32 v0, 0x3ff, v0
	s_lshl_b32 s17, s15, 7
	s_mov_b32 s2, exec_lo
	s_delay_alu instid0(VALU_DEP_2) | instskip(NEXT) | instid1(VALU_DEP_2)
	v_lshlrev_b32_e32 v23, 4, v1
	v_lshrrev_b32_e32 v25, 1, v0
	s_delay_alu instid0(VALU_DEP_1) | instskip(SKIP_1) | instid1(VALU_DEP_1)
	v_add3_u32 v45, s17, v23, v25
	s_waitcnt lgkmcnt(0)
	v_cmpx_gt_i32_e64 s3, v45
	s_cbranch_execz .LBB266_23
; %bb.1:
	s_clause 0x1
	s_load_b128 s[8:11], s[0:1], 0x0
	s_load_b64 s[12:13], s[0:1], 0x10
	s_waitcnt lgkmcnt(0)
	s_cmp_eq_u64 s[10:11], 0
	s_cbranch_scc1 .LBB266_3
; %bb.2:
	v_ashrrev_i32_e32 v2, 31, v45
	v_add_co_u32 v1, vcc_lo, s10, v45
	s_delay_alu instid0(VALU_DEP_2) | instskip(SKIP_3) | instid1(VALU_DEP_1)
	v_add_co_ci_u32_e32 v2, vcc_lo, s11, v2, vcc_lo
	global_load_u8 v1, v[1:2], off
	s_waitcnt vmcnt(0)
	v_and_b32_e32 v1, 1, v1
	v_cmp_eq_u32_e32 vcc_lo, 1, v1
	s_xor_b32 s2, vcc_lo, -1
	s_delay_alu instid0(SALU_CYCLE_1)
	s_or_not1_b32 s16, s2, exec_lo
	s_branch .LBB266_4
.LBB266_3:
	s_mov_b32 s16, -1
.LBB266_4:
	s_clause 0x1
	s_load_b64 s[14:15], s[0:1], 0x40
	s_load_b128 s[4:7], s[0:1], 0x30
	v_and_b32_e32 v11, 1, v0
	s_delay_alu instid0(VALU_DEP_1)
	v_lshlrev_b32_e32 v0, 5, v11
	v_lshlrev_b32_e32 v12, 1, v11
	v_mov_b32_e32 v14, v11
	s_waitcnt lgkmcnt(0)
	v_mul_lo_u32 v1, v45, s15
	v_mul_lo_u32 v8, v45, s7
	s_mov_b32 s7, 0
	s_delay_alu instid0(VALU_DEP_2) | instskip(NEXT) | instid1(VALU_DEP_2)
	v_ashrrev_i32_e32 v2, 31, v1
	v_add_nc_u32_e32 v13, s4, v8
	s_delay_alu instid0(VALU_DEP_2) | instskip(NEXT) | instid1(VALU_DEP_1)
	v_lshlrev_b64 v[9:10], 1, v[1:2]
	v_add_co_u32 v1, vcc_lo, s8, v9
	s_delay_alu instid0(VALU_DEP_2) | instskip(NEXT) | instid1(VALU_DEP_2)
	v_add_co_ci_u32_e32 v2, vcc_lo, s9, v10, vcc_lo
	v_add_co_u32 v4, vcc_lo, v1, v0
	s_delay_alu instid0(VALU_DEP_2)
	v_add_co_ci_u32_e32 v5, vcc_lo, 0, v2, vcc_lo
	v_add_co_u32 v9, vcc_lo, v9, v12
	v_add_co_ci_u32_e32 v10, vcc_lo, 0, v10, vcc_lo
	s_clause 0x1
	global_load_b128 v[0:3], v[4:5], off offset:16
	global_load_b128 v[4:7], v[4:5], off
	v_add_co_u32 v9, vcc_lo, v9, s8
	v_add_co_ci_u32_e32 v10, vcc_lo, s9, v10, vcc_lo
	v_lshlrev_b32_e32 v12, 4, v11
	s_delay_alu instid0(VALU_DEP_3) | instskip(NEXT) | instid1(VALU_DEP_3)
	v_add_co_u32 v9, vcc_lo, v9, 64
	v_add_co_ci_u32_e32 v10, vcc_lo, 0, v10, vcc_lo
.LBB266_5:                              ; =>This Inner Loop Header: Depth=1
	global_load_u16 v15, v[9:10], off
	v_add_co_u32 v9, s2, v9, 4
	s_delay_alu instid0(VALU_DEP_1) | instskip(SKIP_2) | instid1(VALU_DEP_2)
	v_add_co_ci_u32_e64 v10, s2, 0, v10, s2
	v_cmp_lt_u32_e64 s2, 5, v14
	v_add_nc_u32_e32 v22, 2, v14
	s_or_b32 s7, s2, s7
	s_waitcnt vmcnt(0)
	v_cvt_f32_u32_e32 v15, v15
	s_delay_alu instid0(VALU_DEP_1) | instskip(SKIP_1) | instid1(VALU_DEP_2)
	v_mul_f32_e32 v16, 0xbfb8aa3b, v15
	v_cmp_nlt_f32_e32 vcc_lo, 0x42ce8ed0, v15
	v_rndne_f32_e32 v17, v16
	v_fma_f32 v18, 0xbfb8aa3b, v15, -v16
	s_delay_alu instid0(VALU_DEP_2) | instskip(NEXT) | instid1(VALU_DEP_2)
	v_sub_f32_e32 v16, v16, v17
	v_fmac_f32_e32 v18, 0xb2a5705f, v15
	v_cvt_i32_f32_e32 v17, v17
	s_delay_alu instid0(VALU_DEP_2) | instskip(NEXT) | instid1(VALU_DEP_1)
	v_add_f32_e32 v16, v16, v18
	v_exp_f32_e32 v16, v16
	s_waitcnt_depctr 0xfff
	v_ldexp_f32 v16, v16, v17
	s_delay_alu instid0(VALU_DEP_1) | instskip(SKIP_1) | instid1(VALU_DEP_2)
	v_cndmask_b32_e32 v16, 0, v16, vcc_lo
	v_cmp_ngt_f32_e32 vcc_lo, 0xc2b17218, v15
	v_cndmask_b32_e32 v15, 0x7f800000, v16, vcc_lo
	s_delay_alu instid0(VALU_DEP_1) | instskip(NEXT) | instid1(VALU_DEP_1)
	v_add_f32_e32 v18, 1.0, v15
	v_div_scale_f32 v17, null, v18, v18, 1.0
	v_div_scale_f32 v20, vcc_lo, 1.0, v18, 1.0
	s_delay_alu instid0(VALU_DEP_2) | instskip(SKIP_2) | instid1(VALU_DEP_1)
	v_rcp_f32_e32 v19, v17
	s_waitcnt_depctr 0xfff
	v_fma_f32 v15, -v17, v19, 1.0
	v_fmac_f32_e32 v19, v15, v19
	v_add_nc_u32_e32 v15, v13, v14
	s_delay_alu instid0(VALU_DEP_2) | instskip(NEXT) | instid1(VALU_DEP_1)
	v_mul_f32_e32 v21, v20, v19
	v_fma_f32 v16, -v17, v21, v20
	s_delay_alu instid0(VALU_DEP_1) | instskip(NEXT) | instid1(VALU_DEP_4)
	v_fmac_f32_e32 v21, v16, v19
	v_ashrrev_i32_e32 v16, 31, v15
	s_delay_alu instid0(VALU_DEP_2) | instskip(NEXT) | instid1(VALU_DEP_2)
	v_fma_f32 v17, -v17, v21, v20
	v_lshlrev_b64 v[14:15], 2, v[15:16]
	s_delay_alu instid0(VALU_DEP_2) | instskip(NEXT) | instid1(VALU_DEP_2)
	v_div_fmas_f32 v19, v17, v19, v21
	v_add_co_u32 v16, vcc_lo, s12, v14
	v_mov_b32_e32 v14, v22
	s_delay_alu instid0(VALU_DEP_4) | instskip(NEXT) | instid1(VALU_DEP_4)
	v_add_co_ci_u32_e32 v17, vcc_lo, s13, v15, vcc_lo
	v_div_fixup_f32 v15, v19, v18, 1.0
	global_store_b32 v[16:17], v15, off
	s_and_not1_b32 exec_lo, exec_lo, s7
	s_cbranch_execnz .LBB266_5
; %bb.6:
	s_or_b32 exec_lo, exec_lo, s7
	v_lshrrev_b32_e32 v9, 16, v4
	v_or_b32_e32 v14, 1, v12
	v_or_b32_e32 v16, 2, v12
	;; [unrolled: 1-line block ×4, first 2 shown]
	v_cvt_f32_u32_e32 v10, v9
	v_and_b32_e32 v4, 0xffff, v4
	v_or_b32_e32 v26, 7, v12
	v_or_b32_e32 v30, 9, v12
	;; [unrolled: 1-line block ×4, first 2 shown]
	v_cvt_f32_u32_e32 v13, v4
	v_or_b32_e32 v34, 11, v12
	v_or_b32_e32 v36, 12, v12
	;; [unrolled: 1-line block ×4, first 2 shown]
	v_cmp_lt_f32_e32 vcc_lo, v13, v10
	v_or_b32_e32 v42, 15, v12
	s_cmp_gt_i32 s4, 0
	v_cmp_eq_u32_e64 s2, 0, v11
	s_cselect_b32 s7, -1, 0
	v_dual_cndmask_b32 v9, v13, v10 :: v_dual_and_b32 v4, 0xffff, v5
	v_lshrrev_b32_e32 v5, 16, v5
	s_delay_alu instid0(VALU_DEP_2) | instskip(NEXT) | instid1(VALU_DEP_2)
	v_cvt_f32_u32_e32 v15, v4
	v_cvt_f32_u32_e32 v17, v5
	v_cndmask_b32_e32 v4, v12, v14, vcc_lo
	s_delay_alu instid0(VALU_DEP_3) | instskip(NEXT) | instid1(VALU_DEP_2)
	v_cmp_lt_f32_e32 vcc_lo, v9, v15
	v_dual_cndmask_b32 v5, v9, v15 :: v_dual_cndmask_b32 v4, v4, v16
	v_and_b32_e32 v9, 0xffff, v6
	s_delay_alu instid0(VALU_DEP_2) | instskip(NEXT) | instid1(VALU_DEP_2)
	v_cmp_lt_f32_e32 vcc_lo, v5, v17
	v_cvt_f32_u32_e32 v19, v9
	v_lshrrev_b32_e32 v9, 16, v6
	v_or_b32_e32 v6, 4, v12
	v_dual_cndmask_b32 v5, v5, v17 :: v_dual_cndmask_b32 v4, v4, v18
	s_delay_alu instid0(VALU_DEP_3) | instskip(SKIP_1) | instid1(VALU_DEP_3)
	v_cvt_f32_u32_e32 v20, v9
	v_and_b32_e32 v9, 0xffff, v7
	v_cmp_lt_f32_e32 vcc_lo, v5, v19
	s_delay_alu instid0(VALU_DEP_2) | instskip(SKIP_3) | instid1(VALU_DEP_3)
	v_cvt_f32_u32_e32 v22, v9
	v_dual_cndmask_b32 v5, v5, v19 :: v_dual_cndmask_b32 v4, v4, v6
	v_lshrrev_b32_e32 v9, 16, v7
	v_or_b32_e32 v7, 6, v12
	v_cmp_lt_f32_e32 vcc_lo, v5, v20
	s_delay_alu instid0(VALU_DEP_3) | instskip(SKIP_1) | instid1(VALU_DEP_1)
	v_cvt_f32_u32_e32 v24, v9
	v_dual_cndmask_b32 v4, v4, v21 :: v_dual_cndmask_b32 v5, v5, v20
	v_cmp_lt_f32_e32 vcc_lo, v5, v22
	s_delay_alu instid0(VALU_DEP_2) | instskip(NEXT) | instid1(VALU_DEP_1)
	v_dual_cndmask_b32 v4, v4, v7 :: v_dual_cndmask_b32 v5, v5, v22
	v_cmp_lt_f32_e32 vcc_lo, v5, v24
	v_and_b32_e32 v9, 0xffff, v0
	v_lshrrev_b32_e32 v0, 16, v0
	s_delay_alu instid0(VALU_DEP_4) | instskip(NEXT) | instid1(VALU_DEP_3)
	v_cndmask_b32_e32 v4, v4, v26, vcc_lo
	v_cvt_f32_u32_e32 v27, v9
	v_cndmask_b32_e32 v5, v5, v24, vcc_lo
	s_delay_alu instid0(VALU_DEP_4) | instskip(NEXT) | instid1(VALU_DEP_2)
	v_cvt_f32_u32_e32 v29, v0
	v_cmp_lt_f32_e32 vcc_lo, v5, v27
	v_cndmask_b32_e32 v0, v4, v28, vcc_lo
	v_dual_cndmask_b32 v4, v5, v27 :: v_dual_and_b32 v5, 0xffff, v1
	v_lshrrev_b32_e32 v1, 16, v1
	s_delay_alu instid0(VALU_DEP_2) | instskip(NEXT) | instid1(VALU_DEP_3)
	v_cmp_lt_f32_e32 vcc_lo, v4, v29
	v_cvt_f32_u32_e32 v31, v5
	s_delay_alu instid0(VALU_DEP_3) | instskip(SKIP_2) | instid1(VALU_DEP_2)
	v_cvt_f32_u32_e32 v33, v1
	v_cndmask_b32_e32 v4, v4, v29, vcc_lo
	v_cndmask_b32_e32 v0, v0, v30, vcc_lo
	v_cmp_lt_f32_e32 vcc_lo, v4, v31
	v_dual_cndmask_b32 v1, v4, v31 :: v_dual_and_b32 v4, 0xffff, v2
	s_delay_alu instid0(VALU_DEP_3) | instskip(SKIP_1) | instid1(VALU_DEP_3)
	v_cndmask_b32_e32 v0, v0, v32, vcc_lo
	v_lshrrev_b32_e32 v2, 16, v2
	v_cmp_lt_f32_e32 vcc_lo, v1, v33
	s_delay_alu instid0(VALU_DEP_4) | instskip(NEXT) | instid1(VALU_DEP_3)
	v_cvt_f32_u32_e32 v35, v4
	v_cvt_f32_u32_e32 v37, v2
	v_dual_cndmask_b32 v1, v1, v33 :: v_dual_and_b32 v2, 0xffff, v3
	v_cndmask_b32_e32 v0, v0, v34, vcc_lo
	s_delay_alu instid0(VALU_DEP_2) | instskip(NEXT) | instid1(VALU_DEP_3)
	v_cvt_f32_u32_e32 v39, v2
	v_cmp_lt_f32_e32 vcc_lo, v1, v35
	v_lshrrev_b32_e32 v2, 16, v3
	s_delay_alu instid0(VALU_DEP_4) | instskip(NEXT) | instid1(VALU_DEP_2)
	v_dual_cndmask_b32 v1, v1, v35 :: v_dual_cndmask_b32 v0, v0, v36
	v_cvt_f32_u32_e32 v41, v2
	s_delay_alu instid0(VALU_DEP_2) | instskip(NEXT) | instid1(VALU_DEP_3)
	v_cmp_lt_f32_e32 vcc_lo, v1, v37
	v_dual_cndmask_b32 v1, v1, v37 :: v_dual_cndmask_b32 v0, v0, v38
	s_delay_alu instid0(VALU_DEP_1) | instskip(NEXT) | instid1(VALU_DEP_2)
	v_cmp_lt_f32_e32 vcc_lo, v1, v39
	v_dual_cndmask_b32 v1, v1, v39 :: v_dual_cndmask_b32 v0, v0, v40
	s_delay_alu instid0(VALU_DEP_1) | instskip(NEXT) | instid1(VALU_DEP_2)
	v_cmp_lt_f32_e32 vcc_lo, v1, v41
	v_cndmask_b32_e32 v0, v0, v42, vcc_lo
	v_cndmask_b32_e32 v2, v1, v41, vcc_lo
	s_and_b32 vcc_lo, exec_lo, s7
	s_delay_alu instid0(VALU_DEP_2) | instskip(NEXT) | instid1(VALU_DEP_2)
	v_mov_b32_dpp v4, v0 quad_perm:[1,0,3,2] row_mask:0xf bank_mask:0xf
	v_mov_b32_dpp v5, v2 quad_perm:[1,0,3,2] row_mask:0xf bank_mask:0xf
	s_cbranch_vccz .LBB266_18
; %bb.7:
	s_load_b128 s[8:11], s[0:1], 0x20
	s_delay_alu instid0(VALU_DEP_1)
	v_cmp_eq_f32_e32 vcc_lo, v2, v5
	v_cmp_lt_i32_e64 s0, v4, v0
	v_cmp_lt_f32_e64 s1, v2, v5
	v_mul_lo_u32 v1, v45, s14
	v_mul_lo_u32 v3, v45, s4
	v_mov_b32_e32 v44, 0
	s_and_b32 s0, vcc_lo, s0
	s_delay_alu instid0(SALU_CYCLE_1)
	s_or_b32 vcc_lo, s1, s0
	v_dual_cndmask_b32 v0, v0, v4 :: v_dual_cndmask_b32 v43, v2, v5
	s_and_saveexec_b32 s1, s2
	s_cbranch_execz .LBB266_9
; %bb.8:
	s_delay_alu instid0(VALU_DEP_1)
	v_sub_f32_e32 v44, v43, v43
	v_ashrrev_i32_e32 v9, 31, v8
	v_cmp_le_i32_e32 vcc_lo, s5, v0
	v_cmp_gt_i32_e64 s0, s6, v0
	v_subrev_nc_u32_e32 v50, s5, v0
	v_mul_f32_e32 v2, 0x3fb8aa3b, v44
	v_lshlrev_b64 v[46:47], 2, v[8:9]
	s_delay_alu instid0(VALU_DEP_4) | instskip(NEXT) | instid1(SALU_CYCLE_1)
	s_and_b32 s0, vcc_lo, s0
	s_and_b32 vcc_lo, s16, s0
	s_delay_alu instid0(VALU_DEP_2) | instskip(SKIP_1) | instid1(VALU_DEP_2)
	v_rndne_f32_e32 v5, v2
	v_fma_f32 v4, 0x3fb8aa3b, v44, -v2
	v_sub_f32_e32 v2, v2, v5
	s_delay_alu instid0(VALU_DEP_2) | instskip(SKIP_1) | instid1(VALU_DEP_2)
	v_fmamk_f32 v4, v44, 0x32a5705f, v4
	v_cvt_i32_f32_e32 v9, v5
	v_add_f32_e32 v2, v2, v4
	v_ashrrev_i32_e32 v4, 31, v3
	s_delay_alu instid0(VALU_DEP_2) | instskip(SKIP_1) | instid1(VALU_DEP_2)
	v_exp_f32_e32 v51, v2
	v_ashrrev_i32_e32 v2, 31, v1
	v_lshlrev_b64 v[4:5], 2, v[3:4]
	s_delay_alu instid0(VALU_DEP_2) | instskip(SKIP_3) | instid1(TRANS32_DEP_1)
	v_lshlrev_b64 v[48:49], 2, v[1:2]
	v_cndmask_b32_e32 v2, 32, v50, vcc_lo
	v_add_co_u32 v46, vcc_lo, s12, v46
	v_add_co_ci_u32_e32 v47, vcc_lo, s13, v47, vcc_lo
	v_ldexp_f32 v9, v51, v9
	v_cmp_ngt_f32_e32 vcc_lo, 0xc2ce8ed0, v44
	s_delay_alu instid0(VALU_DEP_2)
	v_cndmask_b32_e32 v9, 0, v9, vcc_lo
	s_waitcnt lgkmcnt(0)
	v_add_co_u32 v48, vcc_lo, s8, v48
	v_add_co_ci_u32_e32 v49, vcc_lo, s9, v49, vcc_lo
	v_cmp_nlt_f32_e32 vcc_lo, 0x42b17218, v44
	v_cndmask_b32_e32 v44, 0x7f800000, v9, vcc_lo
	v_add_co_u32 v4, vcc_lo, s10, v4
	v_add_co_ci_u32_e32 v5, vcc_lo, s11, v5, vcc_lo
	global_store_b32 v[48:49], v2, off
	global_store_b32 v[46:47], v44, off
	;; [unrolled: 1-line block ×3, first 2 shown]
.LBB266_9:
	s_or_b32 exec_lo, exec_lo, s1
	s_delay_alu instid0(VALU_DEP_1) | instskip(SKIP_1) | instid1(VALU_DEP_1)
	v_ashrrev_i32_e32 v4, 31, v0
	s_mov_b32 s0, exec_lo
	v_lshrrev_b32_e32 v2, 28, v4
	s_delay_alu instid0(VALU_DEP_1) | instskip(NEXT) | instid1(VALU_DEP_1)
	v_add_nc_u32_e32 v5, v0, v2
	v_ashrrev_i32_e32 v2, 4, v5
	v_lshrrev_b32_e32 v5, 31, v5
	s_delay_alu instid0(VALU_DEP_1) | instskip(NEXT) | instid1(VALU_DEP_1)
	v_add_nc_u32_e32 v5, v2, v5
	v_and_b32_e32 v5, -2, v5
	s_delay_alu instid0(VALU_DEP_1) | instskip(NEXT) | instid1(VALU_DEP_1)
	v_sub_nc_u32_e32 v5, v2, v5
	v_cmpx_eq_u32_e64 v11, v5
	s_cbranch_execz .LBB266_11
; %bb.10:
	v_lshrrev_b32_e32 v4, 27, v4
	v_lshlrev_b32_e32 v2, 4, v2
	s_delay_alu instid0(VALU_DEP_2) | instskip(NEXT) | instid1(VALU_DEP_2)
	v_add_nc_u32_e32 v4, v0, v4
	v_sub_nc_u32_e32 v0, v0, v2
	s_delay_alu instid0(VALU_DEP_2) | instskip(NEXT) | instid1(VALU_DEP_1)
	v_ashrrev_i32_e32 v2, 5, v4
	v_lshl_add_u32 v0, v2, 4, v0
	s_delay_alu instid0(VALU_DEP_1)
	v_cmp_ne_u32_e32 vcc_lo, 15, v0
	v_cndmask_b32_e32 v41, 0xff800000, v41, vcc_lo
	v_cmp_ne_u32_e32 vcc_lo, 14, v0
	v_cndmask_b32_e32 v39, 0xff800000, v39, vcc_lo
	;; [unrolled: 2-line block ×16, first 2 shown]
.LBB266_11:
	s_or_b32 exec_lo, exec_lo, s0
	s_cmp_eq_u32 s4, 1
	s_cbranch_scc1 .LBB266_19
; %bb.12:
	s_add_i32 s17, s17, s3
	v_add_nc_u32_e32 v0, 1, v3
	v_add3_u32 v9, s17, v25, v23
	v_add_nc_u32_e32 v2, 1, v1
	v_add_nc_u32_e32 v4, 1, v8
	s_add_i32 s14, s4, -1
	s_branch .LBB266_14
.LBB266_13:                             ;   in Loop: Header=BB266_14 Depth=1
	s_or_b32 exec_lo, exec_lo, s0
	v_add_nc_u32_e32 v9, s3, v9
	v_add_nc_u32_e32 v0, 1, v0
	;; [unrolled: 1-line block ×4, first 2 shown]
	s_add_i32 s14, s14, -1
	s_delay_alu instid0(SALU_CYCLE_1)
	s_cmp_eq_u32 s14, 0
	s_cbranch_scc1 .LBB266_19
.LBB266_14:                             ; =>This Inner Loop Header: Depth=1
	v_cmp_gt_f32_e32 vcc_lo, v10, v13
	v_cndmask_b32_e32 v3, v13, v10, vcc_lo
	v_cndmask_b32_e32 v1, v12, v14, vcc_lo
	s_delay_alu instid0(VALU_DEP_2) | instskip(SKIP_1) | instid1(VALU_DEP_3)
	v_cmp_gt_f32_e32 vcc_lo, v15, v3
	v_cndmask_b32_e32 v3, v3, v15, vcc_lo
	v_cndmask_b32_e32 v1, v1, v16, vcc_lo
	s_delay_alu instid0(VALU_DEP_2) | instskip(SKIP_1) | instid1(VALU_DEP_3)
	;; [unrolled: 4-line block ×13, first 2 shown]
	v_cmp_gt_f32_e32 vcc_lo, v39, v3
	v_cndmask_b32_e32 v3, v3, v39, vcc_lo
	v_cndmask_b32_e32 v1, v1, v40, vcc_lo
	s_delay_alu instid0(VALU_DEP_2) | instskip(NEXT) | instid1(VALU_DEP_2)
	v_cmp_gt_f32_e32 vcc_lo, v41, v3
	v_cndmask_b32_e32 v5, v1, v42, vcc_lo
	v_cndmask_b32_e32 v1, v3, v41, vcc_lo
	s_delay_alu instid0(VALU_DEP_2) | instskip(NEXT) | instid1(VALU_DEP_2)
	v_mov_b32_dpp v23, v5 quad_perm:[1,0,3,2] row_mask:0xf bank_mask:0xf
	v_mov_b32_dpp v3, v1 quad_perm:[1,0,3,2] row_mask:0xf bank_mask:0xf
	s_delay_alu instid0(VALU_DEP_2) | instskip(NEXT) | instid1(VALU_DEP_2)
	v_cmp_lt_i32_e32 vcc_lo, v23, v5
	v_cmp_eq_f32_e64 s0, v1, v3
	v_cmp_lt_f32_e64 s1, v1, v3
	s_delay_alu instid0(VALU_DEP_2)
	s_and_b32 s0, s0, vcc_lo
	s_delay_alu instid0(VALU_DEP_1) | instid1(SALU_CYCLE_1)
	s_or_b32 vcc_lo, s1, s0
	v_cndmask_b32_e32 v23, v5, v23, vcc_lo
	s_and_saveexec_b32 s1, s2
	s_cbranch_execz .LBB266_16
; %bb.15:                               ;   in Loop: Header=BB266_14 Depth=1
	v_cndmask_b32_e32 v1, v1, v3, vcc_lo
	s_delay_alu instid0(VALU_DEP_2) | instskip(SKIP_4) | instid1(VALU_DEP_4)
	v_cmp_le_i32_e32 vcc_lo, s5, v23
	v_cmp_gt_i32_e64 s0, s6, v23
	v_ashrrev_i32_e32 v5, 31, v4
	v_subrev_nc_u32_e32 v51, s5, v23
	v_sub_f32_e32 v25, v1, v43
	s_and_b32 s0, vcc_lo, s0
	s_delay_alu instid0(SALU_CYCLE_1) | instskip(NEXT) | instid1(VALU_DEP_1)
	s_and_b32 vcc_lo, s16, s0
	v_mul_f32_e32 v1, 0x3fb8aa3b, v25
	s_delay_alu instid0(VALU_DEP_1) | instskip(SKIP_1) | instid1(VALU_DEP_2)
	v_fma_f32 v3, 0x3fb8aa3b, v25, -v1
	v_rndne_f32_e32 v45, v1
	v_fmac_f32_e32 v3, 0x32a5705f, v25
	s_delay_alu instid0(VALU_DEP_2) | instskip(SKIP_2) | instid1(VALU_DEP_3)
	v_sub_f32_e32 v1, v1, v45
	v_cvt_i32_f32_e32 v50, v45
	v_lshlrev_b64 v[45:46], 2, v[4:5]
	v_add_f32_e32 v1, v1, v3
	v_ashrrev_i32_e32 v3, 31, v2
	s_delay_alu instid0(VALU_DEP_2) | instskip(SKIP_1) | instid1(VALU_DEP_2)
	v_exp_f32_e32 v49, v1
	v_ashrrev_i32_e32 v1, 31, v0
	v_lshlrev_b64 v[47:48], 2, v[2:3]
	s_waitcnt_depctr 0xfff
	v_ldexp_f32 v3, v49, v50
	v_lshlrev_b64 v[49:50], 2, v[0:1]
	v_cndmask_b32_e32 v1, 32, v51, vcc_lo
	v_cmp_ngt_f32_e32 vcc_lo, 0xc2ce8ed0, v25
	s_delay_alu instid0(VALU_DEP_4) | instskip(SKIP_3) | instid1(VALU_DEP_4)
	v_cndmask_b32_e32 v3, 0, v3, vcc_lo
	v_add_co_u32 v45, vcc_lo, s12, v45
	v_add_co_ci_u32_e32 v46, vcc_lo, s13, v46, vcc_lo
	v_cmp_nlt_f32_e32 vcc_lo, 0x42b17218, v25
	v_cndmask_b32_e32 v3, 0x7f800000, v3, vcc_lo
	s_waitcnt lgkmcnt(0)
	v_add_co_u32 v47, vcc_lo, s8, v47
	v_add_co_ci_u32_e32 v48, vcc_lo, s9, v48, vcc_lo
	s_delay_alu instid0(VALU_DEP_3)
	v_add_f32_e32 v44, v44, v3
	v_add_co_u32 v49, vcc_lo, s10, v49
	v_add_co_ci_u32_e32 v50, vcc_lo, s11, v50, vcc_lo
	global_store_b32 v[45:46], v3, off
	global_store_b32 v[47:48], v1, off
	;; [unrolled: 1-line block ×3, first 2 shown]
.LBB266_16:                             ;   in Loop: Header=BB266_14 Depth=1
	s_or_b32 exec_lo, exec_lo, s1
	s_delay_alu instid0(VALU_DEP_1) | instskip(SKIP_1) | instid1(VALU_DEP_1)
	v_ashrrev_i32_e32 v3, 31, v23
	s_mov_b32 s0, exec_lo
	v_lshrrev_b32_e32 v1, 28, v3
	s_delay_alu instid0(VALU_DEP_1) | instskip(NEXT) | instid1(VALU_DEP_1)
	v_add_nc_u32_e32 v5, v23, v1
	v_ashrrev_i32_e32 v1, 4, v5
	v_lshrrev_b32_e32 v5, 31, v5
	s_delay_alu instid0(VALU_DEP_1) | instskip(NEXT) | instid1(VALU_DEP_1)
	v_add_nc_u32_e32 v5, v1, v5
	v_and_b32_e32 v5, -2, v5
	s_delay_alu instid0(VALU_DEP_1) | instskip(NEXT) | instid1(VALU_DEP_1)
	v_sub_nc_u32_e32 v5, v1, v5
	v_cmpx_eq_u32_e64 v11, v5
	s_cbranch_execz .LBB266_13
; %bb.17:                               ;   in Loop: Header=BB266_14 Depth=1
	v_lshrrev_b32_e32 v3, 27, v3
	v_lshlrev_b32_e32 v1, 4, v1
	s_delay_alu instid0(VALU_DEP_2) | instskip(NEXT) | instid1(VALU_DEP_2)
	v_add_nc_u32_e32 v3, v23, v3
	v_sub_nc_u32_e32 v1, v23, v1
	s_delay_alu instid0(VALU_DEP_2) | instskip(NEXT) | instid1(VALU_DEP_1)
	v_ashrrev_i32_e32 v3, 5, v3
	v_lshl_add_u32 v1, v3, 4, v1
	s_delay_alu instid0(VALU_DEP_1)
	v_cmp_ne_u32_e32 vcc_lo, 15, v1
	v_cndmask_b32_e32 v41, 0xff800000, v41, vcc_lo
	v_cmp_ne_u32_e32 vcc_lo, 14, v1
	v_cndmask_b32_e32 v39, 0xff800000, v39, vcc_lo
	;; [unrolled: 2-line block ×16, first 2 shown]
	s_branch .LBB266_13
.LBB266_18:
	v_mov_b32_e32 v44, 0
.LBB266_19:
	v_cmp_eq_u32_e32 vcc_lo, 0, v11
	s_delay_alu instid0(VALU_DEP_2) | instskip(NEXT) | instid1(VALU_DEP_1)
	v_cmp_neq_f32_e64 s0, 0, v44
	s_and_b32 s0, vcc_lo, s0
	s_delay_alu instid0(SALU_CYCLE_1)
	s_and_b32 exec_lo, exec_lo, s0
	s_cbranch_execz .LBB266_23
; %bb.20:
	s_and_not1_b32 vcc_lo, exec_lo, s7
	s_cbranch_vccnz .LBB266_23
; %bb.21:
	v_div_scale_f32 v0, null, v44, v44, 1.0
	v_div_scale_f32 v3, vcc_lo, 1.0, v44, 1.0
	v_ashrrev_i32_e32 v9, 31, v8
	s_delay_alu instid0(VALU_DEP_3) | instskip(SKIP_2) | instid1(VALU_DEP_1)
	v_rcp_f32_e32 v1, v0
	s_waitcnt_depctr 0xfff
	v_fma_f32 v2, -v0, v1, 1.0
	v_fmac_f32_e32 v1, v2, v1
	s_delay_alu instid0(VALU_DEP_1) | instskip(NEXT) | instid1(VALU_DEP_1)
	v_mul_f32_e32 v2, v3, v1
	v_fma_f32 v4, -v0, v2, v3
	s_delay_alu instid0(VALU_DEP_1) | instskip(NEXT) | instid1(VALU_DEP_1)
	v_fmac_f32_e32 v2, v4, v1
	v_fma_f32 v0, -v0, v2, v3
	s_delay_alu instid0(VALU_DEP_1) | instskip(SKIP_1) | instid1(VALU_DEP_2)
	v_div_fmas_f32 v2, v0, v1, v2
	v_lshlrev_b64 v[0:1], 2, v[8:9]
	v_div_fixup_f32 v2, v2, v44, 1.0
	s_delay_alu instid0(VALU_DEP_2) | instskip(NEXT) | instid1(VALU_DEP_3)
	v_add_co_u32 v0, vcc_lo, s12, v0
	v_add_co_ci_u32_e32 v1, vcc_lo, s13, v1, vcc_lo
.LBB266_22:                             ; =>This Inner Loop Header: Depth=1
	global_load_b32 v3, v[0:1], off
	s_add_i32 s4, s4, -1
	s_delay_alu instid0(SALU_CYCLE_1)
	s_cmp_lg_u32 s4, 0
	s_waitcnt vmcnt(0)
	v_mul_f32_e32 v3, v2, v3
	global_store_b32 v[0:1], v3, off
	v_add_co_u32 v0, vcc_lo, v0, 4
	v_add_co_ci_u32_e32 v1, vcc_lo, 0, v1, vcc_lo
	s_cbranch_scc1 .LBB266_22
.LBB266_23:
	s_nop 0
	s_sendmsg sendmsg(MSG_DEALLOC_VGPRS)
	s_endpgm
	.section	.rodata,"a",@progbits
	.p2align	6, 0x0
	.amdhsa_kernel _ZN4vllm3moe17topkGatingSoftmaxItLi16ELi32ELi8ELi32ELb1ELi8ELNS0_23SharedExpertScoringFuncE1EEEvPKT_PKbPfiPiS9_iiiiii
		.amdhsa_group_segment_fixed_size 0
		.amdhsa_private_segment_fixed_size 0
		.amdhsa_kernarg_size 72
		.amdhsa_user_sgpr_count 15
		.amdhsa_user_sgpr_dispatch_ptr 0
		.amdhsa_user_sgpr_queue_ptr 0
		.amdhsa_user_sgpr_kernarg_segment_ptr 1
		.amdhsa_user_sgpr_dispatch_id 0
		.amdhsa_user_sgpr_private_segment_size 0
		.amdhsa_wavefront_size32 1
		.amdhsa_uses_dynamic_stack 0
		.amdhsa_enable_private_segment 0
		.amdhsa_system_sgpr_workgroup_id_x 1
		.amdhsa_system_sgpr_workgroup_id_y 0
		.amdhsa_system_sgpr_workgroup_id_z 0
		.amdhsa_system_sgpr_workgroup_info 0
		.amdhsa_system_vgpr_workitem_id 1
		.amdhsa_next_free_vgpr 52
		.amdhsa_next_free_sgpr 18
		.amdhsa_reserve_vcc 1
		.amdhsa_float_round_mode_32 0
		.amdhsa_float_round_mode_16_64 0
		.amdhsa_float_denorm_mode_32 3
		.amdhsa_float_denorm_mode_16_64 3
		.amdhsa_dx10_clamp 1
		.amdhsa_ieee_mode 1
		.amdhsa_fp16_overflow 0
		.amdhsa_workgroup_processor_mode 1
		.amdhsa_memory_ordered 1
		.amdhsa_forward_progress 0
		.amdhsa_shared_vgpr_count 0
		.amdhsa_exception_fp_ieee_invalid_op 0
		.amdhsa_exception_fp_denorm_src 0
		.amdhsa_exception_fp_ieee_div_zero 0
		.amdhsa_exception_fp_ieee_overflow 0
		.amdhsa_exception_fp_ieee_underflow 0
		.amdhsa_exception_fp_ieee_inexact 0
		.amdhsa_exception_int_div_zero 0
	.end_amdhsa_kernel
	.section	.text._ZN4vllm3moe17topkGatingSoftmaxItLi16ELi32ELi8ELi32ELb1ELi8ELNS0_23SharedExpertScoringFuncE1EEEvPKT_PKbPfiPiS9_iiiiii,"axG",@progbits,_ZN4vllm3moe17topkGatingSoftmaxItLi16ELi32ELi8ELi32ELb1ELi8ELNS0_23SharedExpertScoringFuncE1EEEvPKT_PKbPfiPiS9_iiiiii,comdat
.Lfunc_end266:
	.size	_ZN4vllm3moe17topkGatingSoftmaxItLi16ELi32ELi8ELi32ELb1ELi8ELNS0_23SharedExpertScoringFuncE1EEEvPKT_PKbPfiPiS9_iiiiii, .Lfunc_end266-_ZN4vllm3moe17topkGatingSoftmaxItLi16ELi32ELi8ELi32ELb1ELi8ELNS0_23SharedExpertScoringFuncE1EEEvPKT_PKbPfiPiS9_iiiiii
                                        ; -- End function
	.section	.AMDGPU.csdata,"",@progbits
; Kernel info:
; codeLenInByte = 2980
; NumSgprs: 20
; NumVgprs: 52
; ScratchSize: 0
; MemoryBound: 0
; FloatMode: 240
; IeeeMode: 1
; LDSByteSize: 0 bytes/workgroup (compile time only)
; SGPRBlocks: 2
; VGPRBlocks: 6
; NumSGPRsForWavesPerEU: 20
; NumVGPRsForWavesPerEU: 52
; Occupancy: 16
; WaveLimiterHint : 0
; COMPUTE_PGM_RSRC2:SCRATCH_EN: 0
; COMPUTE_PGM_RSRC2:USER_SGPR: 15
; COMPUTE_PGM_RSRC2:TRAP_HANDLER: 0
; COMPUTE_PGM_RSRC2:TGID_X_EN: 1
; COMPUTE_PGM_RSRC2:TGID_Y_EN: 0
; COMPUTE_PGM_RSRC2:TGID_Z_EN: 0
; COMPUTE_PGM_RSRC2:TIDIG_COMP_CNT: 1
	.section	.text._ZN4vllm3moe17topkGatingSoftmaxItLi16ELi32ELi8ELi32ELb0ELi8ELNS0_23SharedExpertScoringFuncE1EEEvPKT_PKbPfiPiS9_iiiiii,"axG",@progbits,_ZN4vllm3moe17topkGatingSoftmaxItLi16ELi32ELi8ELi32ELb0ELi8ELNS0_23SharedExpertScoringFuncE1EEEvPKT_PKbPfiPiS9_iiiiii,comdat
	.protected	_ZN4vllm3moe17topkGatingSoftmaxItLi16ELi32ELi8ELi32ELb0ELi8ELNS0_23SharedExpertScoringFuncE1EEEvPKT_PKbPfiPiS9_iiiiii ; -- Begin function _ZN4vllm3moe17topkGatingSoftmaxItLi16ELi32ELi8ELi32ELb0ELi8ELNS0_23SharedExpertScoringFuncE1EEEvPKT_PKbPfiPiS9_iiiiii
	.globl	_ZN4vllm3moe17topkGatingSoftmaxItLi16ELi32ELi8ELi32ELb0ELi8ELNS0_23SharedExpertScoringFuncE1EEEvPKT_PKbPfiPiS9_iiiiii
	.p2align	8
	.type	_ZN4vllm3moe17topkGatingSoftmaxItLi16ELi32ELi8ELi32ELb0ELi8ELNS0_23SharedExpertScoringFuncE1EEEvPKT_PKbPfiPiS9_iiiiii,@function
_ZN4vllm3moe17topkGatingSoftmaxItLi16ELi32ELi8ELi32ELb0ELi8ELNS0_23SharedExpertScoringFuncE1EEEvPKT_PKbPfiPiS9_iiiiii: ; @_ZN4vllm3moe17topkGatingSoftmaxItLi16ELi32ELi8ELi32ELb0ELi8ELNS0_23SharedExpertScoringFuncE1EEEvPKT_PKbPfiPiS9_iiiiii
; %bb.0:
	s_load_b32 s16, s[0:1], 0x18
	v_bfe_u32 v1, v0, 10, 10
	v_and_b32_e32 v0, 0x3ff, v0
	s_lshl_b32 s18, s15, 7
	s_mov_b32 s2, exec_lo
	s_delay_alu instid0(VALU_DEP_2) | instskip(NEXT) | instid1(VALU_DEP_2)
	v_lshlrev_b32_e32 v30, 4, v1
	v_lshrrev_b32_e32 v32, 1, v0
	s_delay_alu instid0(VALU_DEP_1) | instskip(SKIP_1) | instid1(VALU_DEP_1)
	v_add3_u32 v44, s18, v30, v32
	s_waitcnt lgkmcnt(0)
	v_cmpx_gt_i32_e64 s16, v44
	s_cbranch_execz .LBB267_24
; %bb.1:
	s_clause 0x1
	s_load_b128 s[8:11], s[0:1], 0x0
	s_load_b64 s[12:13], s[0:1], 0x10
	s_waitcnt lgkmcnt(0)
	s_cmp_eq_u64 s[10:11], 0
	s_cbranch_scc1 .LBB267_3
; %bb.2:
	v_ashrrev_i32_e32 v2, 31, v44
	v_add_co_u32 v1, vcc_lo, s10, v44
	s_delay_alu instid0(VALU_DEP_2) | instskip(SKIP_3) | instid1(VALU_DEP_1)
	v_add_co_ci_u32_e32 v2, vcc_lo, s11, v2, vcc_lo
	global_load_u8 v1, v[1:2], off
	s_waitcnt vmcnt(0)
	v_and_b32_e32 v1, 1, v1
	v_cmp_eq_u32_e32 vcc_lo, 1, v1
	s_xor_b32 s2, vcc_lo, -1
	s_delay_alu instid0(SALU_CYCLE_1)
	s_or_not1_b32 s17, s2, exec_lo
	s_branch .LBB267_4
.LBB267_3:
	s_mov_b32 s17, -1
.LBB267_4:
	s_clause 0x1
	s_load_b64 s[14:15], s[0:1], 0x40
	s_load_b128 s[4:7], s[0:1], 0x30
	v_and_b32_e32 v11, 1, v0
	s_mov_b32 s3, 0
	s_delay_alu instid0(VALU_DEP_1)
	v_dual_mov_b32 v13, v11 :: v_dual_lshlrev_b32 v0, 5, v11
	v_lshlrev_b32_e32 v12, 1, v11
	v_lshlrev_b32_e32 v20, 4, v11
	s_waitcnt lgkmcnt(0)
	v_mul_lo_u32 v1, v44, s15
	v_mul_lo_u32 v8, v44, s7
	s_delay_alu instid0(VALU_DEP_2) | instskip(NEXT) | instid1(VALU_DEP_1)
	v_ashrrev_i32_e32 v2, 31, v1
	v_lshlrev_b64 v[9:10], 1, v[1:2]
	s_delay_alu instid0(VALU_DEP_1) | instskip(NEXT) | instid1(VALU_DEP_2)
	v_add_co_u32 v1, vcc_lo, s8, v9
	v_add_co_ci_u32_e32 v2, vcc_lo, s9, v10, vcc_lo
	s_delay_alu instid0(VALU_DEP_2) | instskip(NEXT) | instid1(VALU_DEP_2)
	v_add_co_u32 v4, vcc_lo, v1, v0
	v_add_co_ci_u32_e32 v5, vcc_lo, 0, v2, vcc_lo
	v_add_co_u32 v9, vcc_lo, v9, v12
	v_add_co_ci_u32_e32 v10, vcc_lo, 0, v10, vcc_lo
	s_clause 0x1
	global_load_b128 v[0:3], v[4:5], off offset:16
	global_load_b128 v[4:7], v[4:5], off
	v_add_co_u32 v9, vcc_lo, v9, s8
	v_add_co_ci_u32_e32 v10, vcc_lo, s9, v10, vcc_lo
	v_add_nc_u32_e32 v12, s4, v8
	s_delay_alu instid0(VALU_DEP_3) | instskip(NEXT) | instid1(VALU_DEP_3)
	v_add_co_u32 v9, vcc_lo, v9, 64
	v_add_co_ci_u32_e32 v10, vcc_lo, 0, v10, vcc_lo
.LBB267_5:                              ; =>This Inner Loop Header: Depth=1
	global_load_u16 v14, v[9:10], off
	v_add_co_u32 v9, s2, v9, 4
	s_delay_alu instid0(VALU_DEP_1) | instskip(SKIP_2) | instid1(VALU_DEP_2)
	v_add_co_ci_u32_e64 v10, s2, 0, v10, s2
	v_cmp_lt_u32_e64 s2, 5, v13
	v_add_nc_u32_e32 v22, 2, v13
	s_or_b32 s3, s2, s3
	s_waitcnt vmcnt(0)
	v_cvt_f32_u32_e32 v14, v14
	s_delay_alu instid0(VALU_DEP_1) | instskip(SKIP_1) | instid1(VALU_DEP_2)
	v_mul_f32_e32 v15, 0xbfb8aa3b, v14
	v_cmp_nlt_f32_e32 vcc_lo, 0x42ce8ed0, v14
	v_rndne_f32_e32 v16, v15
	v_fma_f32 v17, 0xbfb8aa3b, v14, -v15
	s_delay_alu instid0(VALU_DEP_2) | instskip(NEXT) | instid1(VALU_DEP_2)
	v_sub_f32_e32 v15, v15, v16
	v_fmac_f32_e32 v17, 0xb2a5705f, v14
	v_cvt_i32_f32_e32 v16, v16
	s_delay_alu instid0(VALU_DEP_2) | instskip(NEXT) | instid1(VALU_DEP_1)
	v_add_f32_e32 v15, v15, v17
	v_exp_f32_e32 v15, v15
	s_waitcnt_depctr 0xfff
	v_ldexp_f32 v15, v15, v16
	s_delay_alu instid0(VALU_DEP_1) | instskip(SKIP_1) | instid1(VALU_DEP_2)
	v_cndmask_b32_e32 v15, 0, v15, vcc_lo
	v_cmp_ngt_f32_e32 vcc_lo, 0xc2b17218, v14
	v_cndmask_b32_e32 v14, 0x7f800000, v15, vcc_lo
	s_delay_alu instid0(VALU_DEP_1) | instskip(NEXT) | instid1(VALU_DEP_1)
	v_add_f32_e32 v17, 1.0, v14
	v_div_scale_f32 v16, null, v17, v17, 1.0
	v_div_scale_f32 v19, vcc_lo, 1.0, v17, 1.0
	s_delay_alu instid0(VALU_DEP_2) | instskip(SKIP_2) | instid1(VALU_DEP_1)
	v_rcp_f32_e32 v18, v16
	s_waitcnt_depctr 0xfff
	v_fma_f32 v14, -v16, v18, 1.0
	v_fmac_f32_e32 v18, v14, v18
	s_delay_alu instid0(VALU_DEP_1) | instskip(NEXT) | instid1(VALU_DEP_1)
	v_dual_mul_f32 v21, v19, v18 :: v_dual_add_nc_u32 v14, v12, v13
	v_fma_f32 v15, -v16, v21, v19
	s_delay_alu instid0(VALU_DEP_1) | instskip(NEXT) | instid1(VALU_DEP_3)
	v_fmac_f32_e32 v21, v15, v18
	v_ashrrev_i32_e32 v15, 31, v14
	s_delay_alu instid0(VALU_DEP_2) | instskip(NEXT) | instid1(VALU_DEP_2)
	v_fma_f32 v16, -v16, v21, v19
	v_lshlrev_b64 v[13:14], 2, v[14:15]
	s_delay_alu instid0(VALU_DEP_2) | instskip(NEXT) | instid1(VALU_DEP_2)
	v_div_fmas_f32 v18, v16, v18, v21
	v_add_co_u32 v15, vcc_lo, s12, v13
	s_delay_alu instid0(VALU_DEP_3) | instskip(NEXT) | instid1(VALU_DEP_3)
	v_add_co_ci_u32_e32 v16, vcc_lo, s13, v14, vcc_lo
	v_div_fixup_f32 v14, v18, v17, 1.0
	v_mov_b32_e32 v13, v22
	global_store_b32 v[15:16], v14, off
	s_and_not1_b32 exec_lo, exec_lo, s3
	s_cbranch_execnz .LBB267_5
; %bb.6:
	s_or_b32 exec_lo, exec_lo, s3
	v_lshrrev_b32_e32 v9, 16, v4
	v_or_b32_e32 v27, 1, v20
	v_or_b32_e32 v28, 2, v20
	;; [unrolled: 1-line block ×4, first 2 shown]
	v_cvt_f32_u32_e32 v22, v9
	v_and_b32_e32 v4, 0xffff, v4
	v_or_b32_e32 v33, 5, v20
	v_or_b32_e32 v34, 6, v20
	;; [unrolled: 1-line block ×4, first 2 shown]
	v_cvt_f32_u32_e32 v24, v4
	v_or_b32_e32 v37, 9, v20
	v_or_b32_e32 v38, 10, v20
	;; [unrolled: 1-line block ×4, first 2 shown]
	v_cmp_lt_f32_e32 vcc_lo, v24, v22
	v_or_b32_e32 v41, 13, v20
	v_or_b32_e32 v42, 14, v20
	;; [unrolled: 1-line block ×3, first 2 shown]
	v_dual_cndmask_b32 v9, v24, v22 :: v_dual_and_b32 v4, 0xffff, v5
	v_lshrrev_b32_e32 v5, 16, v5
	s_delay_alu instid0(VALU_DEP_2) | instskip(SKIP_1) | instid1(VALU_DEP_3)
	v_cvt_f32_u32_e32 v26, v4
	v_cndmask_b32_e32 v4, v20, v27, vcc_lo
	v_cvt_f32_u32_e32 v25, v5
	s_delay_alu instid0(VALU_DEP_3) | instskip(SKIP_1) | instid1(VALU_DEP_4)
	v_cmp_lt_f32_e32 vcc_lo, v9, v26
	v_cndmask_b32_e32 v5, v9, v26, vcc_lo
	v_dual_cndmask_b32 v4, v4, v28 :: v_dual_and_b32 v9, 0xffff, v6
	v_lshrrev_b32_e32 v6, 16, v6
	s_delay_alu instid0(VALU_DEP_3) | instskip(NEXT) | instid1(VALU_DEP_3)
	v_cmp_lt_f32_e32 vcc_lo, v5, v25
	v_cvt_f32_u32_e32 v23, v9
	s_delay_alu instid0(VALU_DEP_3) | instskip(SKIP_2) | instid1(VALU_DEP_2)
	v_cvt_f32_u32_e32 v21, v6
	v_dual_cndmask_b32 v5, v5, v25 :: v_dual_and_b32 v6, 0xffff, v7
	v_cndmask_b32_e32 v4, v4, v29, vcc_lo
	v_cvt_f32_u32_e32 v19, v6
	s_delay_alu instid0(VALU_DEP_3) | instskip(SKIP_3) | instid1(VALU_DEP_3)
	v_cmp_lt_f32_e32 vcc_lo, v5, v23
	v_lshrrev_b32_e32 v6, 16, v7
	v_cndmask_b32_e32 v5, v5, v23, vcc_lo
	v_cndmask_b32_e32 v4, v4, v31, vcc_lo
	v_cvt_f32_u32_e32 v18, v6
	v_and_b32_e32 v6, 0xffff, v0
	v_lshrrev_b32_e32 v0, 16, v0
	v_cmp_lt_f32_e32 vcc_lo, v5, v21
	s_delay_alu instid0(VALU_DEP_3) | instskip(NEXT) | instid1(VALU_DEP_3)
	v_cvt_f32_u32_e32 v17, v6
	v_cvt_f32_u32_e32 v16, v0
	v_cndmask_b32_e32 v5, v5, v21, vcc_lo
	v_cndmask_b32_e32 v4, v4, v33, vcc_lo
	s_delay_alu instid0(VALU_DEP_2) | instskip(NEXT) | instid1(VALU_DEP_2)
	v_cmp_lt_f32_e32 vcc_lo, v5, v19
	v_dual_cndmask_b32 v5, v5, v19 :: v_dual_cndmask_b32 v4, v4, v34
	s_delay_alu instid0(VALU_DEP_1) | instskip(NEXT) | instid1(VALU_DEP_2)
	v_cmp_lt_f32_e32 vcc_lo, v5, v18
	v_dual_cndmask_b32 v5, v5, v18 :: v_dual_cndmask_b32 v4, v4, v35
	s_delay_alu instid0(VALU_DEP_1) | instskip(NEXT) | instid1(VALU_DEP_2)
	v_cmp_lt_f32_e32 vcc_lo, v5, v17
	v_cndmask_b32_e32 v0, v4, v36, vcc_lo
	v_cndmask_b32_e32 v4, v5, v17, vcc_lo
	v_and_b32_e32 v5, 0xffff, v1
	v_lshrrev_b32_e32 v1, 16, v1
	s_delay_alu instid0(VALU_DEP_3) | instskip(NEXT) | instid1(VALU_DEP_3)
	v_cmp_lt_f32_e32 vcc_lo, v4, v16
	v_cvt_f32_u32_e32 v15, v5
	s_delay_alu instid0(VALU_DEP_3) | instskip(SKIP_2) | instid1(VALU_DEP_2)
	v_cvt_f32_u32_e32 v14, v1
	v_cndmask_b32_e32 v4, v4, v16, vcc_lo
	v_cndmask_b32_e32 v0, v0, v37, vcc_lo
	v_cmp_lt_f32_e32 vcc_lo, v4, v15
	v_dual_cndmask_b32 v1, v4, v15 :: v_dual_and_b32 v4, 0xffff, v2
	v_lshrrev_b32_e32 v2, 16, v2
	s_delay_alu instid0(VALU_DEP_4) | instskip(NEXT) | instid1(VALU_DEP_3)
	v_cndmask_b32_e32 v0, v0, v38, vcc_lo
	v_cmp_lt_f32_e32 vcc_lo, v1, v14
	s_delay_alu instid0(VALU_DEP_4) | instskip(NEXT) | instid1(VALU_DEP_4)
	v_cvt_f32_u32_e32 v13, v4
	v_cvt_f32_u32_e32 v12, v2
	v_dual_cndmask_b32 v1, v1, v14 :: v_dual_and_b32 v2, 0xffff, v3
	s_delay_alu instid0(VALU_DEP_1) | instskip(SKIP_1) | instid1(VALU_DEP_1)
	v_cvt_f32_u32_e32 v7, v2
	v_lshrrev_b32_e32 v2, 16, v3
	v_cvt_f32_u32_e32 v6, v2
	v_cndmask_b32_e32 v0, v0, v39, vcc_lo
	v_cmp_lt_f32_e32 vcc_lo, v1, v13
	s_delay_alu instid0(VALU_DEP_2) | instskip(NEXT) | instid1(VALU_DEP_1)
	v_dual_cndmask_b32 v1, v1, v13 :: v_dual_cndmask_b32 v0, v0, v40
	v_cmp_lt_f32_e32 vcc_lo, v1, v12
	s_delay_alu instid0(VALU_DEP_2) | instskip(NEXT) | instid1(VALU_DEP_1)
	v_dual_cndmask_b32 v1, v1, v12 :: v_dual_cndmask_b32 v0, v0, v41
	;; [unrolled: 3-line block ×4, first 2 shown]
	v_mov_b32_dpp v3, v1 quad_perm:[1,0,3,2] row_mask:0xf bank_mask:0xf
	s_delay_alu instid0(VALU_DEP_2) | instskip(NEXT) | instid1(VALU_DEP_2)
	v_mov_b32_dpp v2, v0 quad_perm:[1,0,3,2] row_mask:0xf bank_mask:0xf
	v_cmp_eq_f32_e64 s2, v1, v3
	s_delay_alu instid0(VALU_DEP_2) | instskip(SKIP_1) | instid1(VALU_DEP_3)
	v_cmp_lt_i32_e32 vcc_lo, v2, v0
	v_cmp_lt_f32_e64 s3, v1, v3
	s_and_b32 s2, s2, vcc_lo
	s_delay_alu instid0(VALU_DEP_1) | instid1(SALU_CYCLE_1)
	s_or_b32 s3, s3, s2
	s_cmp_gt_i32 s4, 0
	v_cndmask_b32_e64 v10, v1, v3, s3
	v_cmp_eq_u32_e64 s2, 0, v11
	s_cselect_b32 s7, -1, 0
	s_delay_alu instid0(SALU_CYCLE_1)
	s_and_b32 vcc_lo, exec_lo, s7
	s_cbranch_vccz .LBB267_18
; %bb.7:
	s_load_b128 s[8:11], s[0:1], 0x20
	v_mul_lo_u32 v1, v44, s14
	v_mul_lo_u32 v3, v44, s4
	v_cndmask_b32_e64 v0, v0, v2, s3
	v_mov_b32_e32 v9, 0
	s_and_saveexec_b32 s1, s2
	s_cbranch_execz .LBB267_9
; %bb.8:
	v_sub_f32_e32 v49, v10, v10
	v_ashrrev_i32_e32 v9, 31, v8
	v_cmp_le_i32_e32 vcc_lo, s5, v0
	v_cmp_gt_i32_e64 s0, s6, v0
	v_subrev_nc_u32_e32 v50, s5, v0
	v_mul_f32_e32 v2, 0x3fb8aa3b, v49
	v_lshlrev_b64 v[45:46], 2, v[8:9]
	s_delay_alu instid0(VALU_DEP_4) | instskip(NEXT) | instid1(SALU_CYCLE_1)
	s_and_b32 s0, vcc_lo, s0
	s_and_b32 vcc_lo, s17, s0
	s_delay_alu instid0(VALU_DEP_2) | instskip(SKIP_1) | instid1(VALU_DEP_2)
	v_rndne_f32_e32 v5, v2
	v_fma_f32 v4, 0x3fb8aa3b, v49, -v2
	v_sub_f32_e32 v2, v2, v5
	s_delay_alu instid0(VALU_DEP_2) | instskip(SKIP_1) | instid1(VALU_DEP_2)
	v_fmamk_f32 v4, v49, 0x32a5705f, v4
	v_cvt_i32_f32_e32 v9, v5
	v_add_f32_e32 v2, v2, v4
	v_ashrrev_i32_e32 v4, 31, v3
	s_delay_alu instid0(VALU_DEP_2) | instskip(SKIP_1) | instid1(VALU_DEP_2)
	v_exp_f32_e32 v51, v2
	v_ashrrev_i32_e32 v2, 31, v1
	v_lshlrev_b64 v[4:5], 2, v[3:4]
	s_delay_alu instid0(VALU_DEP_2) | instskip(SKIP_3) | instid1(TRANS32_DEP_1)
	v_lshlrev_b64 v[47:48], 2, v[1:2]
	v_cndmask_b32_e32 v2, 32, v50, vcc_lo
	v_add_co_u32 v45, vcc_lo, s12, v45
	v_add_co_ci_u32_e32 v46, vcc_lo, s13, v46, vcc_lo
	v_ldexp_f32 v9, v51, v9
	v_cmp_ngt_f32_e32 vcc_lo, 0xc2ce8ed0, v49
	s_delay_alu instid0(VALU_DEP_2)
	v_cndmask_b32_e32 v9, 0, v9, vcc_lo
	s_waitcnt lgkmcnt(0)
	v_add_co_u32 v47, vcc_lo, s8, v47
	v_add_co_ci_u32_e32 v48, vcc_lo, s9, v48, vcc_lo
	v_cmp_nlt_f32_e32 vcc_lo, 0x42b17218, v49
	v_cndmask_b32_e32 v9, 0x7f800000, v9, vcc_lo
	v_add_co_u32 v4, vcc_lo, s10, v4
	v_add_co_ci_u32_e32 v5, vcc_lo, s11, v5, vcc_lo
	global_store_b32 v[47:48], v2, off
	global_store_b32 v[45:46], v9, off
	global_store_b32 v[4:5], v44, off
.LBB267_9:
	s_or_b32 exec_lo, exec_lo, s1
	v_ashrrev_i32_e32 v4, 31, v0
	s_mov_b32 s0, exec_lo
	s_delay_alu instid0(VALU_DEP_1) | instskip(NEXT) | instid1(VALU_DEP_1)
	v_lshrrev_b32_e32 v2, 28, v4
	v_add_nc_u32_e32 v5, v0, v2
	s_delay_alu instid0(VALU_DEP_1) | instskip(SKIP_1) | instid1(VALU_DEP_1)
	v_ashrrev_i32_e32 v2, 4, v5
	v_lshrrev_b32_e32 v5, 31, v5
	v_add_nc_u32_e32 v5, v2, v5
	s_delay_alu instid0(VALU_DEP_1) | instskip(NEXT) | instid1(VALU_DEP_1)
	v_and_b32_e32 v5, -2, v5
	v_sub_nc_u32_e32 v5, v2, v5
	s_delay_alu instid0(VALU_DEP_1)
	v_cmpx_eq_u32_e64 v11, v5
	s_cbranch_execz .LBB267_11
; %bb.10:
	v_lshrrev_b32_e32 v4, 27, v4
	v_lshlrev_b32_e32 v2, 4, v2
	s_delay_alu instid0(VALU_DEP_2) | instskip(NEXT) | instid1(VALU_DEP_2)
	v_add_nc_u32_e32 v4, v0, v4
	v_sub_nc_u32_e32 v0, v0, v2
	s_delay_alu instid0(VALU_DEP_2) | instskip(NEXT) | instid1(VALU_DEP_1)
	v_ashrrev_i32_e32 v2, 5, v4
	v_lshl_add_u32 v0, v2, 4, v0
	s_delay_alu instid0(VALU_DEP_1)
	v_cmp_ne_u32_e32 vcc_lo, 15, v0
	v_cndmask_b32_e32 v6, 0xff800000, v6, vcc_lo
	v_cmp_ne_u32_e32 vcc_lo, 14, v0
	v_cndmask_b32_e32 v7, 0xff800000, v7, vcc_lo
	;; [unrolled: 2-line block ×16, first 2 shown]
.LBB267_11:
	s_or_b32 exec_lo, exec_lo, s0
	s_cmp_eq_u32 s4, 1
	s_cbranch_scc1 .LBB267_19
; %bb.12:
	s_add_i32 s18, s18, s16
	v_add_nc_u32_e32 v0, 1, v3
	v_add3_u32 v30, s18, v32, v30
	v_add_nc_u32_e32 v2, 1, v1
	v_add_nc_u32_e32 v4, 1, v8
	s_add_i32 s3, s4, -1
	s_branch .LBB267_14
.LBB267_13:                             ;   in Loop: Header=BB267_14 Depth=1
	s_or_b32 exec_lo, exec_lo, s0
	v_add_nc_u32_e32 v30, s16, v30
	v_add_nc_u32_e32 v0, 1, v0
	;; [unrolled: 1-line block ×4, first 2 shown]
	s_add_i32 s3, s3, -1
	s_delay_alu instid0(SALU_CYCLE_1)
	s_cmp_eq_u32 s3, 0
	s_cbranch_scc1 .LBB267_19
.LBB267_14:                             ; =>This Inner Loop Header: Depth=1
	v_cmp_gt_f32_e32 vcc_lo, v22, v24
	v_cndmask_b32_e32 v3, v24, v22, vcc_lo
	v_cndmask_b32_e32 v1, v20, v27, vcc_lo
	s_delay_alu instid0(VALU_DEP_2) | instskip(SKIP_1) | instid1(VALU_DEP_3)
	v_cmp_gt_f32_e32 vcc_lo, v26, v3
	v_cndmask_b32_e32 v3, v3, v26, vcc_lo
	v_cndmask_b32_e32 v1, v1, v28, vcc_lo
	s_delay_alu instid0(VALU_DEP_2) | instskip(SKIP_1) | instid1(VALU_DEP_3)
	;; [unrolled: 4-line block ×13, first 2 shown]
	v_cmp_gt_f32_e32 vcc_lo, v7, v3
	v_cndmask_b32_e32 v3, v3, v7, vcc_lo
	v_cndmask_b32_e32 v1, v1, v42, vcc_lo
	s_delay_alu instid0(VALU_DEP_2) | instskip(NEXT) | instid1(VALU_DEP_2)
	v_cmp_gt_f32_e32 vcc_lo, v6, v3
	v_cndmask_b32_e32 v5, v1, v43, vcc_lo
	v_cndmask_b32_e32 v1, v3, v6, vcc_lo
	s_delay_alu instid0(VALU_DEP_2) | instskip(NEXT) | instid1(VALU_DEP_2)
	v_mov_b32_dpp v32, v5 quad_perm:[1,0,3,2] row_mask:0xf bank_mask:0xf
	v_mov_b32_dpp v3, v1 quad_perm:[1,0,3,2] row_mask:0xf bank_mask:0xf
	s_delay_alu instid0(VALU_DEP_2) | instskip(NEXT) | instid1(VALU_DEP_2)
	v_cmp_lt_i32_e32 vcc_lo, v32, v5
	v_cmp_eq_f32_e64 s0, v1, v3
	v_cmp_lt_f32_e64 s1, v1, v3
	s_delay_alu instid0(VALU_DEP_2)
	s_and_b32 s0, s0, vcc_lo
	s_delay_alu instid0(VALU_DEP_1) | instid1(SALU_CYCLE_1)
	s_or_b32 vcc_lo, s1, s0
	v_cndmask_b32_e32 v32, v5, v32, vcc_lo
	s_and_saveexec_b32 s1, s2
	s_cbranch_execz .LBB267_16
; %bb.15:                               ;   in Loop: Header=BB267_14 Depth=1
	v_cndmask_b32_e32 v1, v1, v3, vcc_lo
	s_delay_alu instid0(VALU_DEP_2) | instskip(SKIP_3) | instid1(VALU_DEP_3)
	v_cmp_le_i32_e32 vcc_lo, s5, v32
	v_cmp_gt_i32_e64 s0, s6, v32
	v_subrev_nc_u32_e32 v51, s5, v32
	v_ashrrev_i32_e32 v5, 31, v4
	s_and_b32 s0, vcc_lo, s0
	s_delay_alu instid0(SALU_CYCLE_1) | instskip(SKIP_1) | instid1(VALU_DEP_1)
	s_and_b32 vcc_lo, s17, s0
	v_sub_f32_e32 v50, v1, v10
	v_mul_f32_e32 v1, 0x3fb8aa3b, v50
	s_delay_alu instid0(VALU_DEP_1) | instskip(SKIP_1) | instid1(VALU_DEP_2)
	v_fma_f32 v3, 0x3fb8aa3b, v50, -v1
	v_rndne_f32_e32 v44, v1
	v_fmac_f32_e32 v3, 0x32a5705f, v50
	s_delay_alu instid0(VALU_DEP_2) | instskip(SKIP_2) | instid1(VALU_DEP_3)
	v_sub_f32_e32 v1, v1, v44
	v_cvt_i32_f32_e32 v49, v44
	v_lshlrev_b64 v[44:45], 2, v[4:5]
	v_add_f32_e32 v1, v1, v3
	v_ashrrev_i32_e32 v3, 31, v2
	s_delay_alu instid0(VALU_DEP_2) | instskip(SKIP_1) | instid1(VALU_DEP_2)
	v_exp_f32_e32 v48, v1
	v_ashrrev_i32_e32 v1, 31, v0
	v_lshlrev_b64 v[46:47], 2, v[2:3]
	s_waitcnt_depctr 0xfff
	v_ldexp_f32 v3, v48, v49
	v_lshlrev_b64 v[48:49], 2, v[0:1]
	v_cndmask_b32_e32 v1, 32, v51, vcc_lo
	v_cmp_ngt_f32_e32 vcc_lo, 0xc2ce8ed0, v50
	s_delay_alu instid0(VALU_DEP_4) | instskip(SKIP_3) | instid1(VALU_DEP_4)
	v_cndmask_b32_e32 v3, 0, v3, vcc_lo
	v_add_co_u32 v44, vcc_lo, s12, v44
	v_add_co_ci_u32_e32 v45, vcc_lo, s13, v45, vcc_lo
	v_cmp_nlt_f32_e32 vcc_lo, 0x42b17218, v50
	v_cndmask_b32_e32 v3, 0x7f800000, v3, vcc_lo
	s_waitcnt lgkmcnt(0)
	v_add_co_u32 v46, vcc_lo, s8, v46
	v_add_co_ci_u32_e32 v47, vcc_lo, s9, v47, vcc_lo
	v_add_co_u32 v48, vcc_lo, s10, v48
	v_add_f32_e32 v9, v9, v3
	v_add_co_ci_u32_e32 v49, vcc_lo, s11, v49, vcc_lo
	global_store_b32 v[44:45], v3, off
	global_store_b32 v[46:47], v1, off
	;; [unrolled: 1-line block ×3, first 2 shown]
.LBB267_16:                             ;   in Loop: Header=BB267_14 Depth=1
	s_or_b32 exec_lo, exec_lo, s1
	s_delay_alu instid0(VALU_DEP_1) | instskip(SKIP_1) | instid1(VALU_DEP_1)
	v_ashrrev_i32_e32 v3, 31, v32
	s_mov_b32 s0, exec_lo
	v_lshrrev_b32_e32 v1, 28, v3
	s_delay_alu instid0(VALU_DEP_1) | instskip(NEXT) | instid1(VALU_DEP_1)
	v_add_nc_u32_e32 v5, v32, v1
	v_ashrrev_i32_e32 v1, 4, v5
	v_lshrrev_b32_e32 v5, 31, v5
	s_delay_alu instid0(VALU_DEP_1) | instskip(NEXT) | instid1(VALU_DEP_1)
	v_add_nc_u32_e32 v5, v1, v5
	v_and_b32_e32 v5, -2, v5
	s_delay_alu instid0(VALU_DEP_1) | instskip(NEXT) | instid1(VALU_DEP_1)
	v_sub_nc_u32_e32 v5, v1, v5
	v_cmpx_eq_u32_e64 v11, v5
	s_cbranch_execz .LBB267_13
; %bb.17:                               ;   in Loop: Header=BB267_14 Depth=1
	v_lshrrev_b32_e32 v3, 27, v3
	v_lshlrev_b32_e32 v1, 4, v1
	s_delay_alu instid0(VALU_DEP_2) | instskip(NEXT) | instid1(VALU_DEP_2)
	v_add_nc_u32_e32 v3, v32, v3
	v_sub_nc_u32_e32 v1, v32, v1
	s_delay_alu instid0(VALU_DEP_2) | instskip(NEXT) | instid1(VALU_DEP_1)
	v_ashrrev_i32_e32 v3, 5, v3
	v_lshl_add_u32 v1, v3, 4, v1
	s_delay_alu instid0(VALU_DEP_1)
	v_cmp_ne_u32_e32 vcc_lo, 15, v1
	v_cndmask_b32_e32 v6, 0xff800000, v6, vcc_lo
	v_cmp_ne_u32_e32 vcc_lo, 14, v1
	v_cndmask_b32_e32 v7, 0xff800000, v7, vcc_lo
	;; [unrolled: 2-line block ×16, first 2 shown]
	s_branch .LBB267_13
.LBB267_18:
	v_mov_b32_e32 v9, 0
.LBB267_19:
	v_sub_f32_e32 v5, v25, v10
	v_sub_f32_e32 v0, v24, v10
	;; [unrolled: 1-line block ×5, first 2 shown]
	v_mul_f32_e32 v27, 0x3fb8aa3b, v5
	v_dual_sub_f32 v1, v22, v10 :: v_dual_mul_f32 v2, 0x3fb8aa3b, v0
	v_sub_f32_e32 v3, v26, v10
	v_cmp_ngt_f32_e32 vcc_lo, 0xc2ce8ed0, v0
	s_delay_alu instid0(VALU_DEP_4) | instskip(NEXT) | instid1(VALU_DEP_4)
	v_rndne_f32_e32 v30, v27
	v_mul_f32_e32 v4, 0x3fb8aa3b, v1
	v_fma_f32 v22, 0x3fb8aa3b, v0, -v2
	v_mul_f32_e32 v26, 0x3fb8aa3b, v3
	v_fma_f32 v29, 0x3fb8aa3b, v5, -v27
	v_sub_f32_e32 v20, v23, v10
	v_rndne_f32_e32 v23, v2
	v_fma_f32 v24, 0x3fb8aa3b, v1, -v4
	v_rndne_f32_e32 v25, v4
	v_dual_fmac_f32 v29, 0x32a5705f, v5 :: v_dual_fmac_f32 v22, 0x32a5705f, v0
	s_delay_alu instid0(VALU_DEP_4) | instskip(NEXT) | instid1(VALU_DEP_4)
	v_sub_f32_e32 v2, v2, v23
	v_fmac_f32_e32 v24, 0x32a5705f, v1
	s_delay_alu instid0(VALU_DEP_4) | instskip(SKIP_1) | instid1(VALU_DEP_4)
	v_dual_sub_f32 v4, v4, v25 :: v_dual_sub_f32 v21, v21, v10
	v_cvt_i32_f32_e32 v23, v23
	v_add_f32_e32 v2, v2, v22
	v_fma_f32 v22, 0x3fb8aa3b, v3, -v26
	s_delay_alu instid0(VALU_DEP_4)
	v_add_f32_e32 v4, v4, v24
	v_rndne_f32_e32 v24, v26
	v_cvt_i32_f32_e32 v25, v25
	v_exp_f32_e32 v2, v2
	v_dual_fmac_f32 v22, 0x32a5705f, v3 :: v_dual_sub_f32 v19, v19, v10
	v_exp_f32_e32 v4, v4
	v_sub_f32_e32 v26, v26, v24
	v_cvt_i32_f32_e32 v24, v24
	v_sub_f32_e32 v15, v15, v10
	v_sub_f32_e32 v14, v14, v10
	s_delay_alu instid0(VALU_DEP_4) | instskip(NEXT) | instid1(TRANS32_DEP_2)
	v_add_f32_e32 v22, v26, v22
	v_ldexp_f32 v2, v2, v23
	v_sub_f32_e32 v23, v27, v30
	s_delay_alu instid0(TRANS32_DEP_1) | instskip(NEXT) | instid1(VALU_DEP_4)
	v_ldexp_f32 v4, v4, v25
	v_exp_f32_e32 v22, v22
	s_delay_alu instid0(VALU_DEP_3) | instskip(SKIP_1) | instid1(VALU_DEP_3)
	v_cndmask_b32_e32 v2, 0, v2, vcc_lo
	v_cmp_ngt_f32_e32 vcc_lo, 0xc2ce8ed0, v1
	v_dual_add_f32 v23, v23, v29 :: v_dual_cndmask_b32 v4, 0, v4
	v_cmp_nlt_f32_e32 vcc_lo, 0x42b17218, v0
	s_delay_alu instid0(VALU_DEP_2) | instskip(SKIP_3) | instid1(TRANS32_DEP_2)
	v_exp_f32_e32 v23, v23
	v_cndmask_b32_e32 v0, 0x7f800000, v2, vcc_lo
	v_cmp_nlt_f32_e32 vcc_lo, 0x42b17218, v1
	v_cndmask_b32_e32 v1, 0x7f800000, v4, vcc_lo
	v_ldexp_f32 v4, v22, v24
	v_cmp_ngt_f32_e32 vcc_lo, 0xc2ce8ed0, v3
	s_delay_alu instid0(VALU_DEP_2)
	v_dual_add_f32 v0, v0, v1 :: v_dual_cndmask_b32 v1, 0, v4
	v_cvt_i32_f32_e32 v4, v30
	v_cmp_nlt_f32_e32 vcc_lo, 0x42b17218, v3
	s_delay_alu instid0(TRANS32_DEP_1) | instid1(VALU_DEP_2)
	v_ldexp_f32 v3, v23, v4
	s_delay_alu instid0(VALU_DEP_4) | instskip(SKIP_3) | instid1(VALU_DEP_4)
	v_cndmask_b32_e32 v1, 0x7f800000, v1, vcc_lo
	v_cmp_ngt_f32_e32 vcc_lo, 0xc2ce8ed0, v5
	v_mul_f32_e32 v28, 0x3fb8aa3b, v20
	v_mul_f32_e32 v4, 0x3fb8aa3b, v21
	v_dual_add_f32 v0, v0, v1 :: v_dual_cndmask_b32 v1, 0, v3
	s_delay_alu instid0(VALU_DEP_3) | instskip(SKIP_1) | instid1(VALU_DEP_4)
	v_fma_f32 v2, 0x3fb8aa3b, v20, -v28
	v_rndne_f32_e32 v22, v28
	v_fma_f32 v3, 0x3fb8aa3b, v21, -v4
	v_rndne_f32_e32 v23, v4
	v_cmp_nlt_f32_e32 vcc_lo, 0x42b17218, v5
	v_fmac_f32_e32 v2, 0x32a5705f, v20
	v_sub_f32_e32 v24, v28, v22
	v_cvt_i32_f32_e32 v5, v22
	v_fmac_f32_e32 v3, 0x32a5705f, v21
	v_dual_cndmask_b32 v1, 0x7f800000, v1 :: v_dual_sub_f32 v4, v4, v23
	s_delay_alu instid0(VALU_DEP_4) | instskip(SKIP_1) | instid1(VALU_DEP_3)
	v_add_f32_e32 v2, v24, v2
	v_cmp_ngt_f32_e32 vcc_lo, 0xc2ce8ed0, v20
	v_add_f32_e32 v0, v0, v1
	s_delay_alu instid0(VALU_DEP_3) | instskip(SKIP_2) | instid1(VALU_DEP_1)
	v_exp_f32_e32 v2, v2
	s_waitcnt_depctr 0xfff
	v_ldexp_f32 v1, v2, v5
	v_dual_add_f32 v2, v4, v3 :: v_dual_cndmask_b32 v1, 0, v1
	s_delay_alu instid0(VALU_DEP_1) | instskip(SKIP_2) | instid1(VALU_DEP_3)
	v_exp_f32_e32 v2, v2
	v_cmp_nlt_f32_e32 vcc_lo, 0x42b17218, v20
	v_cvt_i32_f32_e32 v20, v23
	v_cndmask_b32_e32 v1, 0x7f800000, v1, vcc_lo
	v_cmp_ngt_f32_e32 vcc_lo, 0xc2ce8ed0, v21
	s_delay_alu instid0(VALU_DEP_2) | instskip(SKIP_2) | instid1(VALU_DEP_1)
	v_add_f32_e32 v0, v0, v1
	s_waitcnt_depctr 0xfff
	v_ldexp_f32 v1, v2, v20
	v_cndmask_b32_e32 v1, 0, v1, vcc_lo
	v_cmp_nlt_f32_e32 vcc_lo, 0x42b17218, v21
	v_mul_f32_e32 v21, 0x3fb8aa3b, v14
	s_delay_alu instid0(VALU_DEP_3) | instskip(SKIP_2) | instid1(VALU_DEP_3)
	v_cndmask_b32_e32 v1, 0x7f800000, v1, vcc_lo
	v_cmp_ngt_f32_e32 vcc_lo, 0xc2ce8ed0, v19
	v_mul_f32_e32 v22, 0x3fb8aa3b, v19
	v_add_f32_e32 v0, v0, v1
	s_delay_alu instid0(VALU_DEP_2) | instskip(SKIP_1) | instid1(VALU_DEP_2)
	v_fma_f32 v3, 0x3fb8aa3b, v19, -v22
	v_rndne_f32_e32 v4, v22
	v_fmac_f32_e32 v3, 0x32a5705f, v19
	s_delay_alu instid0(VALU_DEP_2) | instskip(SKIP_1) | instid1(VALU_DEP_2)
	v_sub_f32_e32 v5, v22, v4
	v_cvt_i32_f32_e32 v4, v4
	v_add_f32_e32 v3, v5, v3
	s_delay_alu instid0(VALU_DEP_1) | instskip(SKIP_2) | instid1(VALU_DEP_1)
	v_exp_f32_e32 v2, v3
	s_waitcnt_depctr 0xfff
	v_ldexp_f32 v2, v2, v4
	v_cndmask_b32_e32 v1, 0, v2, vcc_lo
	v_cmp_nlt_f32_e32 vcc_lo, 0x42b17218, v19
	s_delay_alu instid0(VALU_DEP_2) | instskip(SKIP_2) | instid1(VALU_DEP_3)
	v_cndmask_b32_e32 v1, 0x7f800000, v1, vcc_lo
	v_mul_f32_e32 v5, 0x3fb8aa3b, v18
	v_cmp_ngt_f32_e32 vcc_lo, 0xc2ce8ed0, v18
	v_add_f32_e32 v0, v0, v1
	s_delay_alu instid0(VALU_DEP_3) | instskip(SKIP_1) | instid1(VALU_DEP_2)
	v_fma_f32 v3, 0x3fb8aa3b, v18, -v5
	v_rndne_f32_e32 v20, v5
	v_fmac_f32_e32 v3, 0x32a5705f, v18
	s_delay_alu instid0(VALU_DEP_2) | instskip(NEXT) | instid1(VALU_DEP_1)
	v_sub_f32_e32 v5, v5, v20
	v_add_f32_e32 v3, v5, v3
	v_sub_f32_e32 v5, v16, v10
	v_cvt_i32_f32_e32 v16, v20
	s_delay_alu instid0(VALU_DEP_3) | instskip(SKIP_2) | instid1(VALU_DEP_1)
	v_exp_f32_e32 v2, v3
	s_waitcnt_depctr 0xfff
	v_ldexp_f32 v1, v2, v16
	v_dual_sub_f32 v4, v17, v10 :: v_dual_cndmask_b32 v1, 0, v1
	s_delay_alu instid0(VALU_DEP_1) | instskip(SKIP_1) | instid1(VALU_DEP_2)
	v_mul_f32_e32 v3, 0x3fb8aa3b, v4
	v_cmp_nlt_f32_e32 vcc_lo, 0x42b17218, v18
	v_rndne_f32_e32 v19, v3
	v_fma_f32 v17, 0x3fb8aa3b, v4, -v3
	s_delay_alu instid0(VALU_DEP_2) | instskip(SKIP_1) | instid1(VALU_DEP_3)
	v_sub_f32_e32 v2, v3, v19
	v_mul_f32_e32 v20, 0x3fb8aa3b, v5
	v_fmac_f32_e32 v17, 0x32a5705f, v4
	v_cvt_i32_f32_e32 v19, v19
	s_delay_alu instid0(VALU_DEP_3) | instskip(SKIP_1) | instid1(VALU_DEP_4)
	v_fma_f32 v3, 0x3fb8aa3b, v5, -v20
	v_rndne_f32_e32 v16, v20
	v_add_f32_e32 v2, v2, v17
	s_delay_alu instid0(VALU_DEP_3) | instskip(NEXT) | instid1(VALU_DEP_3)
	v_fmac_f32_e32 v3, 0x32a5705f, v5
	v_dual_sub_f32 v17, v20, v16 :: v_dual_mul_f32 v20, 0x3fb8aa3b, v15
	s_delay_alu instid0(VALU_DEP_3) | instskip(NEXT) | instid1(VALU_DEP_1)
	v_exp_f32_e32 v2, v2
	v_add_f32_e32 v3, v17, v3
	s_delay_alu instid0(VALU_DEP_2) | instskip(SKIP_4) | instid1(VALU_DEP_3)
	v_fma_f32 v17, 0x3fb8aa3b, v15, -v20
	v_rndne_f32_e32 v18, v20
	v_cndmask_b32_e32 v1, 0x7f800000, v1, vcc_lo
	v_cmp_ngt_f32_e32 vcc_lo, 0xc2ce8ed0, v4
	v_exp_f32_e32 v3, v3
	v_dual_fmac_f32 v17, 0x32a5705f, v15 :: v_dual_sub_f32 v20, v20, v18
	s_delay_alu instid0(VALU_DEP_3) | instskip(NEXT) | instid1(TRANS32_DEP_2)
	v_add_f32_e32 v0, v0, v1
	v_ldexp_f32 v1, v2, v19
	v_cvt_i32_f32_e32 v2, v16
	v_rndne_f32_e32 v19, v21
	v_add_f32_e32 v16, v20, v17
	v_fma_f32 v17, 0x3fb8aa3b, v14, -v21
	v_cndmask_b32_e32 v1, 0, v1, vcc_lo
	s_delay_alu instid0(TRANS32_DEP_1)
	v_ldexp_f32 v2, v3, v2
	v_cmp_nlt_f32_e32 vcc_lo, 0x42b17218, v4
	v_exp_f32_e32 v3, v16
	v_sub_f32_e32 v16, v21, v19
	v_cvt_i32_f32_e32 v4, v18
	v_fmac_f32_e32 v17, 0x32a5705f, v14
	v_cndmask_b32_e32 v1, 0x7f800000, v1, vcc_lo
	v_cmp_ngt_f32_e32 vcc_lo, 0xc2ce8ed0, v5
	s_delay_alu instid0(VALU_DEP_2) | instskip(NEXT) | instid1(TRANS32_DEP_1)
	v_add_f32_e32 v0, v0, v1
	v_ldexp_f32 v1, v3, v4
	v_cndmask_b32_e32 v2, 0, v2, vcc_lo
	v_cmp_nlt_f32_e32 vcc_lo, 0x42b17218, v5
	v_dual_sub_f32 v4, v13, v10 :: v_dual_mul_f32 v13, 0x3fb8aa3b, v12
	s_delay_alu instid0(VALU_DEP_3) | instskip(SKIP_1) | instid1(VALU_DEP_3)
	v_cndmask_b32_e32 v2, 0x7f800000, v2, vcc_lo
	v_cmp_ngt_f32_e32 vcc_lo, 0xc2ce8ed0, v15
	v_mul_f32_e32 v5, 0x3fb8aa3b, v4
	v_cndmask_b32_e32 v1, 0, v1, vcc_lo
	v_cmp_nlt_f32_e32 vcc_lo, 0x42b17218, v15
	v_add_f32_e32 v0, v0, v2
	v_cvt_i32_f32_e32 v2, v19
	s_delay_alu instid0(VALU_DEP_4) | instskip(SKIP_1) | instid1(VALU_DEP_2)
	v_cndmask_b32_e32 v1, 0x7f800000, v1, vcc_lo
	v_cmp_ngt_f32_e32 vcc_lo, 0xc2ce8ed0, v14
	v_add_f32_e32 v0, v0, v1
	v_fma_f32 v1, 0x3fb8aa3b, v4, -v5
	s_delay_alu instid0(VALU_DEP_1) | instskip(NEXT) | instid1(VALU_DEP_1)
	v_dual_add_f32 v16, v16, v17 :: v_dual_fmac_f32 v1, 0x32a5705f, v4
	v_exp_f32_e32 v3, v16
	s_waitcnt_depctr 0xfff
	v_ldexp_f32 v2, v3, v2
	v_rndne_f32_e32 v3, v5
	s_delay_alu instid0(VALU_DEP_1) | instskip(SKIP_2) | instid1(VALU_DEP_3)
	v_dual_cndmask_b32 v2, 0, v2 :: v_dual_sub_f32 v5, v5, v3
	v_cmp_nlt_f32_e32 vcc_lo, 0x42b17218, v14
	v_cvt_i32_f32_e32 v3, v3
	v_dual_add_f32 v1, v5, v1 :: v_dual_cndmask_b32 v2, 0x7f800000, v2
	v_rndne_f32_e32 v5, v13
	v_cmp_ngt_f32_e32 vcc_lo, 0xc2ce8ed0, v4
	s_delay_alu instid0(VALU_DEP_3) | instskip(SKIP_4) | instid1(VALU_DEP_3)
	v_exp_f32_e32 v1, v1
	s_waitcnt_depctr 0xfff
	v_ldexp_f32 v1, v1, v3
	v_add_f32_e32 v0, v0, v2
	v_fma_f32 v2, 0x3fb8aa3b, v12, -v13
	v_cndmask_b32_e32 v1, 0, v1, vcc_lo
	v_cmp_nlt_f32_e32 vcc_lo, 0x42b17218, v4
	v_sub_f32_e32 v6, v6, v10
	s_delay_alu instid0(VALU_DEP_4)
	v_fmac_f32_e32 v2, 0x32a5705f, v12
	v_mul_f32_e32 v14, 0x3fb8aa3b, v7
	v_sub_f32_e32 v10, v13, v5
	v_cndmask_b32_e32 v1, 0x7f800000, v1, vcc_lo
	v_mul_f32_e32 v16, 0x3fb8aa3b, v6
	v_cvt_i32_f32_e32 v5, v5
	v_fma_f32 v13, 0x3fb8aa3b, v7, -v14
	v_rndne_f32_e32 v15, v14
	v_add_f32_e32 v2, v10, v2
	v_rndne_f32_e32 v17, v16
	s_delay_alu instid0(VALU_DEP_4) | instskip(NEXT) | instid1(VALU_DEP_4)
	v_dual_add_f32 v0, v0, v1 :: v_dual_fmac_f32 v13, 0x32a5705f, v7
	v_sub_f32_e32 v10, v14, v15
	s_delay_alu instid0(VALU_DEP_4) | instskip(SKIP_2) | instid1(VALU_DEP_3)
	v_exp_f32_e32 v2, v2
	v_fma_f32 v14, 0x3fb8aa3b, v6, -v16
	v_cvt_i32_f32_e32 v4, v15
	v_add_f32_e32 v3, v10, v13
	v_sub_f32_e32 v10, v16, v17
	s_delay_alu instid0(VALU_DEP_4) | instskip(SKIP_1) | instid1(VALU_DEP_4)
	v_fmac_f32_e32 v14, 0x32a5705f, v6
	v_cmp_ngt_f32_e32 vcc_lo, 0xc2ce8ed0, v12
	v_exp_f32_e32 v3, v3
	s_delay_alu instid0(TRANS32_DEP_2) | instskip(NEXT) | instid1(VALU_DEP_3)
	v_ldexp_f32 v2, v2, v5
	v_add_f32_e32 v10, v10, v14
	s_delay_alu instid0(VALU_DEP_2) | instskip(SKIP_1) | instid1(VALU_DEP_3)
	v_cndmask_b32_e32 v2, 0, v2, vcc_lo
	v_cmp_nlt_f32_e32 vcc_lo, 0x42b17218, v12
	v_exp_f32_e32 v5, v10
	s_waitcnt_depctr 0xfff
	v_ldexp_f32 v1, v3, v4
	v_cvt_i32_f32_e32 v3, v17
	v_cndmask_b32_e32 v2, 0x7f800000, v2, vcc_lo
	v_cmp_ngt_f32_e32 vcc_lo, 0xc2ce8ed0, v7
	s_delay_alu instid0(VALU_DEP_2) | instskip(SKIP_2) | instid1(VALU_DEP_3)
	v_dual_add_f32 v0, v0, v2 :: v_dual_cndmask_b32 v1, 0, v1
	v_cmp_nlt_f32_e32 vcc_lo, 0x42b17218, v7
	v_ldexp_f32 v3, v5, v3
	v_cndmask_b32_e32 v1, 0x7f800000, v1, vcc_lo
	v_cmp_ngt_f32_e32 vcc_lo, 0xc2ce8ed0, v6
	s_delay_alu instid0(VALU_DEP_2) | instskip(NEXT) | instid1(VALU_DEP_4)
	v_add_f32_e32 v0, v0, v1
	v_cndmask_b32_e32 v2, 0, v3, vcc_lo
	v_cmp_nlt_f32_e32 vcc_lo, 0x42b17218, v6
	s_delay_alu instid0(VALU_DEP_2) | instskip(SKIP_1) | instid1(VALU_DEP_2)
	v_cndmask_b32_e32 v1, 0x7f800000, v2, vcc_lo
	v_cmp_eq_u32_e32 vcc_lo, 0, v11
	v_add_f32_e32 v0, v0, v1
	s_delay_alu instid0(VALU_DEP_1)
	v_mov_b32_dpp v1, v0 quad_perm:[1,0,3,2] row_mask:0xf bank_mask:0xf
	s_and_b32 exec_lo, exec_lo, vcc_lo
	s_cbranch_execz .LBB267_24
; %bb.20:
	s_delay_alu instid0(VALU_DEP_1) | instskip(NEXT) | instid1(VALU_DEP_1)
	v_add_f32_e32 v0, v0, v1
	v_add_f32_e32 v0, v9, v0
	s_delay_alu instid0(VALU_DEP_1)
	v_cmp_neq_f32_e32 vcc_lo, 0, v0
	s_and_b32 exec_lo, exec_lo, vcc_lo
	s_cbranch_execz .LBB267_24
; %bb.21:
	s_and_not1_b32 vcc_lo, exec_lo, s7
	s_cbranch_vccnz .LBB267_24
; %bb.22:
	v_div_scale_f32 v1, null, v0, v0, 1.0
	v_div_scale_f32 v4, vcc_lo, 1.0, v0, 1.0
	v_ashrrev_i32_e32 v9, 31, v8
	s_delay_alu instid0(VALU_DEP_3) | instskip(SKIP_2) | instid1(VALU_DEP_1)
	v_rcp_f32_e32 v2, v1
	s_waitcnt_depctr 0xfff
	v_fma_f32 v3, -v1, v2, 1.0
	v_fmac_f32_e32 v2, v3, v2
	s_delay_alu instid0(VALU_DEP_1) | instskip(NEXT) | instid1(VALU_DEP_1)
	v_mul_f32_e32 v3, v4, v2
	v_fma_f32 v5, -v1, v3, v4
	s_delay_alu instid0(VALU_DEP_1) | instskip(NEXT) | instid1(VALU_DEP_1)
	v_fmac_f32_e32 v3, v5, v2
	v_fma_f32 v1, -v1, v3, v4
	s_delay_alu instid0(VALU_DEP_1) | instskip(SKIP_1) | instid1(VALU_DEP_2)
	v_div_fmas_f32 v1, v1, v2, v3
	v_lshlrev_b64 v[3:4], 2, v[8:9]
	v_div_fixup_f32 v2, v1, v0, 1.0
	s_delay_alu instid0(VALU_DEP_2) | instskip(NEXT) | instid1(VALU_DEP_3)
	v_add_co_u32 v0, vcc_lo, s12, v3
	v_add_co_ci_u32_e32 v1, vcc_lo, s13, v4, vcc_lo
.LBB267_23:                             ; =>This Inner Loop Header: Depth=1
	global_load_b32 v3, v[0:1], off
	s_add_i32 s4, s4, -1
	s_delay_alu instid0(SALU_CYCLE_1)
	s_cmp_lg_u32 s4, 0
	s_waitcnt vmcnt(0)
	v_mul_f32_e32 v3, v2, v3
	global_store_b32 v[0:1], v3, off
	v_add_co_u32 v0, vcc_lo, v0, 4
	v_add_co_ci_u32_e32 v1, vcc_lo, 0, v1, vcc_lo
	s_cbranch_scc1 .LBB267_23
.LBB267_24:
	s_nop 0
	s_sendmsg sendmsg(MSG_DEALLOC_VGPRS)
	s_endpgm
	.section	.rodata,"a",@progbits
	.p2align	6, 0x0
	.amdhsa_kernel _ZN4vllm3moe17topkGatingSoftmaxItLi16ELi32ELi8ELi32ELb0ELi8ELNS0_23SharedExpertScoringFuncE1EEEvPKT_PKbPfiPiS9_iiiiii
		.amdhsa_group_segment_fixed_size 0
		.amdhsa_private_segment_fixed_size 0
		.amdhsa_kernarg_size 72
		.amdhsa_user_sgpr_count 15
		.amdhsa_user_sgpr_dispatch_ptr 0
		.amdhsa_user_sgpr_queue_ptr 0
		.amdhsa_user_sgpr_kernarg_segment_ptr 1
		.amdhsa_user_sgpr_dispatch_id 0
		.amdhsa_user_sgpr_private_segment_size 0
		.amdhsa_wavefront_size32 1
		.amdhsa_uses_dynamic_stack 0
		.amdhsa_enable_private_segment 0
		.amdhsa_system_sgpr_workgroup_id_x 1
		.amdhsa_system_sgpr_workgroup_id_y 0
		.amdhsa_system_sgpr_workgroup_id_z 0
		.amdhsa_system_sgpr_workgroup_info 0
		.amdhsa_system_vgpr_workitem_id 1
		.amdhsa_next_free_vgpr 52
		.amdhsa_next_free_sgpr 19
		.amdhsa_reserve_vcc 1
		.amdhsa_float_round_mode_32 0
		.amdhsa_float_round_mode_16_64 0
		.amdhsa_float_denorm_mode_32 3
		.amdhsa_float_denorm_mode_16_64 3
		.amdhsa_dx10_clamp 1
		.amdhsa_ieee_mode 1
		.amdhsa_fp16_overflow 0
		.amdhsa_workgroup_processor_mode 1
		.amdhsa_memory_ordered 1
		.amdhsa_forward_progress 0
		.amdhsa_shared_vgpr_count 0
		.amdhsa_exception_fp_ieee_invalid_op 0
		.amdhsa_exception_fp_denorm_src 0
		.amdhsa_exception_fp_ieee_div_zero 0
		.amdhsa_exception_fp_ieee_overflow 0
		.amdhsa_exception_fp_ieee_underflow 0
		.amdhsa_exception_fp_ieee_inexact 0
		.amdhsa_exception_int_div_zero 0
	.end_amdhsa_kernel
	.section	.text._ZN4vllm3moe17topkGatingSoftmaxItLi16ELi32ELi8ELi32ELb0ELi8ELNS0_23SharedExpertScoringFuncE1EEEvPKT_PKbPfiPiS9_iiiiii,"axG",@progbits,_ZN4vllm3moe17topkGatingSoftmaxItLi16ELi32ELi8ELi32ELb0ELi8ELNS0_23SharedExpertScoringFuncE1EEEvPKT_PKbPfiPiS9_iiiiii,comdat
.Lfunc_end267:
	.size	_ZN4vllm3moe17topkGatingSoftmaxItLi16ELi32ELi8ELi32ELb0ELi8ELNS0_23SharedExpertScoringFuncE1EEEvPKT_PKbPfiPiS9_iiiiii, .Lfunc_end267-_ZN4vllm3moe17topkGatingSoftmaxItLi16ELi32ELi8ELi32ELb0ELi8ELNS0_23SharedExpertScoringFuncE1EEEvPKT_PKbPfiPiS9_iiiiii
                                        ; -- End function
	.section	.AMDGPU.csdata,"",@progbits
; Kernel info:
; codeLenInByte = 4680
; NumSgprs: 21
; NumVgprs: 52
; ScratchSize: 0
; MemoryBound: 0
; FloatMode: 240
; IeeeMode: 1
; LDSByteSize: 0 bytes/workgroup (compile time only)
; SGPRBlocks: 2
; VGPRBlocks: 6
; NumSGPRsForWavesPerEU: 21
; NumVGPRsForWavesPerEU: 52
; Occupancy: 16
; WaveLimiterHint : 0
; COMPUTE_PGM_RSRC2:SCRATCH_EN: 0
; COMPUTE_PGM_RSRC2:USER_SGPR: 15
; COMPUTE_PGM_RSRC2:TRAP_HANDLER: 0
; COMPUTE_PGM_RSRC2:TGID_X_EN: 1
; COMPUTE_PGM_RSRC2:TGID_Y_EN: 0
; COMPUTE_PGM_RSRC2:TGID_Z_EN: 0
; COMPUTE_PGM_RSRC2:TIDIG_COMP_CNT: 1
	.section	.text._ZN4vllm3moe17topkGatingSoftmaxItLi16ELi64ELi8ELi32ELb1ELi0ELNS0_23SharedExpertScoringFuncE0EEEvPKT_PKbPfiPiS9_iiiiii,"axG",@progbits,_ZN4vllm3moe17topkGatingSoftmaxItLi16ELi64ELi8ELi32ELb1ELi0ELNS0_23SharedExpertScoringFuncE0EEEvPKT_PKbPfiPiS9_iiiiii,comdat
	.protected	_ZN4vllm3moe17topkGatingSoftmaxItLi16ELi64ELi8ELi32ELb1ELi0ELNS0_23SharedExpertScoringFuncE0EEEvPKT_PKbPfiPiS9_iiiiii ; -- Begin function _ZN4vllm3moe17topkGatingSoftmaxItLi16ELi64ELi8ELi32ELb1ELi0ELNS0_23SharedExpertScoringFuncE0EEEvPKT_PKbPfiPiS9_iiiiii
	.globl	_ZN4vllm3moe17topkGatingSoftmaxItLi16ELi64ELi8ELi32ELb1ELi0ELNS0_23SharedExpertScoringFuncE0EEEvPKT_PKbPfiPiS9_iiiiii
	.p2align	8
	.type	_ZN4vllm3moe17topkGatingSoftmaxItLi16ELi64ELi8ELi32ELb1ELi0ELNS0_23SharedExpertScoringFuncE0EEEvPKT_PKbPfiPiS9_iiiiii,@function
_ZN4vllm3moe17topkGatingSoftmaxItLi16ELi64ELi8ELi32ELb1ELi0ELNS0_23SharedExpertScoringFuncE0EEEvPKT_PKbPfiPiS9_iiiiii: ; @_ZN4vllm3moe17topkGatingSoftmaxItLi16ELi64ELi8ELi32ELb1ELi0ELNS0_23SharedExpertScoringFuncE0EEEvPKT_PKbPfiPiS9_iiiiii
; %bb.0:
	s_load_b32 s16, s[0:1], 0x18
	v_bfe_u32 v1, v0, 10, 10
	v_and_b32_e32 v0, 0x3ff, v0
	s_lshl_b32 s18, s15, 6
	s_mov_b32 s2, exec_lo
	s_delay_alu instid0(VALU_DEP_2) | instskip(NEXT) | instid1(VALU_DEP_2)
	v_lshlrev_b32_e32 v42, 3, v1
	v_lshrrev_b32_e32 v43, 2, v0
	s_delay_alu instid0(VALU_DEP_1) | instskip(SKIP_1) | instid1(VALU_DEP_1)
	v_add3_u32 v7, s18, v42, v43
	s_waitcnt lgkmcnt(0)
	v_cmpx_gt_i32_e64 s16, v7
	s_cbranch_execz .LBB268_20
; %bb.1:
	s_clause 0x1
	s_load_b128 s[4:7], s[0:1], 0x0
	s_load_b64 s[12:13], s[0:1], 0x10
	s_waitcnt lgkmcnt(0)
	s_cmp_eq_u64 s[6:7], 0
	s_cbranch_scc1 .LBB268_3
; %bb.2:
	v_ashrrev_i32_e32 v2, 31, v7
	v_add_co_u32 v1, vcc_lo, s6, v7
	s_delay_alu instid0(VALU_DEP_2) | instskip(SKIP_3) | instid1(VALU_DEP_1)
	v_add_co_ci_u32_e32 v2, vcc_lo, s7, v2, vcc_lo
	global_load_u8 v1, v[1:2], off
	s_waitcnt vmcnt(0)
	v_and_b32_e32 v1, 1, v1
	v_cmp_eq_u32_e32 vcc_lo, 1, v1
	s_xor_b32 s2, vcc_lo, -1
	s_delay_alu instid0(SALU_CYCLE_1)
	s_or_not1_b32 s17, s2, exec_lo
	s_branch .LBB268_4
.LBB268_3:
	s_mov_b32 s17, -1
.LBB268_4:
	s_load_b64 s[14:15], s[0:1], 0x40
	v_and_b32_e32 v8, 3, v0
	v_mov_b32_e32 v6, 0
	s_waitcnt lgkmcnt(0)
	v_mul_lo_u32 v1, v7, s15
	s_delay_alu instid0(VALU_DEP_1) | instskip(NEXT) | instid1(VALU_DEP_1)
	v_ashrrev_i32_e32 v2, 31, v1
	v_lshlrev_b64 v[0:1], 1, v[1:2]
	v_lshlrev_b32_e32 v2, 5, v8
	s_delay_alu instid0(VALU_DEP_2) | instskip(NEXT) | instid1(VALU_DEP_3)
	v_add_co_u32 v0, vcc_lo, s4, v0
	v_add_co_ci_u32_e32 v1, vcc_lo, s5, v1, vcc_lo
	s_load_b128 s[4:7], s[0:1], 0x30
	s_delay_alu instid0(VALU_DEP_2) | instskip(NEXT) | instid1(VALU_DEP_2)
	v_add_co_u32 v4, vcc_lo, v0, v2
	v_add_co_ci_u32_e32 v5, vcc_lo, 0, v1, vcc_lo
	s_clause 0x1
	global_load_b128 v[0:3], v[4:5], off
	global_load_b128 v[35:38], v[4:5], off offset:16
	s_waitcnt vmcnt(1)
	v_lshrrev_b32_e32 v4, 16, v0
	v_and_b32_e32 v0, 0xffff, v0
	s_delay_alu instid0(VALU_DEP_2) | instskip(NEXT) | instid1(VALU_DEP_2)
	v_cvt_f32_u32_e32 v10, v4
	v_cvt_f32_u32_e32 v11, v0
	v_and_b32_e32 v0, 0xffff, v1
	v_lshrrev_b32_e32 v1, 16, v1
	s_delay_alu instid0(VALU_DEP_3) | instskip(SKIP_1) | instid1(VALU_DEP_4)
	v_cmp_lt_f32_e32 vcc_lo, v11, v10
	v_lshlrev_b32_e32 v9, 4, v8
	v_cvt_f32_u32_e32 v13, v0
	s_delay_alu instid0(VALU_DEP_4) | instskip(SKIP_1) | instid1(VALU_DEP_4)
	v_cvt_f32_u32_e32 v15, v1
	v_cndmask_b32_e32 v4, v11, v10, vcc_lo
	v_or_b32_e32 v12, 1, v9
	v_or_b32_e32 v14, 2, v9
	v_or_b32_e32 v16, 3, v9
	v_or_b32_e32 v18, 4, v9
	v_or_b32_e32 v20, 5, v9
	v_cndmask_b32_e32 v0, v9, v12, vcc_lo
	v_cmp_lt_f32_e32 vcc_lo, v4, v13
	v_or_b32_e32 v22, 6, v9
	v_or_b32_e32 v24, 7, v9
	;; [unrolled: 1-line block ×4, first 2 shown]
	v_dual_cndmask_b32 v1, v4, v13 :: v_dual_and_b32 v4, 0xffff, v2
	v_lshrrev_b32_e32 v2, 16, v2
	v_or_b32_e32 v30, 10, v9
	v_or_b32_e32 v32, 11, v9
	;; [unrolled: 1-line block ×3, first 2 shown]
	v_cvt_f32_u32_e32 v17, v4
	v_cvt_f32_u32_e32 v19, v2
	v_and_b32_e32 v2, 0xffff, v3
	v_or_b32_e32 v40, 15, v9
	s_delay_alu instid0(VALU_DEP_2) | instskip(SKIP_4) | instid1(VALU_DEP_2)
	v_cvt_f32_u32_e32 v21, v2
	v_cndmask_b32_e32 v0, v0, v14, vcc_lo
	v_cmp_lt_f32_e32 vcc_lo, v1, v15
	v_lshrrev_b32_e32 v2, 16, v3
	v_cndmask_b32_e32 v1, v1, v15, vcc_lo
	v_cvt_f32_u32_e32 v23, v2
	s_waitcnt vmcnt(0)
	v_and_b32_e32 v2, 0xffff, v35
	s_delay_alu instid0(VALU_DEP_1) | instskip(SKIP_4) | instid1(VALU_DEP_2)
	v_cvt_f32_u32_e32 v25, v2
	v_cndmask_b32_e32 v0, v0, v16, vcc_lo
	v_cmp_lt_f32_e32 vcc_lo, v1, v17
	v_lshrrev_b32_e32 v2, 16, v35
	v_cndmask_b32_e32 v1, v1, v17, vcc_lo
	v_cvt_f32_u32_e32 v27, v2
	v_cndmask_b32_e32 v0, v0, v18, vcc_lo
	v_and_b32_e32 v2, 0xffff, v36
	s_delay_alu instid0(VALU_DEP_4) | instskip(NEXT) | instid1(VALU_DEP_2)
	v_cmp_lt_f32_e32 vcc_lo, v1, v19
	v_cvt_f32_u32_e32 v29, v2
	v_lshrrev_b32_e32 v2, 16, v36
	v_cndmask_b32_e32 v1, v1, v19, vcc_lo
	v_or_b32_e32 v36, 13, v9
	s_delay_alu instid0(VALU_DEP_3) | instskip(SKIP_1) | instid1(VALU_DEP_4)
	v_cvt_f32_u32_e32 v31, v2
	v_cndmask_b32_e32 v0, v0, v20, vcc_lo
	v_cmp_lt_f32_e32 vcc_lo, v1, v21
	v_and_b32_e32 v2, 0xffff, v37
	v_cndmask_b32_e32 v1, v1, v21, vcc_lo
	s_delay_alu instid0(VALU_DEP_2) | instskip(SKIP_2) | instid1(VALU_DEP_4)
	v_cvt_f32_u32_e32 v33, v2
	v_cndmask_b32_e32 v0, v0, v22, vcc_lo
	v_lshrrev_b32_e32 v2, 16, v37
	v_cmp_lt_f32_e32 vcc_lo, v1, v23
	s_delay_alu instid0(VALU_DEP_2) | instskip(SKIP_2) | instid1(VALU_DEP_2)
	v_cvt_f32_u32_e32 v35, v2
	v_dual_cndmask_b32 v1, v1, v23 :: v_dual_and_b32 v2, 0xffff, v38
	v_cndmask_b32_e32 v0, v0, v24, vcc_lo
	v_cvt_f32_u32_e32 v37, v2
	s_delay_alu instid0(VALU_DEP_3) | instskip(SKIP_3) | instid1(VALU_DEP_3)
	v_cmp_lt_f32_e32 vcc_lo, v1, v25
	v_lshrrev_b32_e32 v2, 16, v38
	v_or_b32_e32 v38, 14, v9
	v_cndmask_b32_e32 v1, v1, v25, vcc_lo
	v_cvt_f32_u32_e32 v39, v2
	v_cndmask_b32_e32 v0, v0, v26, vcc_lo
	s_delay_alu instid0(VALU_DEP_3) | instskip(NEXT) | instid1(VALU_DEP_2)
	v_cmp_lt_f32_e32 vcc_lo, v1, v27
	v_dual_cndmask_b32 v1, v1, v27 :: v_dual_cndmask_b32 v0, v0, v28
	s_delay_alu instid0(VALU_DEP_1) | instskip(NEXT) | instid1(VALU_DEP_2)
	v_cmp_lt_f32_e32 vcc_lo, v1, v29
	v_dual_cndmask_b32 v1, v1, v29 :: v_dual_cndmask_b32 v0, v0, v30
	s_delay_alu instid0(VALU_DEP_1) | instskip(NEXT) | instid1(VALU_DEP_2)
	;; [unrolled: 3-line block ×7, first 2 shown]
	v_mov_b32_dpp v2, v1 quad_perm:[1,0,3,2] row_mask:0xf bank_mask:0xf
	v_mov_b32_dpp v3, v0 quad_perm:[1,0,3,2] row_mask:0xf bank_mask:0xf
	s_delay_alu instid0(VALU_DEP_2) | instskip(NEXT) | instid1(VALU_DEP_2)
	v_cmp_eq_f32_e64 s2, v1, v2
	v_cmp_lt_i32_e32 vcc_lo, v3, v0
	v_cmp_lt_f32_e64 s3, v1, v2
	s_delay_alu instid0(VALU_DEP_3)
	s_and_b32 s2, s2, vcc_lo
	s_delay_alu instid0(VALU_DEP_1) | instid1(SALU_CYCLE_1)
	s_or_b32 vcc_lo, s3, s2
	s_waitcnt lgkmcnt(0)
	s_cmp_gt_i32 s4, 0
	v_cndmask_b32_e32 v2, v1, v2, vcc_lo
	v_cndmask_b32_e32 v0, v0, v3, vcc_lo
	v_cmp_eq_u32_e32 vcc_lo, 0, v8
	s_cselect_b32 s3, -1, 0
	s_cmp_lt_i32 s4, 1
	v_mov_b32_dpp v4, v2 quad_perm:[2,3,0,1] row_mask:0xf bank_mask:0xf
	v_mov_b32_dpp v41, v0 quad_perm:[2,3,0,1] row_mask:0xf bank_mask:0xf
	s_cbranch_scc1 .LBB268_16
; %bb.5:
	s_load_b128 s[8:11], s[0:1], 0x20
	s_delay_alu instid0(VALU_DEP_2) | instskip(NEXT) | instid1(VALU_DEP_2)
	v_cmp_eq_f32_e64 s0, v2, v4
	v_cmp_lt_i32_e64 s1, v41, v0
	v_cmp_lt_f32_e64 s2, v2, v4
	v_mul_lo_u32 v1, v7, s7
	v_mul_lo_u32 v3, v7, s14
	;; [unrolled: 1-line block ×3, first 2 shown]
	s_and_b32 s0, s0, s1
	v_mov_b32_e32 v6, 0
	s_or_b32 s0, s2, s0
	s_delay_alu instid0(SALU_CYCLE_1)
	v_cndmask_b32_e64 v0, v0, v41, s0
	v_cndmask_b32_e64 v41, v2, v4, s0
	s_and_saveexec_b32 s2, vcc_lo
	s_cbranch_execz .LBB268_7
; %bb.6:
	s_delay_alu instid0(VALU_DEP_1)
	v_sub_f32_e32 v50, v41, v41
	v_cmp_le_i32_e64 s0, s5, v0
	v_cmp_gt_i32_e64 s1, s6, v0
	v_subrev_nc_u32_e32 v51, s5, v0
	v_ashrrev_i32_e32 v6, 31, v5
	v_mul_f32_e32 v2, 0x3fb8aa3b, v50
	s_delay_alu instid0(VALU_DEP_4) | instskip(NEXT) | instid1(SALU_CYCLE_1)
	s_and_b32 s0, s0, s1
	s_and_b32 s0, s17, s0
	s_delay_alu instid0(VALU_DEP_1) | instskip(SKIP_2) | instid1(VALU_DEP_3)
	v_rndne_f32_e32 v46, v2
	v_fma_f32 v4, 0x3fb8aa3b, v50, -v2
	v_lshlrev_b64 v[48:49], 2, v[5:6]
	v_sub_f32_e32 v2, v2, v46
	s_delay_alu instid0(VALU_DEP_3) | instskip(NEXT) | instid1(VALU_DEP_1)
	v_fmamk_f32 v4, v50, 0x32a5705f, v4
	v_add_f32_e32 v4, v2, v4
	v_ashrrev_i32_e32 v2, 31, v1
	s_delay_alu instid0(VALU_DEP_2) | instskip(NEXT) | instid1(VALU_DEP_1)
	v_exp_f32_e32 v52, v4
	v_lshlrev_b64 v[44:45], 2, v[1:2]
	v_ashrrev_i32_e32 v4, 31, v3
	v_cvt_i32_f32_e32 v2, v46
	s_delay_alu instid0(VALU_DEP_2) | instskip(SKIP_2) | instid1(VALU_DEP_1)
	v_lshlrev_b64 v[46:47], 2, v[3:4]
	v_cndmask_b32_e64 v4, 64, v51, s0
	v_add_co_u32 v44, s0, s12, v44
	v_add_co_ci_u32_e64 v45, s0, s13, v45, s0
	s_delay_alu instid0(TRANS32_DEP_1) | instskip(SKIP_1) | instid1(VALU_DEP_1)
	v_ldexp_f32 v2, v52, v2
	v_cmp_ngt_f32_e64 s0, 0xc2ce8ed0, v50
	v_cndmask_b32_e64 v2, 0, v2, s0
	s_waitcnt lgkmcnt(0)
	v_add_co_u32 v46, s0, s8, v46
	s_delay_alu instid0(VALU_DEP_1) | instskip(SKIP_1) | instid1(VALU_DEP_1)
	v_add_co_ci_u32_e64 v47, s0, s9, v47, s0
	v_cmp_nlt_f32_e64 s0, 0x42b17218, v50
	v_cndmask_b32_e64 v6, 0x7f800000, v2, s0
	v_add_co_u32 v48, s0, s10, v48
	s_delay_alu instid0(VALU_DEP_1)
	v_add_co_ci_u32_e64 v49, s0, s11, v49, s0
	global_store_b32 v[46:47], v4, off
	global_store_b32 v[44:45], v6, off
	;; [unrolled: 1-line block ×3, first 2 shown]
.LBB268_7:
	s_or_b32 exec_lo, exec_lo, s2
	v_ashrrev_i32_e32 v4, 31, v0
	s_mov_b32 s1, exec_lo
	s_delay_alu instid0(VALU_DEP_1) | instskip(NEXT) | instid1(VALU_DEP_1)
	v_lshrrev_b32_e32 v2, 28, v4
	v_add_nc_u32_e32 v2, v0, v2
	s_delay_alu instid0(VALU_DEP_1) | instskip(NEXT) | instid1(VALU_DEP_1)
	v_ashrrev_i32_e32 v2, 4, v2
	v_lshrrev_b32_e32 v44, 30, v2
	s_delay_alu instid0(VALU_DEP_1) | instskip(NEXT) | instid1(VALU_DEP_1)
	v_add_nc_u32_e32 v44, v2, v44
	v_and_b32_e32 v44, -4, v44
	s_delay_alu instid0(VALU_DEP_1) | instskip(NEXT) | instid1(VALU_DEP_1)
	v_sub_nc_u32_e32 v44, v2, v44
	v_cmpx_eq_u32_e64 v8, v44
	s_cbranch_execz .LBB268_9
; %bb.8:
	v_lshrrev_b32_e32 v4, 26, v4
	v_lshlrev_b32_e32 v2, 4, v2
	s_delay_alu instid0(VALU_DEP_2) | instskip(NEXT) | instid1(VALU_DEP_2)
	v_add_nc_u32_e32 v4, v0, v4
	v_sub_nc_u32_e32 v0, v0, v2
	s_delay_alu instid0(VALU_DEP_2) | instskip(NEXT) | instid1(VALU_DEP_1)
	v_ashrrev_i32_e32 v2, 6, v4
	v_lshl_add_u32 v0, v2, 4, v0
	s_delay_alu instid0(VALU_DEP_1) | instskip(NEXT) | instid1(VALU_DEP_1)
	v_cmp_ne_u32_e64 s0, 15, v0
	v_cndmask_b32_e64 v39, 0xff800000, v39, s0
	v_cmp_ne_u32_e64 s0, 14, v0
	s_delay_alu instid0(VALU_DEP_1) | instskip(SKIP_1) | instid1(VALU_DEP_1)
	v_cndmask_b32_e64 v37, 0xff800000, v37, s0
	v_cmp_ne_u32_e64 s0, 13, v0
	v_cndmask_b32_e64 v35, 0xff800000, v35, s0
	v_cmp_ne_u32_e64 s0, 12, v0
	s_delay_alu instid0(VALU_DEP_1) | instskip(SKIP_1) | instid1(VALU_DEP_1)
	v_cndmask_b32_e64 v33, 0xff800000, v33, s0
	;; [unrolled: 5-line block ×7, first 2 shown]
	v_cmp_ne_u32_e64 s0, 1, v0
	v_cndmask_b32_e64 v10, 0xff800000, v10, s0
	v_cmp_ne_u32_e64 s0, 0, v0
	s_delay_alu instid0(VALU_DEP_1)
	v_cndmask_b32_e64 v11, 0xff800000, v11, s0
.LBB268_9:
	s_or_b32 exec_lo, exec_lo, s1
	s_cmp_eq_u32 s4, 1
	s_cbranch_scc1 .LBB268_16
; %bb.10:
	s_add_i32 s18, s18, s16
	v_add_nc_u32_e32 v0, 1, v5
	v_add3_u32 v42, s18, v43, v42
	v_add_nc_u32_e32 v2, 1, v3
	v_add_nc_u32_e32 v4, 1, v1
	s_add_i32 s14, s4, -1
	s_branch .LBB268_12
.LBB268_11:                             ;   in Loop: Header=BB268_12 Depth=1
	s_or_b32 exec_lo, exec_lo, s1
	v_add_nc_u32_e32 v42, s16, v42
	v_add_nc_u32_e32 v0, 1, v0
	;; [unrolled: 1-line block ×4, first 2 shown]
	s_add_i32 s14, s14, -1
	s_delay_alu instid0(SALU_CYCLE_1)
	s_cmp_eq_u32 s14, 0
	s_cbranch_scc1 .LBB268_16
.LBB268_12:                             ; =>This Inner Loop Header: Depth=1
	v_cmp_gt_f32_e64 s0, v10, v11
	s_delay_alu instid0(VALU_DEP_1) | instskip(SKIP_1) | instid1(VALU_DEP_2)
	v_cndmask_b32_e64 v3, v11, v10, s0
	v_cndmask_b32_e64 v1, v9, v12, s0
	v_cmp_gt_f32_e64 s0, v13, v3
	s_delay_alu instid0(VALU_DEP_1) | instskip(NEXT) | instid1(VALU_DEP_3)
	v_cndmask_b32_e64 v3, v3, v13, s0
	v_cndmask_b32_e64 v1, v1, v14, s0
	s_delay_alu instid0(VALU_DEP_2) | instskip(NEXT) | instid1(VALU_DEP_1)
	v_cmp_gt_f32_e64 s0, v15, v3
	v_cndmask_b32_e64 v3, v3, v15, s0
	s_delay_alu instid0(VALU_DEP_3) | instskip(NEXT) | instid1(VALU_DEP_2)
	v_cndmask_b32_e64 v1, v1, v16, s0
	v_cmp_gt_f32_e64 s0, v17, v3
	s_delay_alu instid0(VALU_DEP_1) | instskip(NEXT) | instid1(VALU_DEP_3)
	v_cndmask_b32_e64 v3, v3, v17, s0
	v_cndmask_b32_e64 v1, v1, v18, s0
	s_delay_alu instid0(VALU_DEP_2) | instskip(NEXT) | instid1(VALU_DEP_1)
	v_cmp_gt_f32_e64 s0, v19, v3
	v_cndmask_b32_e64 v3, v3, v19, s0
	s_delay_alu instid0(VALU_DEP_3) | instskip(NEXT) | instid1(VALU_DEP_2)
	v_cndmask_b32_e64 v1, v1, v20, s0
	v_cmp_gt_f32_e64 s0, v21, v3
	s_delay_alu instid0(VALU_DEP_1) | instskip(NEXT) | instid1(VALU_DEP_3)
	v_cndmask_b32_e64 v3, v3, v21, s0
	v_cndmask_b32_e64 v1, v1, v22, s0
	s_delay_alu instid0(VALU_DEP_2) | instskip(NEXT) | instid1(VALU_DEP_1)
	v_cmp_gt_f32_e64 s0, v23, v3
	v_cndmask_b32_e64 v3, v3, v23, s0
	s_delay_alu instid0(VALU_DEP_3) | instskip(NEXT) | instid1(VALU_DEP_2)
	v_cndmask_b32_e64 v1, v1, v24, s0
	v_cmp_gt_f32_e64 s0, v25, v3
	s_delay_alu instid0(VALU_DEP_1) | instskip(NEXT) | instid1(VALU_DEP_3)
	v_cndmask_b32_e64 v3, v3, v25, s0
	v_cndmask_b32_e64 v1, v1, v26, s0
	s_delay_alu instid0(VALU_DEP_2) | instskip(NEXT) | instid1(VALU_DEP_1)
	v_cmp_gt_f32_e64 s0, v27, v3
	v_cndmask_b32_e64 v3, v3, v27, s0
	s_delay_alu instid0(VALU_DEP_3) | instskip(NEXT) | instid1(VALU_DEP_2)
	v_cndmask_b32_e64 v1, v1, v28, s0
	v_cmp_gt_f32_e64 s0, v29, v3
	s_delay_alu instid0(VALU_DEP_1) | instskip(NEXT) | instid1(VALU_DEP_3)
	v_cndmask_b32_e64 v3, v3, v29, s0
	v_cndmask_b32_e64 v1, v1, v30, s0
	s_delay_alu instid0(VALU_DEP_2) | instskip(NEXT) | instid1(VALU_DEP_1)
	v_cmp_gt_f32_e64 s0, v31, v3
	v_cndmask_b32_e64 v3, v3, v31, s0
	s_delay_alu instid0(VALU_DEP_3) | instskip(NEXT) | instid1(VALU_DEP_2)
	v_cndmask_b32_e64 v1, v1, v32, s0
	v_cmp_gt_f32_e64 s0, v33, v3
	s_delay_alu instid0(VALU_DEP_1) | instskip(NEXT) | instid1(VALU_DEP_3)
	v_cndmask_b32_e64 v3, v3, v33, s0
	v_cndmask_b32_e64 v1, v1, v34, s0
	s_delay_alu instid0(VALU_DEP_2) | instskip(NEXT) | instid1(VALU_DEP_1)
	v_cmp_gt_f32_e64 s0, v35, v3
	v_cndmask_b32_e64 v3, v3, v35, s0
	s_delay_alu instid0(VALU_DEP_3) | instskip(NEXT) | instid1(VALU_DEP_2)
	v_cndmask_b32_e64 v1, v1, v36, s0
	v_cmp_gt_f32_e64 s0, v37, v3
	s_delay_alu instid0(VALU_DEP_1) | instskip(NEXT) | instid1(VALU_DEP_3)
	v_cndmask_b32_e64 v3, v3, v37, s0
	v_cndmask_b32_e64 v1, v1, v38, s0
	s_delay_alu instid0(VALU_DEP_2) | instskip(NEXT) | instid1(VALU_DEP_1)
	v_cmp_gt_f32_e64 s0, v39, v3
	v_cndmask_b32_e64 v5, v1, v40, s0
	v_cndmask_b32_e64 v1, v3, v39, s0
	s_delay_alu instid0(VALU_DEP_2) | instskip(NEXT) | instid1(VALU_DEP_2)
	v_mov_b32_dpp v3, v5 quad_perm:[1,0,3,2] row_mask:0xf bank_mask:0xf
	v_mov_b32_dpp v43, v1 quad_perm:[1,0,3,2] row_mask:0xf bank_mask:0xf
	s_delay_alu instid0(VALU_DEP_2) | instskip(NEXT) | instid1(VALU_DEP_2)
	v_cmp_lt_i32_e64 s0, v3, v5
	v_cmp_eq_f32_e64 s1, v1, v43
	v_cmp_lt_f32_e64 s2, v1, v43
	s_delay_alu instid0(VALU_DEP_2)
	s_and_b32 s0, s1, s0
	s_delay_alu instid0(VALU_DEP_1) | instid1(SALU_CYCLE_1)
	s_or_b32 s0, s2, s0
	s_delay_alu instid0(SALU_CYCLE_1) | instskip(SKIP_1) | instid1(VALU_DEP_2)
	v_cndmask_b32_e64 v1, v1, v43, s0
	v_cndmask_b32_e64 v5, v5, v3, s0
	v_mov_b32_dpp v3, v1 quad_perm:[2,3,0,1] row_mask:0xf bank_mask:0xf
	s_delay_alu instid0(VALU_DEP_2) | instskip(NEXT) | instid1(VALU_DEP_2)
	v_mov_b32_dpp v43, v5 quad_perm:[2,3,0,1] row_mask:0xf bank_mask:0xf
	v_cmp_eq_f32_e64 s0, v1, v3
	s_delay_alu instid0(VALU_DEP_2) | instskip(SKIP_1) | instid1(VALU_DEP_2)
	v_cmp_lt_i32_e64 s1, v43, v5
	v_cmp_lt_f32_e64 s2, v1, v3
	s_and_b32 s0, s0, s1
	s_delay_alu instid0(VALU_DEP_1) | instid1(SALU_CYCLE_1)
	s_or_b32 s0, s2, s0
	s_delay_alu instid0(SALU_CYCLE_1)
	v_cndmask_b32_e64 v43, v5, v43, s0
	s_and_saveexec_b32 s2, vcc_lo
	s_cbranch_execz .LBB268_14
; %bb.13:                               ;   in Loop: Header=BB268_12 Depth=1
	v_cndmask_b32_e64 v1, v1, v3, s0
	s_delay_alu instid0(VALU_DEP_2) | instskip(SKIP_4) | instid1(VALU_DEP_4)
	v_cmp_le_i32_e64 s0, s5, v43
	v_cmp_gt_i32_e64 s1, s6, v43
	v_ashrrev_i32_e32 v5, 31, v4
	v_subrev_nc_u32_e32 v51, s5, v43
	v_sub_f32_e32 v50, v1, v41
	s_and_b32 s0, s0, s1
	s_delay_alu instid0(SALU_CYCLE_1) | instskip(NEXT) | instid1(VALU_DEP_1)
	s_and_b32 s0, s17, s0
	v_mul_f32_e32 v1, 0x3fb8aa3b, v50
	s_delay_alu instid0(VALU_DEP_1) | instskip(SKIP_1) | instid1(VALU_DEP_2)
	v_fma_f32 v3, 0x3fb8aa3b, v50, -v1
	v_rndne_f32_e32 v44, v1
	v_fmac_f32_e32 v3, 0x32a5705f, v50
	s_delay_alu instid0(VALU_DEP_2) | instskip(SKIP_2) | instid1(VALU_DEP_3)
	v_sub_f32_e32 v1, v1, v44
	v_cvt_i32_f32_e32 v49, v44
	v_lshlrev_b64 v[44:45], 2, v[4:5]
	v_add_f32_e32 v1, v1, v3
	v_ashrrev_i32_e32 v3, 31, v2
	s_delay_alu instid0(VALU_DEP_2) | instskip(SKIP_1) | instid1(VALU_DEP_2)
	v_exp_f32_e32 v48, v1
	v_ashrrev_i32_e32 v1, 31, v0
	v_lshlrev_b64 v[46:47], 2, v[2:3]
	s_waitcnt_depctr 0xfff
	v_ldexp_f32 v3, v48, v49
	v_lshlrev_b64 v[48:49], 2, v[0:1]
	v_cndmask_b32_e64 v1, 64, v51, s0
	v_cmp_ngt_f32_e64 s0, 0xc2ce8ed0, v50
	s_delay_alu instid0(VALU_DEP_1) | instskip(SKIP_1) | instid1(VALU_DEP_1)
	v_cndmask_b32_e64 v3, 0, v3, s0
	v_add_co_u32 v44, s0, s12, v44
	v_add_co_ci_u32_e64 v45, s0, s13, v45, s0
	v_cmp_nlt_f32_e64 s0, 0x42b17218, v50
	s_delay_alu instid0(VALU_DEP_1) | instskip(SKIP_2) | instid1(VALU_DEP_1)
	v_cndmask_b32_e64 v3, 0x7f800000, v3, s0
	s_waitcnt lgkmcnt(0)
	v_add_co_u32 v46, s0, s8, v46
	v_add_co_ci_u32_e64 v47, s0, s9, v47, s0
	s_delay_alu instid0(VALU_DEP_3) | instskip(SKIP_1) | instid1(VALU_DEP_1)
	v_add_f32_e32 v6, v6, v3
	v_add_co_u32 v48, s0, s10, v48
	v_add_co_ci_u32_e64 v49, s0, s11, v49, s0
	global_store_b32 v[44:45], v3, off
	global_store_b32 v[46:47], v1, off
	;; [unrolled: 1-line block ×3, first 2 shown]
.LBB268_14:                             ;   in Loop: Header=BB268_12 Depth=1
	s_or_b32 exec_lo, exec_lo, s2
	s_delay_alu instid0(VALU_DEP_1) | instskip(SKIP_1) | instid1(VALU_DEP_1)
	v_ashrrev_i32_e32 v3, 31, v43
	s_mov_b32 s1, exec_lo
	v_lshrrev_b32_e32 v1, 28, v3
	s_delay_alu instid0(VALU_DEP_1) | instskip(NEXT) | instid1(VALU_DEP_1)
	v_add_nc_u32_e32 v1, v43, v1
	v_ashrrev_i32_e32 v1, 4, v1
	s_delay_alu instid0(VALU_DEP_1) | instskip(NEXT) | instid1(VALU_DEP_1)
	v_lshrrev_b32_e32 v5, 30, v1
	v_add_nc_u32_e32 v5, v1, v5
	s_delay_alu instid0(VALU_DEP_1) | instskip(NEXT) | instid1(VALU_DEP_1)
	v_and_b32_e32 v5, -4, v5
	v_sub_nc_u32_e32 v5, v1, v5
	s_delay_alu instid0(VALU_DEP_1)
	v_cmpx_eq_u32_e64 v8, v5
	s_cbranch_execz .LBB268_11
; %bb.15:                               ;   in Loop: Header=BB268_12 Depth=1
	v_lshrrev_b32_e32 v3, 26, v3
	v_lshlrev_b32_e32 v1, 4, v1
	s_delay_alu instid0(VALU_DEP_2) | instskip(NEXT) | instid1(VALU_DEP_2)
	v_add_nc_u32_e32 v3, v43, v3
	v_sub_nc_u32_e32 v1, v43, v1
	s_delay_alu instid0(VALU_DEP_2) | instskip(NEXT) | instid1(VALU_DEP_1)
	v_ashrrev_i32_e32 v3, 6, v3
	v_lshl_add_u32 v1, v3, 4, v1
	s_delay_alu instid0(VALU_DEP_1) | instskip(NEXT) | instid1(VALU_DEP_1)
	v_cmp_ne_u32_e64 s0, 15, v1
	v_cndmask_b32_e64 v39, 0xff800000, v39, s0
	v_cmp_ne_u32_e64 s0, 14, v1
	s_delay_alu instid0(VALU_DEP_1) | instskip(SKIP_1) | instid1(VALU_DEP_1)
	v_cndmask_b32_e64 v37, 0xff800000, v37, s0
	v_cmp_ne_u32_e64 s0, 13, v1
	v_cndmask_b32_e64 v35, 0xff800000, v35, s0
	v_cmp_ne_u32_e64 s0, 12, v1
	s_delay_alu instid0(VALU_DEP_1) | instskip(SKIP_1) | instid1(VALU_DEP_1)
	v_cndmask_b32_e64 v33, 0xff800000, v33, s0
	;; [unrolled: 5-line block ×7, first 2 shown]
	v_cmp_ne_u32_e64 s0, 1, v1
	v_cndmask_b32_e64 v10, 0xff800000, v10, s0
	v_cmp_ne_u32_e64 s0, 0, v1
	s_delay_alu instid0(VALU_DEP_1)
	v_cndmask_b32_e64 v11, 0xff800000, v11, s0
	s_branch .LBB268_11
.LBB268_16:
	v_cmp_eq_u32_e32 vcc_lo, 0, v8
	v_cmp_neq_f32_e64 s0, 0, v6
	s_delay_alu instid0(VALU_DEP_1) | instskip(NEXT) | instid1(SALU_CYCLE_1)
	s_and_b32 s0, vcc_lo, s0
	s_and_b32 exec_lo, exec_lo, s0
	s_cbranch_execz .LBB268_20
; %bb.17:
	s_and_not1_b32 vcc_lo, exec_lo, s3
	s_cbranch_vccnz .LBB268_20
; %bb.18:
	v_div_scale_f32 v1, null, v6, v6, 1.0
	v_div_scale_f32 v3, vcc_lo, 1.0, v6, 1.0
	s_delay_alu instid0(VALU_DEP_2) | instskip(SKIP_2) | instid1(VALU_DEP_1)
	v_rcp_f32_e32 v2, v1
	s_waitcnt_depctr 0xfff
	v_fma_f32 v0, -v1, v2, 1.0
	v_fmac_f32_e32 v2, v0, v2
	v_mul_lo_u32 v0, v7, s7
	s_delay_alu instid0(VALU_DEP_2) | instskip(NEXT) | instid1(VALU_DEP_1)
	v_mul_f32_e32 v4, v3, v2
	v_fma_f32 v5, -v1, v4, v3
	s_delay_alu instid0(VALU_DEP_1) | instskip(NEXT) | instid1(VALU_DEP_1)
	v_fmac_f32_e32 v4, v5, v2
	v_fma_f32 v3, -v1, v4, v3
	v_ashrrev_i32_e32 v1, 31, v0
	s_delay_alu instid0(VALU_DEP_2) | instskip(NEXT) | instid1(VALU_DEP_2)
	v_div_fmas_f32 v2, v3, v2, v4
	v_lshlrev_b64 v[0:1], 2, v[0:1]
	s_delay_alu instid0(VALU_DEP_2) | instskip(NEXT) | instid1(VALU_DEP_2)
	v_div_fixup_f32 v2, v2, v6, 1.0
	v_add_co_u32 v0, vcc_lo, s12, v0
	s_delay_alu instid0(VALU_DEP_3)
	v_add_co_ci_u32_e32 v1, vcc_lo, s13, v1, vcc_lo
.LBB268_19:                             ; =>This Inner Loop Header: Depth=1
	global_load_b32 v3, v[0:1], off
	s_add_i32 s4, s4, -1
	s_delay_alu instid0(SALU_CYCLE_1)
	s_cmp_lg_u32 s4, 0
	s_waitcnt vmcnt(0)
	v_mul_f32_e32 v3, v2, v3
	global_store_b32 v[0:1], v3, off
	v_add_co_u32 v0, vcc_lo, v0, 4
	v_add_co_ci_u32_e32 v1, vcc_lo, 0, v1, vcc_lo
	s_cbranch_scc1 .LBB268_19
.LBB268_20:
	s_nop 0
	s_sendmsg sendmsg(MSG_DEALLOC_VGPRS)
	s_endpgm
	.section	.rodata,"a",@progbits
	.p2align	6, 0x0
	.amdhsa_kernel _ZN4vllm3moe17topkGatingSoftmaxItLi16ELi64ELi8ELi32ELb1ELi0ELNS0_23SharedExpertScoringFuncE0EEEvPKT_PKbPfiPiS9_iiiiii
		.amdhsa_group_segment_fixed_size 0
		.amdhsa_private_segment_fixed_size 0
		.amdhsa_kernarg_size 72
		.amdhsa_user_sgpr_count 15
		.amdhsa_user_sgpr_dispatch_ptr 0
		.amdhsa_user_sgpr_queue_ptr 0
		.amdhsa_user_sgpr_kernarg_segment_ptr 1
		.amdhsa_user_sgpr_dispatch_id 0
		.amdhsa_user_sgpr_private_segment_size 0
		.amdhsa_wavefront_size32 1
		.amdhsa_uses_dynamic_stack 0
		.amdhsa_enable_private_segment 0
		.amdhsa_system_sgpr_workgroup_id_x 1
		.amdhsa_system_sgpr_workgroup_id_y 0
		.amdhsa_system_sgpr_workgroup_id_z 0
		.amdhsa_system_sgpr_workgroup_info 0
		.amdhsa_system_vgpr_workitem_id 1
		.amdhsa_next_free_vgpr 53
		.amdhsa_next_free_sgpr 19
		.amdhsa_reserve_vcc 1
		.amdhsa_float_round_mode_32 0
		.amdhsa_float_round_mode_16_64 0
		.amdhsa_float_denorm_mode_32 3
		.amdhsa_float_denorm_mode_16_64 3
		.amdhsa_dx10_clamp 1
		.amdhsa_ieee_mode 1
		.amdhsa_fp16_overflow 0
		.amdhsa_workgroup_processor_mode 1
		.amdhsa_memory_ordered 1
		.amdhsa_forward_progress 0
		.amdhsa_shared_vgpr_count 0
		.amdhsa_exception_fp_ieee_invalid_op 0
		.amdhsa_exception_fp_denorm_src 0
		.amdhsa_exception_fp_ieee_div_zero 0
		.amdhsa_exception_fp_ieee_overflow 0
		.amdhsa_exception_fp_ieee_underflow 0
		.amdhsa_exception_fp_ieee_inexact 0
		.amdhsa_exception_int_div_zero 0
	.end_amdhsa_kernel
	.section	.text._ZN4vllm3moe17topkGatingSoftmaxItLi16ELi64ELi8ELi32ELb1ELi0ELNS0_23SharedExpertScoringFuncE0EEEvPKT_PKbPfiPiS9_iiiiii,"axG",@progbits,_ZN4vllm3moe17topkGatingSoftmaxItLi16ELi64ELi8ELi32ELb1ELi0ELNS0_23SharedExpertScoringFuncE0EEEvPKT_PKbPfiPiS9_iiiiii,comdat
.Lfunc_end268:
	.size	_ZN4vllm3moe17topkGatingSoftmaxItLi16ELi64ELi8ELi32ELb1ELi0ELNS0_23SharedExpertScoringFuncE0EEEvPKT_PKbPfiPiS9_iiiiii, .Lfunc_end268-_ZN4vllm3moe17topkGatingSoftmaxItLi16ELi64ELi8ELi32ELb1ELi0ELNS0_23SharedExpertScoringFuncE0EEEvPKT_PKbPfiPiS9_iiiiii
                                        ; -- End function
	.section	.AMDGPU.csdata,"",@progbits
; Kernel info:
; codeLenInByte = 3396
; NumSgprs: 21
; NumVgprs: 53
; ScratchSize: 0
; MemoryBound: 0
; FloatMode: 240
; IeeeMode: 1
; LDSByteSize: 0 bytes/workgroup (compile time only)
; SGPRBlocks: 2
; VGPRBlocks: 6
; NumSGPRsForWavesPerEU: 21
; NumVGPRsForWavesPerEU: 53
; Occupancy: 16
; WaveLimiterHint : 0
; COMPUTE_PGM_RSRC2:SCRATCH_EN: 0
; COMPUTE_PGM_RSRC2:USER_SGPR: 15
; COMPUTE_PGM_RSRC2:TRAP_HANDLER: 0
; COMPUTE_PGM_RSRC2:TGID_X_EN: 1
; COMPUTE_PGM_RSRC2:TGID_Y_EN: 0
; COMPUTE_PGM_RSRC2:TGID_Z_EN: 0
; COMPUTE_PGM_RSRC2:TIDIG_COMP_CNT: 1
	.section	.text._ZN4vllm3moe17topkGatingSoftmaxItLi16ELi64ELi8ELi32ELb0ELi0ELNS0_23SharedExpertScoringFuncE0EEEvPKT_PKbPfiPiS9_iiiiii,"axG",@progbits,_ZN4vllm3moe17topkGatingSoftmaxItLi16ELi64ELi8ELi32ELb0ELi0ELNS0_23SharedExpertScoringFuncE0EEEvPKT_PKbPfiPiS9_iiiiii,comdat
	.protected	_ZN4vllm3moe17topkGatingSoftmaxItLi16ELi64ELi8ELi32ELb0ELi0ELNS0_23SharedExpertScoringFuncE0EEEvPKT_PKbPfiPiS9_iiiiii ; -- Begin function _ZN4vllm3moe17topkGatingSoftmaxItLi16ELi64ELi8ELi32ELb0ELi0ELNS0_23SharedExpertScoringFuncE0EEEvPKT_PKbPfiPiS9_iiiiii
	.globl	_ZN4vllm3moe17topkGatingSoftmaxItLi16ELi64ELi8ELi32ELb0ELi0ELNS0_23SharedExpertScoringFuncE0EEEvPKT_PKbPfiPiS9_iiiiii
	.p2align	8
	.type	_ZN4vllm3moe17topkGatingSoftmaxItLi16ELi64ELi8ELi32ELb0ELi0ELNS0_23SharedExpertScoringFuncE0EEEvPKT_PKbPfiPiS9_iiiiii,@function
_ZN4vllm3moe17topkGatingSoftmaxItLi16ELi64ELi8ELi32ELb0ELi0ELNS0_23SharedExpertScoringFuncE0EEEvPKT_PKbPfiPiS9_iiiiii: ; @_ZN4vllm3moe17topkGatingSoftmaxItLi16ELi64ELi8ELi32ELb0ELi0ELNS0_23SharedExpertScoringFuncE0EEEvPKT_PKbPfiPiS9_iiiiii
; %bb.0:
	s_load_b32 s16, s[0:1], 0x18
	v_bfe_u32 v1, v0, 10, 10
	v_and_b32_e32 v0, 0x3ff, v0
	s_lshl_b32 s18, s15, 6
	s_mov_b32 s2, exec_lo
	s_delay_alu instid0(VALU_DEP_2) | instskip(NEXT) | instid1(VALU_DEP_2)
	v_lshlrev_b32_e32 v42, 3, v1
	v_lshrrev_b32_e32 v43, 2, v0
	s_delay_alu instid0(VALU_DEP_1) | instskip(SKIP_1) | instid1(VALU_DEP_1)
	v_add3_u32 v7, s18, v42, v43
	s_waitcnt lgkmcnt(0)
	v_cmpx_gt_i32_e64 s16, v7
	s_cbranch_execz .LBB269_21
; %bb.1:
	s_clause 0x1
	s_load_b128 s[4:7], s[0:1], 0x0
	s_load_b64 s[12:13], s[0:1], 0x10
	s_waitcnt lgkmcnt(0)
	s_cmp_eq_u64 s[6:7], 0
	s_cbranch_scc1 .LBB269_3
; %bb.2:
	v_ashrrev_i32_e32 v2, 31, v7
	v_add_co_u32 v1, vcc_lo, s6, v7
	s_delay_alu instid0(VALU_DEP_2) | instskip(SKIP_3) | instid1(VALU_DEP_1)
	v_add_co_ci_u32_e32 v2, vcc_lo, s7, v2, vcc_lo
	global_load_u8 v1, v[1:2], off
	s_waitcnt vmcnt(0)
	v_and_b32_e32 v1, 1, v1
	v_cmp_eq_u32_e32 vcc_lo, 1, v1
	s_xor_b32 s2, vcc_lo, -1
	s_delay_alu instid0(SALU_CYCLE_1)
	s_or_not1_b32 s17, s2, exec_lo
	s_branch .LBB269_4
.LBB269_3:
	s_mov_b32 s17, -1
.LBB269_4:
	s_load_b64 s[14:15], s[0:1], 0x40
	v_and_b32_e32 v8, 3, v0
	v_mov_b32_e32 v6, 0
	s_delay_alu instid0(VALU_DEP_2) | instskip(NEXT) | instid1(VALU_DEP_1)
	v_lshlrev_b32_e32 v26, 4, v8
	v_or_b32_e32 v27, 1, v26
	v_or_b32_e32 v28, 2, v26
	v_or_b32_e32 v29, 3, v26
	v_or_b32_e32 v30, 4, v26
	v_or_b32_e32 v31, 5, v26
	v_or_b32_e32 v32, 6, v26
	s_waitcnt lgkmcnt(0)
	v_mul_lo_u32 v1, v7, s15
	s_delay_alu instid0(VALU_DEP_1) | instskip(NEXT) | instid1(VALU_DEP_1)
	v_ashrrev_i32_e32 v2, 31, v1
	v_lshlrev_b64 v[0:1], 1, v[1:2]
	v_lshlrev_b32_e32 v2, 5, v8
	s_delay_alu instid0(VALU_DEP_2) | instskip(NEXT) | instid1(VALU_DEP_3)
	v_add_co_u32 v0, vcc_lo, s4, v0
	v_add_co_ci_u32_e32 v1, vcc_lo, s5, v1, vcc_lo
	s_load_b128 s[4:7], s[0:1], 0x30
	s_delay_alu instid0(VALU_DEP_2) | instskip(NEXT) | instid1(VALU_DEP_2)
	v_add_co_u32 v4, vcc_lo, v0, v2
	v_add_co_ci_u32_e32 v5, vcc_lo, 0, v1, vcc_lo
	s_clause 0x1
	global_load_b128 v[0:3], v[4:5], off
	global_load_b128 v[9:12], v[4:5], off offset:16
	s_waitcnt vmcnt(1)
	v_lshrrev_b32_e32 v4, 16, v0
	v_and_b32_e32 v0, 0xffff, v0
	s_delay_alu instid0(VALU_DEP_2) | instskip(NEXT) | instid1(VALU_DEP_2)
	v_cvt_f32_u32_e32 v21, v4
	v_cvt_f32_u32_e32 v23, v0
	v_and_b32_e32 v0, 0xffff, v1
	v_lshrrev_b32_e32 v1, 16, v1
	s_delay_alu instid0(VALU_DEP_3) | instskip(NEXT) | instid1(VALU_DEP_3)
	v_cmp_lt_f32_e32 vcc_lo, v23, v21
	v_cvt_f32_u32_e32 v25, v0
	s_delay_alu instid0(VALU_DEP_3) | instskip(SKIP_2) | instid1(VALU_DEP_2)
	v_cvt_f32_u32_e32 v24, v1
	v_cndmask_b32_e32 v4, v23, v21, vcc_lo
	v_cndmask_b32_e32 v0, v26, v27, vcc_lo
	v_cmp_lt_f32_e32 vcc_lo, v4, v25
	v_dual_cndmask_b32 v1, v4, v25 :: v_dual_and_b32 v4, 0xffff, v2
	v_lshrrev_b32_e32 v2, 16, v2
	s_delay_alu instid0(VALU_DEP_2) | instskip(NEXT) | instid1(VALU_DEP_2)
	v_cvt_f32_u32_e32 v22, v4
	v_cvt_f32_u32_e32 v20, v2
	v_and_b32_e32 v2, 0xffff, v3
	s_delay_alu instid0(VALU_DEP_1) | instskip(SKIP_1) | instid1(VALU_DEP_1)
	v_cvt_f32_u32_e32 v19, v2
	v_lshrrev_b32_e32 v2, 16, v3
	v_cvt_f32_u32_e32 v18, v2
	s_waitcnt vmcnt(0)
	v_and_b32_e32 v2, 0xffff, v9
	s_delay_alu instid0(VALU_DEP_1) | instskip(SKIP_3) | instid1(VALU_DEP_3)
	v_cvt_f32_u32_e32 v17, v2
	v_lshrrev_b32_e32 v2, 16, v9
	v_cndmask_b32_e32 v0, v0, v28, vcc_lo
	v_cmp_lt_f32_e32 vcc_lo, v1, v24
	v_cvt_f32_u32_e32 v16, v2
	v_dual_cndmask_b32 v1, v1, v24 :: v_dual_and_b32 v2, 0xffff, v10
	s_delay_alu instid0(VALU_DEP_1) | instskip(SKIP_1) | instid1(VALU_DEP_1)
	v_cvt_f32_u32_e32 v15, v2
	v_lshrrev_b32_e32 v2, 16, v10
	v_cvt_f32_u32_e32 v14, v2
	v_cndmask_b32_e32 v0, v0, v29, vcc_lo
	v_cmp_lt_f32_e32 vcc_lo, v1, v22
	v_dual_cndmask_b32 v1, v1, v22 :: v_dual_and_b32 v2, 0xffff, v11
	s_delay_alu instid0(VALU_DEP_1) | instskip(SKIP_2) | instid1(VALU_DEP_4)
	v_cvt_f32_u32_e32 v13, v2
	v_lshrrev_b32_e32 v2, 16, v11
	v_cndmask_b32_e32 v0, v0, v30, vcc_lo
	v_cmp_lt_f32_e32 vcc_lo, v1, v20
	s_delay_alu instid0(VALU_DEP_3) | instskip(SKIP_2) | instid1(VALU_DEP_2)
	v_cvt_f32_u32_e32 v11, v2
	v_and_b32_e32 v2, 0xffff, v12
	v_cndmask_b32_e32 v1, v1, v20, vcc_lo
	v_cvt_f32_u32_e32 v10, v2
	v_lshrrev_b32_e32 v2, 16, v12
	s_delay_alu instid0(VALU_DEP_1) | instskip(SKIP_2) | instid1(VALU_DEP_2)
	v_cvt_f32_u32_e32 v9, v2
	v_cndmask_b32_e32 v0, v0, v31, vcc_lo
	v_cmp_lt_f32_e32 vcc_lo, v1, v19
	v_dual_cndmask_b32 v1, v1, v19 :: v_dual_cndmask_b32 v0, v0, v32
	s_delay_alu instid0(VALU_DEP_1)
	v_cmp_lt_f32_e32 vcc_lo, v1, v18
	v_cndmask_b32_e32 v1, v1, v18, vcc_lo
	v_or_b32_e32 v33, 7, v26
	v_or_b32_e32 v34, 8, v26
	;; [unrolled: 1-line block ×5, first 2 shown]
	v_cndmask_b32_e32 v0, v0, v33, vcc_lo
	v_cmp_lt_f32_e32 vcc_lo, v1, v17
	v_or_b32_e32 v38, 12, v26
	v_or_b32_e32 v39, 13, v26
	;; [unrolled: 1-line block ×4, first 2 shown]
	v_dual_cndmask_b32 v1, v1, v17 :: v_dual_cndmask_b32 v0, v0, v34
	s_delay_alu instid0(VALU_DEP_1) | instskip(NEXT) | instid1(VALU_DEP_2)
	v_cmp_lt_f32_e32 vcc_lo, v1, v16
	v_dual_cndmask_b32 v1, v1, v16 :: v_dual_cndmask_b32 v0, v0, v35
	s_delay_alu instid0(VALU_DEP_1) | instskip(NEXT) | instid1(VALU_DEP_2)
	v_cmp_lt_f32_e32 vcc_lo, v1, v15
	;; [unrolled: 3-line block ×4, first 2 shown]
	v_dual_cndmask_b32 v1, v1, v13 :: v_dual_cndmask_b32 v0, v0, v38
	s_delay_alu instid0(VALU_DEP_1) | instskip(SKIP_1) | instid1(VALU_DEP_3)
	v_cmp_lt_f32_e32 vcc_lo, v1, v11
	v_cndmask_b32_e32 v1, v1, v11, vcc_lo
	v_cndmask_b32_e32 v0, v0, v39, vcc_lo
	s_delay_alu instid0(VALU_DEP_2) | instskip(NEXT) | instid1(VALU_DEP_2)
	v_cmp_lt_f32_e32 vcc_lo, v1, v10
	v_dual_cndmask_b32 v1, v1, v10 :: v_dual_cndmask_b32 v0, v0, v40
	s_delay_alu instid0(VALU_DEP_1) | instskip(NEXT) | instid1(VALU_DEP_2)
	v_cmp_lt_f32_e32 vcc_lo, v1, v9
	v_cndmask_b32_e32 v0, v0, v41, vcc_lo
	v_cndmask_b32_e32 v1, v1, v9, vcc_lo
	s_delay_alu instid0(VALU_DEP_2) | instskip(NEXT) | instid1(VALU_DEP_2)
	v_mov_b32_dpp v2, v0 quad_perm:[1,0,3,2] row_mask:0xf bank_mask:0xf
	v_mov_b32_dpp v3, v1 quad_perm:[1,0,3,2] row_mask:0xf bank_mask:0xf
	s_delay_alu instid0(VALU_DEP_2) | instskip(NEXT) | instid1(VALU_DEP_2)
	v_cmp_lt_i32_e32 vcc_lo, v2, v0
	v_cmp_eq_f32_e64 s2, v1, v3
	v_cmp_lt_f32_e64 s3, v1, v3
	s_delay_alu instid0(VALU_DEP_2)
	s_and_b32 s2, s2, vcc_lo
	s_delay_alu instid0(VALU_DEP_1) | instid1(SALU_CYCLE_1)
	s_or_b32 vcc_lo, s3, s2
	v_dual_cndmask_b32 v1, v1, v3 :: v_dual_cndmask_b32 v0, v0, v2
	s_delay_alu instid0(VALU_DEP_1) | instskip(NEXT) | instid1(VALU_DEP_2)
	v_mov_b32_dpp v3, v1 quad_perm:[2,3,0,1] row_mask:0xf bank_mask:0xf
	v_mov_b32_dpp v2, v0 quad_perm:[2,3,0,1] row_mask:0xf bank_mask:0xf
	s_delay_alu instid0(VALU_DEP_2) | instskip(NEXT) | instid1(VALU_DEP_2)
	v_cmp_eq_f32_e32 vcc_lo, v1, v3
	v_cmp_lt_i32_e64 s2, v2, v0
	v_cmp_lt_f32_e64 s3, v1, v3
	s_delay_alu instid0(VALU_DEP_2) | instskip(SKIP_1) | instid1(VALU_DEP_2)
	s_and_b32 s2, vcc_lo, s2
	v_cmp_eq_u32_e32 vcc_lo, 0, v8
	s_or_b32 s2, s3, s2
	s_waitcnt lgkmcnt(0)
	s_cmp_gt_i32 s4, 0
	v_cndmask_b32_e64 v12, v1, v3, s2
	s_cselect_b32 s3, -1, 0
	s_cmp_lt_i32 s4, 1
	s_cbranch_scc1 .LBB269_16
; %bb.5:
	s_load_b128 s[8:11], s[0:1], 0x20
	v_mul_lo_u32 v1, v7, s7
	v_mul_lo_u32 v3, v7, s14
	;; [unrolled: 1-line block ×3, first 2 shown]
	v_cndmask_b32_e64 v0, v0, v2, s2
	v_mov_b32_e32 v6, 0
	s_and_saveexec_b32 s2, vcc_lo
	s_cbranch_execz .LBB269_7
; %bb.6:
	v_sub_f32_e32 v50, v12, v12
	v_cmp_le_i32_e64 s0, s5, v0
	v_cmp_gt_i32_e64 s1, s6, v0
	v_subrev_nc_u32_e32 v51, s5, v0
	v_ashrrev_i32_e32 v6, 31, v5
	v_mul_f32_e32 v2, 0x3fb8aa3b, v50
	s_delay_alu instid0(VALU_DEP_4) | instskip(NEXT) | instid1(SALU_CYCLE_1)
	s_and_b32 s0, s0, s1
	s_and_b32 s0, s17, s0
	s_delay_alu instid0(VALU_DEP_1) | instskip(SKIP_2) | instid1(VALU_DEP_3)
	v_rndne_f32_e32 v46, v2
	v_fma_f32 v4, 0x3fb8aa3b, v50, -v2
	v_lshlrev_b64 v[48:49], 2, v[5:6]
	v_sub_f32_e32 v2, v2, v46
	s_delay_alu instid0(VALU_DEP_3) | instskip(NEXT) | instid1(VALU_DEP_1)
	v_fmamk_f32 v4, v50, 0x32a5705f, v4
	v_add_f32_e32 v4, v2, v4
	v_ashrrev_i32_e32 v2, 31, v1
	s_delay_alu instid0(VALU_DEP_2) | instskip(NEXT) | instid1(VALU_DEP_1)
	v_exp_f32_e32 v52, v4
	v_lshlrev_b64 v[44:45], 2, v[1:2]
	v_ashrrev_i32_e32 v4, 31, v3
	v_cvt_i32_f32_e32 v2, v46
	s_delay_alu instid0(VALU_DEP_2) | instskip(SKIP_2) | instid1(VALU_DEP_1)
	v_lshlrev_b64 v[46:47], 2, v[3:4]
	v_cndmask_b32_e64 v4, 64, v51, s0
	v_add_co_u32 v44, s0, s12, v44
	v_add_co_ci_u32_e64 v45, s0, s13, v45, s0
	s_delay_alu instid0(TRANS32_DEP_1) | instskip(SKIP_1) | instid1(VALU_DEP_1)
	v_ldexp_f32 v2, v52, v2
	v_cmp_ngt_f32_e64 s0, 0xc2ce8ed0, v50
	v_cndmask_b32_e64 v2, 0, v2, s0
	s_waitcnt lgkmcnt(0)
	v_add_co_u32 v46, s0, s8, v46
	s_delay_alu instid0(VALU_DEP_1) | instskip(SKIP_1) | instid1(VALU_DEP_1)
	v_add_co_ci_u32_e64 v47, s0, s9, v47, s0
	v_cmp_nlt_f32_e64 s0, 0x42b17218, v50
	v_cndmask_b32_e64 v6, 0x7f800000, v2, s0
	v_add_co_u32 v48, s0, s10, v48
	s_delay_alu instid0(VALU_DEP_1)
	v_add_co_ci_u32_e64 v49, s0, s11, v49, s0
	global_store_b32 v[46:47], v4, off
	global_store_b32 v[44:45], v6, off
	global_store_b32 v[48:49], v7, off
.LBB269_7:
	s_or_b32 exec_lo, exec_lo, s2
	v_ashrrev_i32_e32 v4, 31, v0
	s_mov_b32 s1, exec_lo
	s_delay_alu instid0(VALU_DEP_1) | instskip(NEXT) | instid1(VALU_DEP_1)
	v_lshrrev_b32_e32 v2, 28, v4
	v_add_nc_u32_e32 v2, v0, v2
	s_delay_alu instid0(VALU_DEP_1) | instskip(NEXT) | instid1(VALU_DEP_1)
	v_ashrrev_i32_e32 v2, 4, v2
	v_lshrrev_b32_e32 v44, 30, v2
	s_delay_alu instid0(VALU_DEP_1) | instskip(NEXT) | instid1(VALU_DEP_1)
	v_add_nc_u32_e32 v44, v2, v44
	v_and_b32_e32 v44, -4, v44
	s_delay_alu instid0(VALU_DEP_1) | instskip(NEXT) | instid1(VALU_DEP_1)
	v_sub_nc_u32_e32 v44, v2, v44
	v_cmpx_eq_u32_e64 v8, v44
	s_cbranch_execz .LBB269_9
; %bb.8:
	v_lshrrev_b32_e32 v4, 26, v4
	v_lshlrev_b32_e32 v2, 4, v2
	s_delay_alu instid0(VALU_DEP_2) | instskip(NEXT) | instid1(VALU_DEP_2)
	v_add_nc_u32_e32 v4, v0, v4
	v_sub_nc_u32_e32 v0, v0, v2
	s_delay_alu instid0(VALU_DEP_2) | instskip(NEXT) | instid1(VALU_DEP_1)
	v_ashrrev_i32_e32 v2, 6, v4
	v_lshl_add_u32 v0, v2, 4, v0
	s_delay_alu instid0(VALU_DEP_1) | instskip(NEXT) | instid1(VALU_DEP_1)
	v_cmp_ne_u32_e64 s0, 15, v0
	v_cndmask_b32_e64 v9, 0xff800000, v9, s0
	v_cmp_ne_u32_e64 s0, 14, v0
	s_delay_alu instid0(VALU_DEP_1) | instskip(SKIP_1) | instid1(VALU_DEP_1)
	v_cndmask_b32_e64 v10, 0xff800000, v10, s0
	v_cmp_ne_u32_e64 s0, 13, v0
	v_cndmask_b32_e64 v11, 0xff800000, v11, s0
	v_cmp_ne_u32_e64 s0, 12, v0
	s_delay_alu instid0(VALU_DEP_1) | instskip(SKIP_1) | instid1(VALU_DEP_1)
	v_cndmask_b32_e64 v13, 0xff800000, v13, s0
	;; [unrolled: 5-line block ×7, first 2 shown]
	v_cmp_ne_u32_e64 s0, 1, v0
	v_cndmask_b32_e64 v21, 0xff800000, v21, s0
	v_cmp_ne_u32_e64 s0, 0, v0
	s_delay_alu instid0(VALU_DEP_1)
	v_cndmask_b32_e64 v23, 0xff800000, v23, s0
.LBB269_9:
	s_or_b32 exec_lo, exec_lo, s1
	s_cmp_eq_u32 s4, 1
	s_cbranch_scc1 .LBB269_16
; %bb.10:
	s_add_i32 s18, s18, s16
	v_add_nc_u32_e32 v0, 1, v5
	v_add3_u32 v42, s18, v43, v42
	v_add_nc_u32_e32 v2, 1, v3
	v_add_nc_u32_e32 v4, 1, v1
	s_add_i32 s14, s4, -1
	s_branch .LBB269_12
.LBB269_11:                             ;   in Loop: Header=BB269_12 Depth=1
	s_or_b32 exec_lo, exec_lo, s1
	v_add_nc_u32_e32 v42, s16, v42
	v_add_nc_u32_e32 v0, 1, v0
	;; [unrolled: 1-line block ×4, first 2 shown]
	s_add_i32 s14, s14, -1
	s_delay_alu instid0(SALU_CYCLE_1)
	s_cmp_eq_u32 s14, 0
	s_cbranch_scc1 .LBB269_16
.LBB269_12:                             ; =>This Inner Loop Header: Depth=1
	v_cmp_gt_f32_e64 s0, v21, v23
	s_delay_alu instid0(VALU_DEP_1) | instskip(SKIP_1) | instid1(VALU_DEP_2)
	v_cndmask_b32_e64 v3, v23, v21, s0
	v_cndmask_b32_e64 v1, v26, v27, s0
	v_cmp_gt_f32_e64 s0, v25, v3
	s_delay_alu instid0(VALU_DEP_1) | instskip(NEXT) | instid1(VALU_DEP_3)
	v_cndmask_b32_e64 v3, v3, v25, s0
	v_cndmask_b32_e64 v1, v1, v28, s0
	s_delay_alu instid0(VALU_DEP_2) | instskip(NEXT) | instid1(VALU_DEP_1)
	v_cmp_gt_f32_e64 s0, v24, v3
	v_cndmask_b32_e64 v3, v3, v24, s0
	s_delay_alu instid0(VALU_DEP_3) | instskip(NEXT) | instid1(VALU_DEP_2)
	v_cndmask_b32_e64 v1, v1, v29, s0
	v_cmp_gt_f32_e64 s0, v22, v3
	s_delay_alu instid0(VALU_DEP_1) | instskip(NEXT) | instid1(VALU_DEP_3)
	v_cndmask_b32_e64 v3, v3, v22, s0
	v_cndmask_b32_e64 v1, v1, v30, s0
	s_delay_alu instid0(VALU_DEP_2) | instskip(NEXT) | instid1(VALU_DEP_1)
	v_cmp_gt_f32_e64 s0, v20, v3
	v_cndmask_b32_e64 v3, v3, v20, s0
	s_delay_alu instid0(VALU_DEP_3) | instskip(NEXT) | instid1(VALU_DEP_2)
	;; [unrolled: 9-line block ×6, first 2 shown]
	v_cndmask_b32_e64 v1, v1, v39, s0
	v_cmp_gt_f32_e64 s0, v10, v3
	s_delay_alu instid0(VALU_DEP_1) | instskip(NEXT) | instid1(VALU_DEP_3)
	v_cndmask_b32_e64 v3, v3, v10, s0
	v_cndmask_b32_e64 v1, v1, v40, s0
	s_delay_alu instid0(VALU_DEP_2) | instskip(NEXT) | instid1(VALU_DEP_1)
	v_cmp_gt_f32_e64 s0, v9, v3
	v_cndmask_b32_e64 v5, v1, v41, s0
	v_cndmask_b32_e64 v1, v3, v9, s0
	s_delay_alu instid0(VALU_DEP_2) | instskip(NEXT) | instid1(VALU_DEP_2)
	v_mov_b32_dpp v3, v5 quad_perm:[1,0,3,2] row_mask:0xf bank_mask:0xf
	v_mov_b32_dpp v43, v1 quad_perm:[1,0,3,2] row_mask:0xf bank_mask:0xf
	s_delay_alu instid0(VALU_DEP_2) | instskip(NEXT) | instid1(VALU_DEP_2)
	v_cmp_lt_i32_e64 s0, v3, v5
	v_cmp_eq_f32_e64 s1, v1, v43
	v_cmp_lt_f32_e64 s2, v1, v43
	s_delay_alu instid0(VALU_DEP_2)
	s_and_b32 s0, s1, s0
	s_delay_alu instid0(VALU_DEP_1) | instid1(SALU_CYCLE_1)
	s_or_b32 s0, s2, s0
	s_delay_alu instid0(SALU_CYCLE_1) | instskip(SKIP_1) | instid1(VALU_DEP_2)
	v_cndmask_b32_e64 v1, v1, v43, s0
	v_cndmask_b32_e64 v5, v5, v3, s0
	v_mov_b32_dpp v3, v1 quad_perm:[2,3,0,1] row_mask:0xf bank_mask:0xf
	s_delay_alu instid0(VALU_DEP_2) | instskip(NEXT) | instid1(VALU_DEP_2)
	v_mov_b32_dpp v43, v5 quad_perm:[2,3,0,1] row_mask:0xf bank_mask:0xf
	v_cmp_eq_f32_e64 s0, v1, v3
	s_delay_alu instid0(VALU_DEP_2) | instskip(SKIP_1) | instid1(VALU_DEP_2)
	v_cmp_lt_i32_e64 s1, v43, v5
	v_cmp_lt_f32_e64 s2, v1, v3
	s_and_b32 s0, s0, s1
	s_delay_alu instid0(VALU_DEP_1) | instid1(SALU_CYCLE_1)
	s_or_b32 s0, s2, s0
	s_delay_alu instid0(SALU_CYCLE_1)
	v_cndmask_b32_e64 v43, v5, v43, s0
	s_and_saveexec_b32 s2, vcc_lo
	s_cbranch_execz .LBB269_14
; %bb.13:                               ;   in Loop: Header=BB269_12 Depth=1
	v_cndmask_b32_e64 v1, v1, v3, s0
	s_delay_alu instid0(VALU_DEP_2) | instskip(SKIP_4) | instid1(VALU_DEP_4)
	v_cmp_le_i32_e64 s0, s5, v43
	v_cmp_gt_i32_e64 s1, s6, v43
	v_ashrrev_i32_e32 v5, 31, v4
	v_subrev_nc_u32_e32 v51, s5, v43
	v_sub_f32_e32 v50, v1, v12
	s_and_b32 s0, s0, s1
	s_delay_alu instid0(SALU_CYCLE_1) | instskip(NEXT) | instid1(VALU_DEP_1)
	s_and_b32 s0, s17, s0
	v_mul_f32_e32 v1, 0x3fb8aa3b, v50
	s_delay_alu instid0(VALU_DEP_1) | instskip(SKIP_1) | instid1(VALU_DEP_2)
	v_fma_f32 v3, 0x3fb8aa3b, v50, -v1
	v_rndne_f32_e32 v44, v1
	v_fmac_f32_e32 v3, 0x32a5705f, v50
	s_delay_alu instid0(VALU_DEP_2) | instskip(SKIP_2) | instid1(VALU_DEP_3)
	v_sub_f32_e32 v1, v1, v44
	v_cvt_i32_f32_e32 v49, v44
	v_lshlrev_b64 v[44:45], 2, v[4:5]
	v_add_f32_e32 v1, v1, v3
	v_ashrrev_i32_e32 v3, 31, v2
	s_delay_alu instid0(VALU_DEP_2) | instskip(SKIP_1) | instid1(VALU_DEP_2)
	v_exp_f32_e32 v48, v1
	v_ashrrev_i32_e32 v1, 31, v0
	v_lshlrev_b64 v[46:47], 2, v[2:3]
	s_waitcnt_depctr 0xfff
	v_ldexp_f32 v3, v48, v49
	v_lshlrev_b64 v[48:49], 2, v[0:1]
	v_cndmask_b32_e64 v1, 64, v51, s0
	v_cmp_ngt_f32_e64 s0, 0xc2ce8ed0, v50
	s_delay_alu instid0(VALU_DEP_1) | instskip(SKIP_1) | instid1(VALU_DEP_1)
	v_cndmask_b32_e64 v3, 0, v3, s0
	v_add_co_u32 v44, s0, s12, v44
	v_add_co_ci_u32_e64 v45, s0, s13, v45, s0
	v_cmp_nlt_f32_e64 s0, 0x42b17218, v50
	s_delay_alu instid0(VALU_DEP_1) | instskip(SKIP_2) | instid1(VALU_DEP_1)
	v_cndmask_b32_e64 v3, 0x7f800000, v3, s0
	s_waitcnt lgkmcnt(0)
	v_add_co_u32 v46, s0, s8, v46
	v_add_co_ci_u32_e64 v47, s0, s9, v47, s0
	s_delay_alu instid0(VALU_DEP_3) | instskip(SKIP_1) | instid1(VALU_DEP_1)
	v_add_f32_e32 v6, v6, v3
	v_add_co_u32 v48, s0, s10, v48
	v_add_co_ci_u32_e64 v49, s0, s11, v49, s0
	global_store_b32 v[44:45], v3, off
	global_store_b32 v[46:47], v1, off
	;; [unrolled: 1-line block ×3, first 2 shown]
.LBB269_14:                             ;   in Loop: Header=BB269_12 Depth=1
	s_or_b32 exec_lo, exec_lo, s2
	s_delay_alu instid0(VALU_DEP_1) | instskip(SKIP_1) | instid1(VALU_DEP_1)
	v_ashrrev_i32_e32 v3, 31, v43
	s_mov_b32 s1, exec_lo
	v_lshrrev_b32_e32 v1, 28, v3
	s_delay_alu instid0(VALU_DEP_1) | instskip(NEXT) | instid1(VALU_DEP_1)
	v_add_nc_u32_e32 v1, v43, v1
	v_ashrrev_i32_e32 v1, 4, v1
	s_delay_alu instid0(VALU_DEP_1) | instskip(NEXT) | instid1(VALU_DEP_1)
	v_lshrrev_b32_e32 v5, 30, v1
	v_add_nc_u32_e32 v5, v1, v5
	s_delay_alu instid0(VALU_DEP_1) | instskip(NEXT) | instid1(VALU_DEP_1)
	v_and_b32_e32 v5, -4, v5
	v_sub_nc_u32_e32 v5, v1, v5
	s_delay_alu instid0(VALU_DEP_1)
	v_cmpx_eq_u32_e64 v8, v5
	s_cbranch_execz .LBB269_11
; %bb.15:                               ;   in Loop: Header=BB269_12 Depth=1
	v_lshrrev_b32_e32 v3, 26, v3
	v_lshlrev_b32_e32 v1, 4, v1
	s_delay_alu instid0(VALU_DEP_2) | instskip(NEXT) | instid1(VALU_DEP_2)
	v_add_nc_u32_e32 v3, v43, v3
	v_sub_nc_u32_e32 v1, v43, v1
	s_delay_alu instid0(VALU_DEP_2) | instskip(NEXT) | instid1(VALU_DEP_1)
	v_ashrrev_i32_e32 v3, 6, v3
	v_lshl_add_u32 v1, v3, 4, v1
	s_delay_alu instid0(VALU_DEP_1) | instskip(NEXT) | instid1(VALU_DEP_1)
	v_cmp_ne_u32_e64 s0, 15, v1
	v_cndmask_b32_e64 v9, 0xff800000, v9, s0
	v_cmp_ne_u32_e64 s0, 14, v1
	s_delay_alu instid0(VALU_DEP_1) | instskip(SKIP_1) | instid1(VALU_DEP_1)
	v_cndmask_b32_e64 v10, 0xff800000, v10, s0
	v_cmp_ne_u32_e64 s0, 13, v1
	v_cndmask_b32_e64 v11, 0xff800000, v11, s0
	v_cmp_ne_u32_e64 s0, 12, v1
	s_delay_alu instid0(VALU_DEP_1) | instskip(SKIP_1) | instid1(VALU_DEP_1)
	v_cndmask_b32_e64 v13, 0xff800000, v13, s0
	;; [unrolled: 5-line block ×7, first 2 shown]
	v_cmp_ne_u32_e64 s0, 1, v1
	v_cndmask_b32_e64 v21, 0xff800000, v21, s0
	v_cmp_ne_u32_e64 s0, 0, v1
	s_delay_alu instid0(VALU_DEP_1)
	v_cndmask_b32_e64 v23, 0xff800000, v23, s0
	s_branch .LBB269_11
.LBB269_16:
	s_delay_alu instid0(VALU_DEP_1) | instskip(SKIP_3) | instid1(VALU_DEP_4)
	v_sub_f32_e32 v5, v24, v12
	v_sub_f32_e32 v0, v23, v12
	;; [unrolled: 1-line block ×4, first 2 shown]
	v_dual_sub_f32 v18, v18, v12 :: v_dual_mul_f32 v27, 0x3fb8aa3b, v5
	s_delay_alu instid0(VALU_DEP_4) | instskip(NEXT) | instid1(VALU_DEP_4)
	v_cmp_ngt_f32_e32 vcc_lo, 0xc2ce8ed0, v0
	v_mul_f32_e32 v26, 0x3fb8aa3b, v3
	s_delay_alu instid0(VALU_DEP_4)
	v_mul_f32_e32 v4, 0x3fb8aa3b, v1
	v_sub_f32_e32 v20, v20, v12
	v_rndne_f32_e32 v30, v27
	v_mul_f32_e32 v2, 0x3fb8aa3b, v0
	v_sub_f32_e32 v10, v10, v12
	v_fma_f32 v24, 0x3fb8aa3b, v1, -v4
	v_sub_f32_e32 v21, v22, v12
	v_rndne_f32_e32 v25, v4
	v_fma_f32 v22, 0x3fb8aa3b, v0, -v2
	v_rndne_f32_e32 v23, v2
	v_dual_fmac_f32 v24, 0x32a5705f, v1 :: v_dual_sub_f32 v19, v19, v12
	s_delay_alu instid0(VALU_DEP_4) | instskip(SKIP_1) | instid1(VALU_DEP_4)
	v_sub_f32_e32 v4, v4, v25
	v_cvt_i32_f32_e32 v25, v25
	v_sub_f32_e32 v2, v2, v23
	v_fma_f32 v29, 0x3fb8aa3b, v5, -v27
	v_fmac_f32_e32 v22, 0x32a5705f, v0
	v_add_f32_e32 v4, v4, v24
	v_cvt_i32_f32_e32 v23, v23
	v_rndne_f32_e32 v24, v26
	s_delay_alu instid0(VALU_DEP_4) | instskip(NEXT) | instid1(VALU_DEP_4)
	v_dual_fmac_f32 v29, 0x32a5705f, v5 :: v_dual_add_f32 v2, v2, v22
	v_exp_f32_e32 v4, v4
	v_fma_f32 v22, 0x3fb8aa3b, v3, -v26
	s_delay_alu instid0(VALU_DEP_3) | instskip(SKIP_2) | instid1(VALU_DEP_3)
	v_sub_f32_e32 v26, v26, v24
	v_cvt_i32_f32_e32 v24, v24
	v_exp_f32_e32 v2, v2
	v_dual_sub_f32 v15, v15, v12 :: v_dual_fmac_f32 v22, 0x32a5705f, v3
	v_sub_f32_e32 v14, v14, v12
	v_sub_f32_e32 v11, v11, v12
	;; [unrolled: 1-line block ×3, first 2 shown]
	s_delay_alu instid0(TRANS32_DEP_2) | instskip(SKIP_3) | instid1(VALU_DEP_2)
	v_ldexp_f32 v4, v4, v25
	s_waitcnt_depctr 0xfff
	v_ldexp_f32 v2, v2, v23
	v_sub_f32_e32 v23, v27, v30
	v_cndmask_b32_e32 v2, 0, v2, vcc_lo
	v_cmp_ngt_f32_e32 vcc_lo, 0xc2ce8ed0, v1
	s_delay_alu instid0(VALU_DEP_3) | instskip(SKIP_1) | instid1(VALU_DEP_2)
	v_dual_add_f32 v23, v23, v29 :: v_dual_cndmask_b32 v4, 0, v4
	v_cmp_nlt_f32_e32 vcc_lo, 0x42b17218, v0
	v_exp_f32_e32 v23, v23
	v_cndmask_b32_e32 v0, 0x7f800000, v2, vcc_lo
	v_cmp_nlt_f32_e32 vcc_lo, 0x42b17218, v1
	v_dual_add_f32 v22, v26, v22 :: v_dual_cndmask_b32 v1, 0x7f800000, v4
	s_delay_alu instid0(VALU_DEP_1) | instskip(SKIP_1) | instid1(VALU_DEP_2)
	v_exp_f32_e32 v22, v22
	v_cmp_ngt_f32_e32 vcc_lo, 0xc2ce8ed0, v3
	v_add_f32_e32 v0, v0, v1
	s_waitcnt_depctr 0xfff
	v_ldexp_f32 v4, v22, v24
	s_delay_alu instid0(VALU_DEP_1) | instskip(NEXT) | instid1(VALU_DEP_1)
	v_dual_mul_f32 v28, 0x3fb8aa3b, v21 :: v_dual_cndmask_b32 v1, 0, v4
	v_fma_f32 v2, 0x3fb8aa3b, v21, -v28
	v_rndne_f32_e32 v22, v28
	v_cvt_i32_f32_e32 v4, v30
	v_cmp_nlt_f32_e32 vcc_lo, 0x42b17218, v3
	s_delay_alu instid0(VALU_DEP_4) | instskip(NEXT) | instid1(VALU_DEP_4)
	v_fmac_f32_e32 v2, 0x32a5705f, v21
	v_sub_f32_e32 v24, v28, v22
	s_delay_alu instid0(VALU_DEP_4) | instskip(SKIP_4) | instid1(VALU_DEP_4)
	v_ldexp_f32 v3, v23, v4
	v_cndmask_b32_e32 v1, 0x7f800000, v1, vcc_lo
	v_mul_f32_e32 v4, 0x3fb8aa3b, v20
	v_cmp_ngt_f32_e32 vcc_lo, 0xc2ce8ed0, v5
	v_add_f32_e32 v2, v24, v2
	v_add_f32_e32 v0, v0, v1
	s_delay_alu instid0(VALU_DEP_4) | instskip(SKIP_1) | instid1(VALU_DEP_4)
	v_rndne_f32_e32 v23, v4
	v_cndmask_b32_e32 v1, 0, v3, vcc_lo
	v_exp_f32_e32 v2, v2
	v_fma_f32 v3, 0x3fb8aa3b, v20, -v4
	v_cmp_nlt_f32_e32 vcc_lo, 0x42b17218, v5
	v_cvt_i32_f32_e32 v5, v22
	v_sub_f32_e32 v4, v4, v23
	v_mul_f32_e32 v22, 0x3fb8aa3b, v19
	v_fmac_f32_e32 v3, 0x32a5705f, v20
	v_cndmask_b32_e32 v1, 0x7f800000, v1, vcc_lo
	v_cmp_ngt_f32_e32 vcc_lo, 0xc2ce8ed0, v21
	s_delay_alu instid0(VALU_DEP_2) | instskip(SKIP_4) | instid1(VALU_DEP_4)
	v_add_f32_e32 v0, v0, v1
	v_ldexp_f32 v1, v2, v5
	v_add_f32_e32 v2, v4, v3
	v_fma_f32 v3, 0x3fb8aa3b, v19, -v22
	v_rndne_f32_e32 v4, v22
	v_cndmask_b32_e32 v1, 0, v1, vcc_lo
	s_delay_alu instid0(VALU_DEP_4) | instskip(NEXT) | instid1(VALU_DEP_3)
	v_exp_f32_e32 v2, v2
	v_fmac_f32_e32 v3, 0x32a5705f, v19
	s_delay_alu instid0(VALU_DEP_3) | instskip(SKIP_3) | instid1(VALU_DEP_4)
	v_sub_f32_e32 v5, v22, v4
	v_cmp_nlt_f32_e32 vcc_lo, 0x42b17218, v21
	v_cvt_i32_f32_e32 v21, v23
	v_cvt_i32_f32_e32 v4, v4
	v_add_f32_e32 v3, v5, v3
	v_cndmask_b32_e32 v1, 0x7f800000, v1, vcc_lo
	v_mul_f32_e32 v5, 0x3fb8aa3b, v18
	v_cmp_ngt_f32_e32 vcc_lo, 0xc2ce8ed0, v20
	s_delay_alu instid0(VALU_DEP_3) | instskip(SKIP_3) | instid1(VALU_DEP_2)
	v_add_f32_e32 v0, v0, v1
	v_ldexp_f32 v1, v2, v21
	v_exp_f32_e32 v2, v3
	v_rndne_f32_e32 v21, v5
	v_cndmask_b32_e32 v1, 0, v1, vcc_lo
	v_cmp_nlt_f32_e32 vcc_lo, 0x42b17218, v20
	s_delay_alu instid0(VALU_DEP_2) | instskip(SKIP_3) | instid1(VALU_DEP_2)
	v_cndmask_b32_e32 v1, 0x7f800000, v1, vcc_lo
	s_waitcnt_depctr 0xfff
	v_ldexp_f32 v2, v2, v4
	v_cmp_ngt_f32_e32 vcc_lo, 0xc2ce8ed0, v19
	v_dual_add_f32 v0, v0, v1 :: v_dual_cndmask_b32 v1, 0, v2
	v_cmp_nlt_f32_e32 vcc_lo, 0x42b17218, v19
	s_delay_alu instid0(VALU_DEP_2) | instskip(SKIP_3) | instid1(VALU_DEP_3)
	v_cndmask_b32_e32 v1, 0x7f800000, v1, vcc_lo
	v_fma_f32 v3, 0x3fb8aa3b, v18, -v5
	v_sub_f32_e32 v5, v5, v21
	v_cmp_ngt_f32_e32 vcc_lo, 0xc2ce8ed0, v18
	v_dual_add_f32 v0, v0, v1 :: v_dual_fmac_f32 v3, 0x32a5705f, v18
	s_delay_alu instid0(VALU_DEP_1) | instskip(SKIP_3) | instid1(VALU_DEP_4)
	v_add_f32_e32 v3, v5, v3
	v_sub_f32_e32 v5, v16, v12
	v_cvt_i32_f32_e32 v16, v21
	v_mul_f32_e32 v21, 0x3fb8aa3b, v14
	v_exp_f32_e32 v2, v3
	s_waitcnt_depctr 0xfff
	v_ldexp_f32 v1, v2, v16
	s_delay_alu instid0(VALU_DEP_1) | instskip(NEXT) | instid1(VALU_DEP_1)
	v_dual_sub_f32 v4, v17, v12 :: v_dual_cndmask_b32 v1, 0, v1
	v_mul_f32_e32 v3, 0x3fb8aa3b, v4
	v_cmp_nlt_f32_e32 vcc_lo, 0x42b17218, v18
	s_delay_alu instid0(VALU_DEP_2) | instskip(SKIP_1) | instid1(VALU_DEP_2)
	v_rndne_f32_e32 v19, v3
	v_fma_f32 v17, 0x3fb8aa3b, v4, -v3
	v_sub_f32_e32 v2, v3, v19
	v_mul_f32_e32 v20, 0x3fb8aa3b, v5
	s_delay_alu instid0(VALU_DEP_3) | instskip(SKIP_1) | instid1(VALU_DEP_3)
	v_fmac_f32_e32 v17, 0x32a5705f, v4
	v_cvt_i32_f32_e32 v19, v19
	v_fma_f32 v3, 0x3fb8aa3b, v5, -v20
	v_rndne_f32_e32 v16, v20
	s_delay_alu instid0(VALU_DEP_4) | instskip(NEXT) | instid1(VALU_DEP_3)
	v_add_f32_e32 v2, v2, v17
	v_fmac_f32_e32 v3, 0x32a5705f, v5
	s_delay_alu instid0(VALU_DEP_3) | instskip(NEXT) | instid1(VALU_DEP_3)
	v_dual_sub_f32 v17, v20, v16 :: v_dual_mul_f32 v20, 0x3fb8aa3b, v15
	v_exp_f32_e32 v2, v2
	s_delay_alu instid0(VALU_DEP_1) | instskip(NEXT) | instid1(VALU_DEP_2)
	v_add_f32_e32 v3, v17, v3
	v_fma_f32 v17, 0x3fb8aa3b, v15, -v20
	v_rndne_f32_e32 v18, v20
	v_cndmask_b32_e32 v1, 0x7f800000, v1, vcc_lo
	v_cmp_ngt_f32_e32 vcc_lo, 0xc2ce8ed0, v4
	v_exp_f32_e32 v3, v3
	s_delay_alu instid0(VALU_DEP_3) | instskip(NEXT) | instid1(VALU_DEP_3)
	v_dual_fmac_f32 v17, 0x32a5705f, v15 :: v_dual_sub_f32 v20, v20, v18
	v_add_f32_e32 v0, v0, v1
	s_delay_alu instid0(TRANS32_DEP_2)
	v_ldexp_f32 v1, v2, v19
	v_cvt_i32_f32_e32 v2, v16
	v_rndne_f32_e32 v19, v21
	v_add_f32_e32 v16, v20, v17
	v_fma_f32 v17, 0x3fb8aa3b, v14, -v21
	v_cndmask_b32_e32 v1, 0, v1, vcc_lo
	s_delay_alu instid0(TRANS32_DEP_1)
	v_ldexp_f32 v2, v3, v2
	v_cmp_nlt_f32_e32 vcc_lo, 0x42b17218, v4
	v_exp_f32_e32 v3, v16
	v_sub_f32_e32 v16, v21, v19
	v_cvt_i32_f32_e32 v4, v18
	v_fmac_f32_e32 v17, 0x32a5705f, v14
	v_cndmask_b32_e32 v1, 0x7f800000, v1, vcc_lo
	v_cmp_ngt_f32_e32 vcc_lo, 0xc2ce8ed0, v5
	s_delay_alu instid0(VALU_DEP_3) | instskip(NEXT) | instid1(VALU_DEP_3)
	v_add_f32_e32 v16, v16, v17
	v_add_f32_e32 v0, v0, v1
	s_delay_alu instid0(TRANS32_DEP_1)
	v_ldexp_f32 v1, v3, v4
	v_cndmask_b32_e32 v2, 0, v2, vcc_lo
	v_cmp_nlt_f32_e32 vcc_lo, 0x42b17218, v5
	v_sub_f32_e32 v4, v13, v12
	v_exp_f32_e32 v3, v16
	v_dual_mul_f32 v13, 0x3fb8aa3b, v11 :: v_dual_mul_f32 v16, 0x3fb8aa3b, v9
	s_delay_alu instid0(VALU_DEP_2) | instskip(SKIP_2) | instid1(VALU_DEP_4)
	v_mul_f32_e32 v5, 0x3fb8aa3b, v4
	v_cndmask_b32_e32 v2, 0x7f800000, v2, vcc_lo
	v_cmp_ngt_f32_e32 vcc_lo, 0xc2ce8ed0, v15
	v_rndne_f32_e32 v17, v16
	v_cndmask_b32_e32 v1, 0, v1, vcc_lo
	v_cmp_nlt_f32_e32 vcc_lo, 0x42b17218, v15
	v_add_f32_e32 v0, v0, v2
	v_cvt_i32_f32_e32 v2, v19
	s_delay_alu instid0(VALU_DEP_4) | instskip(SKIP_1) | instid1(VALU_DEP_3)
	v_cndmask_b32_e32 v1, 0x7f800000, v1, vcc_lo
	v_cmp_ngt_f32_e32 vcc_lo, 0xc2ce8ed0, v14
	v_ldexp_f32 v2, v3, v2
	v_rndne_f32_e32 v3, v5
	s_delay_alu instid0(VALU_DEP_4) | instskip(SKIP_1) | instid1(VALU_DEP_3)
	v_add_f32_e32 v0, v0, v1
	v_fma_f32 v1, 0x3fb8aa3b, v4, -v5
	v_sub_f32_e32 v5, v5, v3
	v_cvt_i32_f32_e32 v3, v3
	s_delay_alu instid0(VALU_DEP_3) | instskip(SKIP_1) | instid1(VALU_DEP_2)
	v_dual_fmac_f32 v1, 0x32a5705f, v4 :: v_dual_cndmask_b32 v2, 0, v2
	v_cmp_nlt_f32_e32 vcc_lo, 0x42b17218, v14
	v_dual_mul_f32 v14, 0x3fb8aa3b, v10 :: v_dual_add_f32 v1, v5, v1
	v_rndne_f32_e32 v5, v13
	s_delay_alu instid0(VALU_DEP_4) | instskip(SKIP_1) | instid1(VALU_DEP_4)
	v_cndmask_b32_e32 v2, 0x7f800000, v2, vcc_lo
	v_cmp_ngt_f32_e32 vcc_lo, 0xc2ce8ed0, v4
	v_rndne_f32_e32 v15, v14
	v_exp_f32_e32 v1, v1
	v_sub_f32_e32 v12, v13, v5
	v_cvt_i32_f32_e32 v5, v5
	s_waitcnt_depctr 0xfff
	v_ldexp_f32 v1, v1, v3
	v_add_f32_e32 v0, v0, v2
	v_fma_f32 v2, 0x3fb8aa3b, v11, -v13
	v_fma_f32 v13, 0x3fb8aa3b, v10, -v14
	s_delay_alu instid0(VALU_DEP_4) | instskip(SKIP_1) | instid1(VALU_DEP_3)
	v_cndmask_b32_e32 v1, 0, v1, vcc_lo
	v_cmp_nlt_f32_e32 vcc_lo, 0x42b17218, v4
	v_dual_fmac_f32 v2, 0x32a5705f, v11 :: v_dual_fmac_f32 v13, 0x32a5705f, v10
	v_cvt_i32_f32_e32 v4, v15
	s_delay_alu instid0(VALU_DEP_2) | instskip(SKIP_3) | instid1(VALU_DEP_4)
	v_dual_cndmask_b32 v1, 0x7f800000, v1 :: v_dual_add_f32 v2, v12, v2
	v_sub_f32_e32 v12, v14, v15
	v_fma_f32 v14, 0x3fb8aa3b, v9, -v16
	v_cmp_ngt_f32_e32 vcc_lo, 0xc2ce8ed0, v11
	v_add_f32_e32 v0, v0, v1
	v_exp_f32_e32 v2, v2
	v_add_f32_e32 v3, v12, v13
	v_fmac_f32_e32 v14, 0x32a5705f, v9
	v_sub_f32_e32 v12, v16, v17
	s_delay_alu instid0(VALU_DEP_3) | instskip(NEXT) | instid1(VALU_DEP_1)
	v_exp_f32_e32 v3, v3
	v_add_f32_e32 v12, v12, v14
	s_waitcnt_depctr 0xfff
	v_ldexp_f32 v2, v2, v5
	v_exp_f32_e32 v5, v12
	s_delay_alu instid0(VALU_DEP_1) | instskip(SKIP_3) | instid1(VALU_DEP_4)
	v_cndmask_b32_e32 v2, 0, v2, vcc_lo
	v_cmp_nlt_f32_e32 vcc_lo, 0x42b17218, v11
	v_ldexp_f32 v1, v3, v4
	v_cvt_i32_f32_e32 v3, v17
	v_cndmask_b32_e32 v2, 0x7f800000, v2, vcc_lo
	v_cmp_ngt_f32_e32 vcc_lo, 0xc2ce8ed0, v10
	s_delay_alu instid0(TRANS32_DEP_1) | instid1(VALU_DEP_3)
	v_ldexp_f32 v3, v5, v3
	s_delay_alu instid0(VALU_DEP_3) | instskip(SKIP_1) | instid1(VALU_DEP_2)
	v_dual_add_f32 v0, v0, v2 :: v_dual_cndmask_b32 v1, 0, v1
	v_cmp_nlt_f32_e32 vcc_lo, 0x42b17218, v10
	v_cndmask_b32_e32 v1, 0x7f800000, v1, vcc_lo
	v_cmp_ngt_f32_e32 vcc_lo, 0xc2ce8ed0, v9
	s_delay_alu instid0(VALU_DEP_2) | instskip(SKIP_2) | instid1(VALU_DEP_2)
	v_add_f32_e32 v0, v0, v1
	v_cndmask_b32_e32 v2, 0, v3, vcc_lo
	v_cmp_nlt_f32_e32 vcc_lo, 0x42b17218, v9
	v_cndmask_b32_e32 v1, 0x7f800000, v2, vcc_lo
	v_cmp_eq_u32_e32 vcc_lo, 0, v8
	s_delay_alu instid0(VALU_DEP_2) | instskip(NEXT) | instid1(VALU_DEP_1)
	v_add_f32_e32 v0, v0, v1
	v_mov_b32_dpp v1, v0 quad_perm:[1,0,3,2] row_mask:0xf bank_mask:0xf
	s_delay_alu instid0(VALU_DEP_1) | instskip(NEXT) | instid1(VALU_DEP_1)
	v_add_f32_e32 v0, v0, v1
	v_mov_b32_dpp v1, v0 quad_perm:[2,3,0,1] row_mask:0xf bank_mask:0xf
	s_and_b32 exec_lo, exec_lo, vcc_lo
	s_cbranch_execz .LBB269_21
; %bb.17:
	s_delay_alu instid0(VALU_DEP_1) | instskip(NEXT) | instid1(VALU_DEP_1)
	v_add_f32_e32 v0, v0, v1
	v_add_f32_e32 v0, v6, v0
	s_delay_alu instid0(VALU_DEP_1)
	v_cmp_neq_f32_e32 vcc_lo, 0, v0
	s_and_b32 exec_lo, exec_lo, vcc_lo
	s_cbranch_execz .LBB269_21
; %bb.18:
	s_and_not1_b32 vcc_lo, exec_lo, s3
	s_cbranch_vccnz .LBB269_21
; %bb.19:
	v_div_scale_f32 v2, null, v0, v0, 1.0
	v_div_scale_f32 v4, vcc_lo, 1.0, v0, 1.0
	s_delay_alu instid0(VALU_DEP_2) | instskip(SKIP_2) | instid1(VALU_DEP_1)
	v_rcp_f32_e32 v3, v2
	s_waitcnt_depctr 0xfff
	v_fma_f32 v1, -v2, v3, 1.0
	v_fmac_f32_e32 v3, v1, v3
	v_mul_lo_u32 v1, v7, s7
	s_delay_alu instid0(VALU_DEP_2) | instskip(NEXT) | instid1(VALU_DEP_1)
	v_mul_f32_e32 v5, v4, v3
	v_fma_f32 v6, -v2, v5, v4
	s_delay_alu instid0(VALU_DEP_1) | instskip(NEXT) | instid1(VALU_DEP_1)
	v_fmac_f32_e32 v5, v6, v3
	v_fma_f32 v4, -v2, v5, v4
	v_ashrrev_i32_e32 v2, 31, v1
	s_delay_alu instid0(VALU_DEP_2) | instskip(NEXT) | instid1(VALU_DEP_2)
	v_div_fmas_f32 v5, v4, v3, v5
	v_lshlrev_b64 v[3:4], 2, v[1:2]
	s_delay_alu instid0(VALU_DEP_2) | instskip(NEXT) | instid1(VALU_DEP_2)
	v_div_fixup_f32 v2, v5, v0, 1.0
	v_add_co_u32 v0, vcc_lo, s12, v3
	s_delay_alu instid0(VALU_DEP_3)
	v_add_co_ci_u32_e32 v1, vcc_lo, s13, v4, vcc_lo
.LBB269_20:                             ; =>This Inner Loop Header: Depth=1
	global_load_b32 v3, v[0:1], off
	s_add_i32 s4, s4, -1
	s_delay_alu instid0(SALU_CYCLE_1)
	s_cmp_lg_u32 s4, 0
	s_waitcnt vmcnt(0)
	v_mul_f32_e32 v3, v2, v3
	global_store_b32 v[0:1], v3, off
	v_add_co_u32 v0, vcc_lo, v0, 4
	v_add_co_ci_u32_e32 v1, vcc_lo, 0, v1, vcc_lo
	s_cbranch_scc1 .LBB269_20
.LBB269_21:
	s_nop 0
	s_sendmsg sendmsg(MSG_DEALLOC_VGPRS)
	s_endpgm
	.section	.rodata,"a",@progbits
	.p2align	6, 0x0
	.amdhsa_kernel _ZN4vllm3moe17topkGatingSoftmaxItLi16ELi64ELi8ELi32ELb0ELi0ELNS0_23SharedExpertScoringFuncE0EEEvPKT_PKbPfiPiS9_iiiiii
		.amdhsa_group_segment_fixed_size 0
		.amdhsa_private_segment_fixed_size 0
		.amdhsa_kernarg_size 72
		.amdhsa_user_sgpr_count 15
		.amdhsa_user_sgpr_dispatch_ptr 0
		.amdhsa_user_sgpr_queue_ptr 0
		.amdhsa_user_sgpr_kernarg_segment_ptr 1
		.amdhsa_user_sgpr_dispatch_id 0
		.amdhsa_user_sgpr_private_segment_size 0
		.amdhsa_wavefront_size32 1
		.amdhsa_uses_dynamic_stack 0
		.amdhsa_enable_private_segment 0
		.amdhsa_system_sgpr_workgroup_id_x 1
		.amdhsa_system_sgpr_workgroup_id_y 0
		.amdhsa_system_sgpr_workgroup_id_z 0
		.amdhsa_system_sgpr_workgroup_info 0
		.amdhsa_system_vgpr_workitem_id 1
		.amdhsa_next_free_vgpr 53
		.amdhsa_next_free_sgpr 19
		.amdhsa_reserve_vcc 1
		.amdhsa_float_round_mode_32 0
		.amdhsa_float_round_mode_16_64 0
		.amdhsa_float_denorm_mode_32 3
		.amdhsa_float_denorm_mode_16_64 3
		.amdhsa_dx10_clamp 1
		.amdhsa_ieee_mode 1
		.amdhsa_fp16_overflow 0
		.amdhsa_workgroup_processor_mode 1
		.amdhsa_memory_ordered 1
		.amdhsa_forward_progress 0
		.amdhsa_shared_vgpr_count 0
		.amdhsa_exception_fp_ieee_invalid_op 0
		.amdhsa_exception_fp_denorm_src 0
		.amdhsa_exception_fp_ieee_div_zero 0
		.amdhsa_exception_fp_ieee_overflow 0
		.amdhsa_exception_fp_ieee_underflow 0
		.amdhsa_exception_fp_ieee_inexact 0
		.amdhsa_exception_int_div_zero 0
	.end_amdhsa_kernel
	.section	.text._ZN4vllm3moe17topkGatingSoftmaxItLi16ELi64ELi8ELi32ELb0ELi0ELNS0_23SharedExpertScoringFuncE0EEEvPKT_PKbPfiPiS9_iiiiii,"axG",@progbits,_ZN4vllm3moe17topkGatingSoftmaxItLi16ELi64ELi8ELi32ELb0ELi0ELNS0_23SharedExpertScoringFuncE0EEEvPKT_PKbPfiPiS9_iiiiii,comdat
.Lfunc_end269:
	.size	_ZN4vllm3moe17topkGatingSoftmaxItLi16ELi64ELi8ELi32ELb0ELi0ELNS0_23SharedExpertScoringFuncE0EEEvPKT_PKbPfiPiS9_iiiiii, .Lfunc_end269-_ZN4vllm3moe17topkGatingSoftmaxItLi16ELi64ELi8ELi32ELb0ELi0ELNS0_23SharedExpertScoringFuncE0EEEvPKT_PKbPfiPiS9_iiiiii
                                        ; -- End function
	.section	.AMDGPU.csdata,"",@progbits
; Kernel info:
; codeLenInByte = 5096
; NumSgprs: 21
; NumVgprs: 53
; ScratchSize: 0
; MemoryBound: 0
; FloatMode: 240
; IeeeMode: 1
; LDSByteSize: 0 bytes/workgroup (compile time only)
; SGPRBlocks: 2
; VGPRBlocks: 6
; NumSGPRsForWavesPerEU: 21
; NumVGPRsForWavesPerEU: 53
; Occupancy: 16
; WaveLimiterHint : 0
; COMPUTE_PGM_RSRC2:SCRATCH_EN: 0
; COMPUTE_PGM_RSRC2:USER_SGPR: 15
; COMPUTE_PGM_RSRC2:TRAP_HANDLER: 0
; COMPUTE_PGM_RSRC2:TGID_X_EN: 1
; COMPUTE_PGM_RSRC2:TGID_Y_EN: 0
; COMPUTE_PGM_RSRC2:TGID_Z_EN: 0
; COMPUTE_PGM_RSRC2:TIDIG_COMP_CNT: 1
	.section	.text._ZN4vllm3moe17topkGatingSoftmaxItLi16ELi64ELi8ELi32ELb1ELi1ELNS0_23SharedExpertScoringFuncE1EEEvPKT_PKbPfiPiS9_iiiiii,"axG",@progbits,_ZN4vllm3moe17topkGatingSoftmaxItLi16ELi64ELi8ELi32ELb1ELi1ELNS0_23SharedExpertScoringFuncE1EEEvPKT_PKbPfiPiS9_iiiiii,comdat
	.protected	_ZN4vllm3moe17topkGatingSoftmaxItLi16ELi64ELi8ELi32ELb1ELi1ELNS0_23SharedExpertScoringFuncE1EEEvPKT_PKbPfiPiS9_iiiiii ; -- Begin function _ZN4vllm3moe17topkGatingSoftmaxItLi16ELi64ELi8ELi32ELb1ELi1ELNS0_23SharedExpertScoringFuncE1EEEvPKT_PKbPfiPiS9_iiiiii
	.globl	_ZN4vllm3moe17topkGatingSoftmaxItLi16ELi64ELi8ELi32ELb1ELi1ELNS0_23SharedExpertScoringFuncE1EEEvPKT_PKbPfiPiS9_iiiiii
	.p2align	8
	.type	_ZN4vllm3moe17topkGatingSoftmaxItLi16ELi64ELi8ELi32ELb1ELi1ELNS0_23SharedExpertScoringFuncE1EEEvPKT_PKbPfiPiS9_iiiiii,@function
_ZN4vllm3moe17topkGatingSoftmaxItLi16ELi64ELi8ELi32ELb1ELi1ELNS0_23SharedExpertScoringFuncE1EEEvPKT_PKbPfiPiS9_iiiiii: ; @_ZN4vllm3moe17topkGatingSoftmaxItLi16ELi64ELi8ELi32ELb1ELi1ELNS0_23SharedExpertScoringFuncE1EEEvPKT_PKbPfiPiS9_iiiiii
; %bb.0:
	s_load_b32 s16, s[0:1], 0x18
	v_bfe_u32 v1, v0, 10, 10
	v_and_b32_e32 v0, 0x3ff, v0
	s_lshl_b32 s18, s15, 6
	s_mov_b32 s2, exec_lo
	s_delay_alu instid0(VALU_DEP_2) | instskip(NEXT) | instid1(VALU_DEP_2)
	v_lshlrev_b32_e32 v42, 3, v1
	v_lshrrev_b32_e32 v43, 2, v0
	s_delay_alu instid0(VALU_DEP_1) | instskip(SKIP_1) | instid1(VALU_DEP_1)
	v_add3_u32 v10, s18, v42, v43
	s_waitcnt lgkmcnt(0)
	v_cmpx_gt_i32_e64 s16, v10
	s_cbranch_execz .LBB270_22
; %bb.1:
	s_clause 0x1
	s_load_b128 s[4:7], s[0:1], 0x0
	s_load_b64 s[12:13], s[0:1], 0x10
	s_waitcnt lgkmcnt(0)
	s_cmp_eq_u64 s[6:7], 0
	s_cbranch_scc1 .LBB270_3
; %bb.2:
	v_ashrrev_i32_e32 v2, 31, v10
	v_add_co_u32 v1, vcc_lo, s6, v10
	s_delay_alu instid0(VALU_DEP_2) | instskip(SKIP_3) | instid1(VALU_DEP_1)
	v_add_co_ci_u32_e32 v2, vcc_lo, s7, v2, vcc_lo
	global_load_u8 v1, v[1:2], off
	s_waitcnt vmcnt(0)
	v_and_b32_e32 v1, 1, v1
	v_cmp_eq_u32_e32 vcc_lo, 1, v1
	s_xor_b32 s2, vcc_lo, -1
	s_delay_alu instid0(SALU_CYCLE_1)
	s_or_not1_b32 s17, s2, exec_lo
	s_branch .LBB270_4
.LBB270_3:
	s_mov_b32 s17, -1
.LBB270_4:
	s_clause 0x1
	s_load_b64 s[14:15], s[0:1], 0x40
	s_load_b128 s[8:11], s[0:1], 0x30
	v_and_b32_e32 v11, 3, v0
	s_delay_alu instid0(VALU_DEP_1) | instskip(SKIP_3) | instid1(VALU_DEP_1)
	v_dual_mov_b32 v13, 0 :: v_dual_lshlrev_b32 v12, 4, v11
	v_cmp_eq_u32_e64 s2, 0, v11
	s_waitcnt lgkmcnt(0)
	v_mul_lo_u32 v1, v10, s15
	v_ashrrev_i32_e32 v2, 31, v1
	s_delay_alu instid0(VALU_DEP_1) | instskip(SKIP_1) | instid1(VALU_DEP_2)
	v_lshlrev_b64 v[0:1], 1, v[1:2]
	v_lshlrev_b32_e32 v2, 5, v11
	v_add_co_u32 v8, vcc_lo, s4, v0
	s_delay_alu instid0(VALU_DEP_3) | instskip(NEXT) | instid1(VALU_DEP_2)
	v_add_co_ci_u32_e32 v9, vcc_lo, s5, v1, vcc_lo
	v_add_co_u32 v4, vcc_lo, v8, v2
	s_delay_alu instid0(VALU_DEP_2)
	v_add_co_ci_u32_e32 v5, vcc_lo, 0, v9, vcc_lo
	s_clause 0x1
	global_load_b128 v[0:3], v[4:5], off offset:16
	global_load_b128 v[4:7], v[4:5], off
	s_and_saveexec_b32 s3, s2
	s_cbranch_execz .LBB270_6
; %bb.5:
	global_load_u16 v8, v[8:9], off offset:128
	s_waitcnt vmcnt(0)
	v_cvt_f32_u32_e32 v8, v8
	s_delay_alu instid0(VALU_DEP_1) | instskip(SKIP_1) | instid1(VALU_DEP_2)
	v_mul_f32_e32 v9, 0xbfb8aa3b, v8
	v_cmp_nlt_f32_e32 vcc_lo, 0x42ce8ed0, v8
	v_rndne_f32_e32 v14, v9
	v_fma_f32 v15, 0xbfb8aa3b, v8, -v9
	s_delay_alu instid0(VALU_DEP_2) | instskip(NEXT) | instid1(VALU_DEP_2)
	v_sub_f32_e32 v9, v9, v14
	v_fmamk_f32 v15, v8, 0xb2a5705f, v15
	v_cvt_i32_f32_e32 v14, v14
	s_delay_alu instid0(VALU_DEP_2) | instskip(NEXT) | instid1(VALU_DEP_1)
	v_add_f32_e32 v9, v9, v15
	v_exp_f32_e32 v9, v9
	s_waitcnt_depctr 0xfff
	v_ldexp_f32 v9, v9, v14
	s_delay_alu instid0(VALU_DEP_1) | instskip(SKIP_1) | instid1(VALU_DEP_2)
	v_cndmask_b32_e32 v9, 0, v9, vcc_lo
	v_cmp_ngt_f32_e32 vcc_lo, 0xc2b17218, v8
	v_cndmask_b32_e32 v8, 0x7f800000, v9, vcc_lo
	s_delay_alu instid0(VALU_DEP_1) | instskip(NEXT) | instid1(VALU_DEP_1)
	v_add_f32_e32 v14, 1.0, v8
	v_div_scale_f32 v15, null, v14, v14, 1.0
	v_div_scale_f32 v17, vcc_lo, 1.0, v14, 1.0
	s_delay_alu instid0(VALU_DEP_2) | instskip(SKIP_2) | instid1(VALU_DEP_1)
	v_rcp_f32_e32 v16, v15
	s_waitcnt_depctr 0xfff
	v_fma_f32 v8, -v15, v16, 1.0
	v_fmac_f32_e32 v16, v8, v16
	v_mad_u64_u32 v[8:9], null, v10, s11, s[8:9]
	s_delay_alu instid0(VALU_DEP_2) | instskip(NEXT) | instid1(VALU_DEP_2)
	v_mul_f32_e32 v18, v17, v16
	v_ashrrev_i32_e32 v9, 31, v8
	s_delay_alu instid0(VALU_DEP_2) | instskip(NEXT) | instid1(VALU_DEP_2)
	v_fma_f32 v19, -v15, v18, v17
	v_lshlrev_b64 v[8:9], 2, v[8:9]
	s_delay_alu instid0(VALU_DEP_2) | instskip(NEXT) | instid1(VALU_DEP_1)
	v_fmac_f32_e32 v18, v19, v16
	v_fma_f32 v15, -v15, v18, v17
	s_delay_alu instid0(VALU_DEP_1) | instskip(NEXT) | instid1(VALU_DEP_4)
	v_div_fmas_f32 v15, v15, v16, v18
	v_add_co_u32 v8, vcc_lo, s12, v8
	v_add_co_ci_u32_e32 v9, vcc_lo, s13, v9, vcc_lo
	s_delay_alu instid0(VALU_DEP_3)
	v_div_fixup_f32 v14, v15, v14, 1.0
	global_store_b32 v[8:9], v14, off
.LBB270_6:
	s_or_b32 exec_lo, exec_lo, s3
	s_waitcnt vmcnt(0)
	v_and_b32_e32 v8, 0xffff, v4
	v_lshrrev_b32_e32 v4, 16, v4
	v_or_b32_e32 v14, 1, v12
	v_or_b32_e32 v16, 2, v12
	;; [unrolled: 1-line block ×3, first 2 shown]
	v_cvt_f32_u32_e32 v8, v8
	v_cvt_f32_u32_e32 v9, v4
	v_or_b32_e32 v22, 5, v12
	v_or_b32_e32 v25, 7, v12
	;; [unrolled: 1-line block ×4, first 2 shown]
	v_cmp_lt_f32_e32 vcc_lo, v8, v9
	v_or_b32_e32 v31, 10, v12
	v_or_b32_e32 v33, 11, v12
	;; [unrolled: 1-line block ×3, first 2 shown]
	v_dual_cndmask_b32 v18, v8, v9 :: v_dual_and_b32 v19, 0xffff, v6
	v_lshrrev_b32_e32 v6, 16, v6
	v_or_b32_e32 v37, 13, v12
	v_or_b32_e32 v39, 14, v12
	s_delay_alu instid0(VALU_DEP_4)
	v_cvt_f32_u32_e32 v19, v19
	v_and_b32_e32 v4, 0xffff, v5
	v_lshrrev_b32_e32 v5, 16, v5
	v_cvt_f32_u32_e32 v21, v6
	v_and_b32_e32 v6, 0xffff, v7
	v_or_b32_e32 v41, 15, v12
	v_cvt_f32_u32_e32 v15, v4
	v_cvt_f32_u32_e32 v17, v5
	v_cndmask_b32_e32 v4, v12, v14, vcc_lo
	v_cvt_f32_u32_e32 v23, v6
	v_lshrrev_b32_e32 v6, 16, v7
	v_cmp_lt_f32_e32 vcc_lo, v18, v15
	v_or_b32_e32 v7, 6, v12
	s_delay_alu instid0(VALU_DEP_3) | instskip(SKIP_4) | instid1(VALU_DEP_4)
	v_cvt_f32_u32_e32 v24, v6
	v_dual_cndmask_b32 v5, v18, v15 :: v_dual_cndmask_b32 v4, v4, v16
	v_or_b32_e32 v18, 3, v12
	v_and_b32_e32 v6, 0xffff, v0
	v_lshrrev_b32_e32 v0, 16, v0
	v_cmp_lt_f32_e32 vcc_lo, v5, v17
	s_delay_alu instid0(VALU_DEP_3) | instskip(NEXT) | instid1(VALU_DEP_3)
	v_cvt_f32_u32_e32 v26, v6
	v_cvt_f32_u32_e32 v28, v0
	v_dual_cndmask_b32 v5, v5, v17 :: v_dual_cndmask_b32 v4, v4, v18
	s_delay_alu instid0(VALU_DEP_1) | instskip(NEXT) | instid1(VALU_DEP_2)
	v_cmp_lt_f32_e32 vcc_lo, v5, v19
	v_dual_cndmask_b32 v5, v5, v19 :: v_dual_cndmask_b32 v4, v4, v20
	s_delay_alu instid0(VALU_DEP_1) | instskip(NEXT) | instid1(VALU_DEP_2)
	v_cmp_lt_f32_e32 vcc_lo, v5, v21
	v_dual_cndmask_b32 v5, v5, v21 :: v_dual_cndmask_b32 v4, v4, v22
	s_delay_alu instid0(VALU_DEP_1) | instskip(SKIP_1) | instid1(VALU_DEP_3)
	v_cmp_lt_f32_e32 vcc_lo, v5, v23
	v_cndmask_b32_e32 v5, v5, v23, vcc_lo
	v_cndmask_b32_e32 v4, v4, v7, vcc_lo
	s_delay_alu instid0(VALU_DEP_2) | instskip(NEXT) | instid1(VALU_DEP_2)
	v_cmp_lt_f32_e32 vcc_lo, v5, v24
	v_dual_cndmask_b32 v5, v5, v24 :: v_dual_cndmask_b32 v4, v4, v25
	s_delay_alu instid0(VALU_DEP_1) | instskip(NEXT) | instid1(VALU_DEP_2)
	v_cmp_lt_f32_e32 vcc_lo, v5, v26
	v_cndmask_b32_e32 v0, v4, v27, vcc_lo
	v_dual_cndmask_b32 v4, v5, v26 :: v_dual_and_b32 v5, 0xffff, v1
	v_lshrrev_b32_e32 v1, 16, v1
	s_delay_alu instid0(VALU_DEP_2) | instskip(NEXT) | instid1(VALU_DEP_3)
	v_cmp_lt_f32_e32 vcc_lo, v4, v28
	v_cvt_f32_u32_e32 v30, v5
	s_delay_alu instid0(VALU_DEP_3) | instskip(SKIP_2) | instid1(VALU_DEP_2)
	v_cvt_f32_u32_e32 v32, v1
	v_cndmask_b32_e32 v4, v4, v28, vcc_lo
	v_cndmask_b32_e32 v0, v0, v29, vcc_lo
	v_cmp_lt_f32_e32 vcc_lo, v4, v30
	v_cndmask_b32_e32 v1, v4, v30, vcc_lo
	s_delay_alu instid0(VALU_DEP_3) | instskip(SKIP_2) | instid1(VALU_DEP_4)
	v_cndmask_b32_e32 v0, v0, v31, vcc_lo
	v_and_b32_e32 v4, 0xffff, v2
	v_lshrrev_b32_e32 v2, 16, v2
	v_cmp_lt_f32_e32 vcc_lo, v1, v32
	s_delay_alu instid0(VALU_DEP_3) | instskip(NEXT) | instid1(VALU_DEP_3)
	v_cvt_f32_u32_e32 v34, v4
	v_cvt_f32_u32_e32 v36, v2
	v_dual_cndmask_b32 v1, v1, v32 :: v_dual_and_b32 v2, 0xffff, v3
	v_cndmask_b32_e32 v0, v0, v33, vcc_lo
	s_delay_alu instid0(VALU_DEP_2) | instskip(NEXT) | instid1(VALU_DEP_3)
	v_cvt_f32_u32_e32 v38, v2
	v_cmp_lt_f32_e32 vcc_lo, v1, v34
	v_lshrrev_b32_e32 v2, 16, v3
	s_delay_alu instid0(VALU_DEP_4) | instskip(NEXT) | instid1(VALU_DEP_2)
	v_dual_cndmask_b32 v1, v1, v34 :: v_dual_cndmask_b32 v0, v0, v35
	v_cvt_f32_u32_e32 v40, v2
	s_delay_alu instid0(VALU_DEP_2) | instskip(NEXT) | instid1(VALU_DEP_3)
	v_cmp_lt_f32_e32 vcc_lo, v1, v36
	v_dual_cndmask_b32 v1, v1, v36 :: v_dual_cndmask_b32 v0, v0, v37
	s_delay_alu instid0(VALU_DEP_1) | instskip(NEXT) | instid1(VALU_DEP_2)
	v_cmp_lt_f32_e32 vcc_lo, v1, v38
	v_dual_cndmask_b32 v1, v1, v38 :: v_dual_cndmask_b32 v0, v0, v39
	s_delay_alu instid0(VALU_DEP_1) | instskip(NEXT) | instid1(VALU_DEP_2)
	;; [unrolled: 3-line block ×3, first 2 shown]
	v_mov_b32_dpp v2, v1 quad_perm:[1,0,3,2] row_mask:0xf bank_mask:0xf
	v_mov_b32_dpp v3, v0 quad_perm:[1,0,3,2] row_mask:0xf bank_mask:0xf
	s_delay_alu instid0(VALU_DEP_2) | instskip(NEXT) | instid1(VALU_DEP_2)
	v_cmp_eq_f32_e64 s3, v1, v2
	v_cmp_lt_i32_e32 vcc_lo, v3, v0
	v_cmp_lt_f32_e64 s4, v1, v2
	s_delay_alu instid0(VALU_DEP_3)
	s_and_b32 s3, s3, vcc_lo
	s_delay_alu instid0(VALU_DEP_1) | instid1(SALU_CYCLE_1)
	s_or_b32 vcc_lo, s4, s3
	s_cmp_gt_i32 s8, 0
	v_cndmask_b32_e32 v2, v1, v2, vcc_lo
	v_cndmask_b32_e32 v0, v0, v3, vcc_lo
	s_cselect_b32 s3, -1, 0
	s_delay_alu instid0(SALU_CYCLE_1) | instskip(NEXT) | instid1(VALU_DEP_2)
	s_and_b32 vcc_lo, exec_lo, s3
	v_mov_b32_dpp v4, v2 quad_perm:[2,3,0,1] row_mask:0xf bank_mask:0xf
	s_delay_alu instid0(VALU_DEP_2)
	v_mov_b32_dpp v6, v0 quad_perm:[2,3,0,1] row_mask:0xf bank_mask:0xf
	s_cbranch_vccz .LBB270_18
; %bb.7:
	s_load_b128 s[4:7], s[0:1], 0x20
	s_delay_alu instid0(VALU_DEP_2) | instskip(NEXT) | instid1(VALU_DEP_2)
	v_cmp_eq_f32_e32 vcc_lo, v2, v4
	v_cmp_lt_i32_e64 s0, v6, v0
	v_cmp_lt_f32_e64 s1, v2, v4
	v_mul_lo_u32 v1, v10, s11
	v_mul_lo_u32 v3, v10, s14
	;; [unrolled: 1-line block ×3, first 2 shown]
	s_and_b32 s0, vcc_lo, s0
	v_mov_b32_e32 v13, 0
	s_or_b32 vcc_lo, s1, s0
	v_cndmask_b32_e32 v0, v0, v6, vcc_lo
	v_cndmask_b32_e32 v44, v2, v4, vcc_lo
	s_and_saveexec_b32 s1, s2
	s_cbranch_execz .LBB270_9
; %bb.8:
	s_delay_alu instid0(VALU_DEP_1)
	v_sub_f32_e32 v13, v44, v44
	v_cmp_le_i32_e32 vcc_lo, s9, v0
	v_cmp_gt_i32_e64 s0, s10, v0
	v_subrev_nc_u32_e32 v51, s9, v0
	v_ashrrev_i32_e32 v6, 31, v5
	v_mul_f32_e32 v2, 0x3fb8aa3b, v13
	s_delay_alu instid0(VALU_DEP_4) | instskip(NEXT) | instid1(SALU_CYCLE_1)
	s_and_b32 s0, vcc_lo, s0
	s_and_b32 vcc_lo, s17, s0
	s_delay_alu instid0(VALU_DEP_1) | instskip(SKIP_2) | instid1(VALU_DEP_3)
	v_rndne_f32_e32 v47, v2
	v_fma_f32 v4, 0x3fb8aa3b, v13, -v2
	v_lshlrev_b64 v[49:50], 2, v[5:6]
	v_sub_f32_e32 v2, v2, v47
	s_delay_alu instid0(VALU_DEP_3) | instskip(NEXT) | instid1(VALU_DEP_1)
	v_fmamk_f32 v4, v13, 0x32a5705f, v4
	v_add_f32_e32 v4, v2, v4
	v_ashrrev_i32_e32 v2, 31, v1
	s_delay_alu instid0(VALU_DEP_2) | instskip(NEXT) | instid1(VALU_DEP_1)
	v_exp_f32_e32 v52, v4
	v_lshlrev_b64 v[45:46], 2, v[1:2]
	v_ashrrev_i32_e32 v4, 31, v3
	v_cvt_i32_f32_e32 v2, v47
	s_delay_alu instid0(VALU_DEP_2) | instskip(SKIP_3) | instid1(TRANS32_DEP_1)
	v_lshlrev_b64 v[47:48], 2, v[3:4]
	v_cndmask_b32_e32 v4, 64, v51, vcc_lo
	v_add_co_u32 v45, vcc_lo, s12, v45
	v_add_co_ci_u32_e32 v46, vcc_lo, s13, v46, vcc_lo
	v_ldexp_f32 v2, v52, v2
	v_cmp_ngt_f32_e32 vcc_lo, 0xc2ce8ed0, v13
	s_delay_alu instid0(VALU_DEP_2)
	v_cndmask_b32_e32 v2, 0, v2, vcc_lo
	s_waitcnt lgkmcnt(0)
	v_add_co_u32 v47, vcc_lo, s4, v47
	v_add_co_ci_u32_e32 v48, vcc_lo, s5, v48, vcc_lo
	v_cmp_nlt_f32_e32 vcc_lo, 0x42b17218, v13
	v_cndmask_b32_e32 v13, 0x7f800000, v2, vcc_lo
	v_add_co_u32 v49, vcc_lo, s6, v49
	v_add_co_ci_u32_e32 v50, vcc_lo, s7, v50, vcc_lo
	global_store_b32 v[47:48], v4, off
	global_store_b32 v[45:46], v13, off
	;; [unrolled: 1-line block ×3, first 2 shown]
.LBB270_9:
	s_or_b32 exec_lo, exec_lo, s1
	v_ashrrev_i32_e32 v4, 31, v0
	s_mov_b32 s0, exec_lo
	s_delay_alu instid0(VALU_DEP_1) | instskip(NEXT) | instid1(VALU_DEP_1)
	v_lshrrev_b32_e32 v2, 28, v4
	v_add_nc_u32_e32 v2, v0, v2
	s_delay_alu instid0(VALU_DEP_1) | instskip(NEXT) | instid1(VALU_DEP_1)
	v_ashrrev_i32_e32 v2, 4, v2
	v_lshrrev_b32_e32 v6, 30, v2
	s_delay_alu instid0(VALU_DEP_1) | instskip(NEXT) | instid1(VALU_DEP_1)
	v_add_nc_u32_e32 v6, v2, v6
	v_and_b32_e32 v6, -4, v6
	s_delay_alu instid0(VALU_DEP_1) | instskip(NEXT) | instid1(VALU_DEP_1)
	v_sub_nc_u32_e32 v6, v2, v6
	v_cmpx_eq_u32_e64 v11, v6
	s_cbranch_execz .LBB270_11
; %bb.10:
	v_lshrrev_b32_e32 v4, 26, v4
	v_lshlrev_b32_e32 v2, 4, v2
	s_delay_alu instid0(VALU_DEP_2) | instskip(NEXT) | instid1(VALU_DEP_2)
	v_add_nc_u32_e32 v4, v0, v4
	v_sub_nc_u32_e32 v0, v0, v2
	s_delay_alu instid0(VALU_DEP_2) | instskip(NEXT) | instid1(VALU_DEP_1)
	v_ashrrev_i32_e32 v2, 6, v4
	v_lshl_add_u32 v0, v2, 4, v0
	s_delay_alu instid0(VALU_DEP_1)
	v_cmp_ne_u32_e32 vcc_lo, 15, v0
	v_cndmask_b32_e32 v40, 0xff800000, v40, vcc_lo
	v_cmp_ne_u32_e32 vcc_lo, 14, v0
	v_cndmask_b32_e32 v38, 0xff800000, v38, vcc_lo
	v_cmp_ne_u32_e32 vcc_lo, 13, v0
	v_cndmask_b32_e32 v36, 0xff800000, v36, vcc_lo
	v_cmp_ne_u32_e32 vcc_lo, 12, v0
	v_cndmask_b32_e32 v34, 0xff800000, v34, vcc_lo
	v_cmp_ne_u32_e32 vcc_lo, 11, v0
	v_cndmask_b32_e32 v32, 0xff800000, v32, vcc_lo
	v_cmp_ne_u32_e32 vcc_lo, 10, v0
	v_cndmask_b32_e32 v30, 0xff800000, v30, vcc_lo
	v_cmp_ne_u32_e32 vcc_lo, 9, v0
	v_cndmask_b32_e32 v28, 0xff800000, v28, vcc_lo
	v_cmp_ne_u32_e32 vcc_lo, 8, v0
	v_cndmask_b32_e32 v26, 0xff800000, v26, vcc_lo
	v_cmp_ne_u32_e32 vcc_lo, 7, v0
	v_cndmask_b32_e32 v24, 0xff800000, v24, vcc_lo
	v_cmp_ne_u32_e32 vcc_lo, 6, v0
	v_cndmask_b32_e32 v23, 0xff800000, v23, vcc_lo
	v_cmp_ne_u32_e32 vcc_lo, 5, v0
	v_cndmask_b32_e32 v21, 0xff800000, v21, vcc_lo
	v_cmp_ne_u32_e32 vcc_lo, 4, v0
	v_cndmask_b32_e32 v19, 0xff800000, v19, vcc_lo
	v_cmp_ne_u32_e32 vcc_lo, 3, v0
	v_cndmask_b32_e32 v17, 0xff800000, v17, vcc_lo
	v_cmp_ne_u32_e32 vcc_lo, 2, v0
	v_cndmask_b32_e32 v15, 0xff800000, v15, vcc_lo
	v_cmp_ne_u32_e32 vcc_lo, 1, v0
	v_cndmask_b32_e32 v9, 0xff800000, v9, vcc_lo
	v_cmp_ne_u32_e32 vcc_lo, 0, v0
	v_cndmask_b32_e32 v8, 0xff800000, v8, vcc_lo
.LBB270_11:
	s_or_b32 exec_lo, exec_lo, s0
	s_cmp_eq_u32 s8, 1
	s_cbranch_scc1 .LBB270_18
; %bb.12:
	s_add_i32 s18, s18, s16
	v_add_nc_u32_e32 v0, 1, v5
	v_add3_u32 v6, s18, v43, v42
	v_add_nc_u32_e32 v2, 1, v3
	v_add_nc_u32_e32 v4, 1, v1
	s_add_i32 s14, s8, -1
	s_branch .LBB270_14
.LBB270_13:                             ;   in Loop: Header=BB270_14 Depth=1
	s_or_b32 exec_lo, exec_lo, s0
	v_add_nc_u32_e32 v6, s16, v6
	v_add_nc_u32_e32 v0, 1, v0
	;; [unrolled: 1-line block ×4, first 2 shown]
	s_add_i32 s14, s14, -1
	s_delay_alu instid0(SALU_CYCLE_1)
	s_cmp_eq_u32 s14, 0
	s_cbranch_scc1 .LBB270_18
.LBB270_14:                             ; =>This Inner Loop Header: Depth=1
	v_cmp_gt_f32_e32 vcc_lo, v9, v8
	v_cndmask_b32_e32 v3, v8, v9, vcc_lo
	v_cndmask_b32_e32 v1, v12, v14, vcc_lo
	s_delay_alu instid0(VALU_DEP_2) | instskip(SKIP_1) | instid1(VALU_DEP_3)
	v_cmp_gt_f32_e32 vcc_lo, v15, v3
	v_cndmask_b32_e32 v3, v3, v15, vcc_lo
	v_cndmask_b32_e32 v1, v1, v16, vcc_lo
	s_delay_alu instid0(VALU_DEP_2) | instskip(SKIP_1) | instid1(VALU_DEP_3)
	;; [unrolled: 4-line block ×13, first 2 shown]
	v_cmp_gt_f32_e32 vcc_lo, v38, v3
	v_cndmask_b32_e32 v3, v3, v38, vcc_lo
	v_cndmask_b32_e32 v1, v1, v39, vcc_lo
	s_delay_alu instid0(VALU_DEP_2) | instskip(NEXT) | instid1(VALU_DEP_2)
	v_cmp_gt_f32_e32 vcc_lo, v40, v3
	v_cndmask_b32_e32 v5, v1, v41, vcc_lo
	v_cndmask_b32_e32 v1, v3, v40, vcc_lo
	s_delay_alu instid0(VALU_DEP_2) | instskip(NEXT) | instid1(VALU_DEP_2)
	v_mov_b32_dpp v3, v5 quad_perm:[1,0,3,2] row_mask:0xf bank_mask:0xf
	v_mov_b32_dpp v42, v1 quad_perm:[1,0,3,2] row_mask:0xf bank_mask:0xf
	s_delay_alu instid0(VALU_DEP_2) | instskip(NEXT) | instid1(VALU_DEP_2)
	v_cmp_lt_i32_e32 vcc_lo, v3, v5
	v_cmp_eq_f32_e64 s0, v1, v42
	v_cmp_lt_f32_e64 s1, v1, v42
	s_delay_alu instid0(VALU_DEP_2)
	s_and_b32 s0, s0, vcc_lo
	s_delay_alu instid0(VALU_DEP_1) | instid1(SALU_CYCLE_1)
	s_or_b32 vcc_lo, s1, s0
	v_cndmask_b32_e32 v1, v1, v42, vcc_lo
	v_cndmask_b32_e32 v5, v5, v3, vcc_lo
	s_delay_alu instid0(VALU_DEP_2) | instskip(NEXT) | instid1(VALU_DEP_2)
	v_mov_b32_dpp v3, v1 quad_perm:[2,3,0,1] row_mask:0xf bank_mask:0xf
	v_mov_b32_dpp v42, v5 quad_perm:[2,3,0,1] row_mask:0xf bank_mask:0xf
	s_delay_alu instid0(VALU_DEP_2) | instskip(NEXT) | instid1(VALU_DEP_2)
	v_cmp_eq_f32_e32 vcc_lo, v1, v3
	v_cmp_lt_i32_e64 s0, v42, v5
	v_cmp_lt_f32_e64 s1, v1, v3
	s_delay_alu instid0(VALU_DEP_2)
	s_and_b32 s0, vcc_lo, s0
	s_delay_alu instid0(VALU_DEP_1) | instid1(SALU_CYCLE_1)
	s_or_b32 vcc_lo, s1, s0
	v_cndmask_b32_e32 v42, v5, v42, vcc_lo
	s_and_saveexec_b32 s1, s2
	s_cbranch_execz .LBB270_16
; %bb.15:                               ;   in Loop: Header=BB270_14 Depth=1
	v_cndmask_b32_e32 v1, v1, v3, vcc_lo
	s_delay_alu instid0(VALU_DEP_2) | instskip(SKIP_4) | instid1(VALU_DEP_4)
	v_cmp_le_i32_e32 vcc_lo, s9, v42
	v_cmp_gt_i32_e64 s0, s10, v42
	v_ashrrev_i32_e32 v5, 31, v4
	v_subrev_nc_u32_e32 v51, s9, v42
	v_sub_f32_e32 v43, v1, v44
	s_and_b32 s0, vcc_lo, s0
	s_delay_alu instid0(SALU_CYCLE_1) | instskip(NEXT) | instid1(VALU_DEP_1)
	s_and_b32 vcc_lo, s17, s0
	v_mul_f32_e32 v1, 0x3fb8aa3b, v43
	s_delay_alu instid0(VALU_DEP_1) | instskip(SKIP_1) | instid1(VALU_DEP_2)
	v_fma_f32 v3, 0x3fb8aa3b, v43, -v1
	v_rndne_f32_e32 v45, v1
	v_fmac_f32_e32 v3, 0x32a5705f, v43
	s_delay_alu instid0(VALU_DEP_2) | instskip(SKIP_2) | instid1(VALU_DEP_3)
	v_sub_f32_e32 v1, v1, v45
	v_cvt_i32_f32_e32 v50, v45
	v_lshlrev_b64 v[45:46], 2, v[4:5]
	v_add_f32_e32 v1, v1, v3
	v_ashrrev_i32_e32 v3, 31, v2
	s_delay_alu instid0(VALU_DEP_2) | instskip(SKIP_1) | instid1(VALU_DEP_2)
	v_exp_f32_e32 v49, v1
	v_ashrrev_i32_e32 v1, 31, v0
	v_lshlrev_b64 v[47:48], 2, v[2:3]
	s_waitcnt_depctr 0xfff
	v_ldexp_f32 v3, v49, v50
	v_lshlrev_b64 v[49:50], 2, v[0:1]
	v_cndmask_b32_e32 v1, 64, v51, vcc_lo
	v_cmp_ngt_f32_e32 vcc_lo, 0xc2ce8ed0, v43
	s_delay_alu instid0(VALU_DEP_4) | instskip(SKIP_3) | instid1(VALU_DEP_4)
	v_cndmask_b32_e32 v3, 0, v3, vcc_lo
	v_add_co_u32 v45, vcc_lo, s12, v45
	v_add_co_ci_u32_e32 v46, vcc_lo, s13, v46, vcc_lo
	v_cmp_nlt_f32_e32 vcc_lo, 0x42b17218, v43
	v_cndmask_b32_e32 v3, 0x7f800000, v3, vcc_lo
	s_waitcnt lgkmcnt(0)
	v_add_co_u32 v47, vcc_lo, s4, v47
	v_add_co_ci_u32_e32 v48, vcc_lo, s5, v48, vcc_lo
	v_add_co_u32 v49, vcc_lo, s6, v49
	v_add_f32_e32 v13, v13, v3
	v_add_co_ci_u32_e32 v50, vcc_lo, s7, v50, vcc_lo
	global_store_b32 v[45:46], v3, off
	global_store_b32 v[47:48], v1, off
	;; [unrolled: 1-line block ×3, first 2 shown]
.LBB270_16:                             ;   in Loop: Header=BB270_14 Depth=1
	s_or_b32 exec_lo, exec_lo, s1
	s_delay_alu instid0(VALU_DEP_1) | instskip(SKIP_1) | instid1(VALU_DEP_1)
	v_ashrrev_i32_e32 v3, 31, v42
	s_mov_b32 s0, exec_lo
	v_lshrrev_b32_e32 v1, 28, v3
	s_delay_alu instid0(VALU_DEP_1) | instskip(NEXT) | instid1(VALU_DEP_1)
	v_add_nc_u32_e32 v1, v42, v1
	v_ashrrev_i32_e32 v1, 4, v1
	s_delay_alu instid0(VALU_DEP_1) | instskip(NEXT) | instid1(VALU_DEP_1)
	v_lshrrev_b32_e32 v5, 30, v1
	v_add_nc_u32_e32 v5, v1, v5
	s_delay_alu instid0(VALU_DEP_1) | instskip(NEXT) | instid1(VALU_DEP_1)
	v_and_b32_e32 v5, -4, v5
	v_sub_nc_u32_e32 v5, v1, v5
	s_delay_alu instid0(VALU_DEP_1)
	v_cmpx_eq_u32_e64 v11, v5
	s_cbranch_execz .LBB270_13
; %bb.17:                               ;   in Loop: Header=BB270_14 Depth=1
	v_lshrrev_b32_e32 v3, 26, v3
	v_lshlrev_b32_e32 v1, 4, v1
	s_delay_alu instid0(VALU_DEP_2) | instskip(NEXT) | instid1(VALU_DEP_2)
	v_add_nc_u32_e32 v3, v42, v3
	v_sub_nc_u32_e32 v1, v42, v1
	s_delay_alu instid0(VALU_DEP_2) | instskip(NEXT) | instid1(VALU_DEP_1)
	v_ashrrev_i32_e32 v3, 6, v3
	v_lshl_add_u32 v1, v3, 4, v1
	s_delay_alu instid0(VALU_DEP_1)
	v_cmp_ne_u32_e32 vcc_lo, 15, v1
	v_cndmask_b32_e32 v40, 0xff800000, v40, vcc_lo
	v_cmp_ne_u32_e32 vcc_lo, 14, v1
	v_cndmask_b32_e32 v38, 0xff800000, v38, vcc_lo
	;; [unrolled: 2-line block ×16, first 2 shown]
	s_branch .LBB270_13
.LBB270_18:
	v_cmp_neq_f32_e32 vcc_lo, 0, v13
	s_and_b32 s0, s2, vcc_lo
	s_delay_alu instid0(SALU_CYCLE_1)
	s_and_b32 exec_lo, exec_lo, s0
	s_cbranch_execz .LBB270_22
; %bb.19:
	s_and_not1_b32 vcc_lo, exec_lo, s3
	s_cbranch_vccnz .LBB270_22
; %bb.20:
	v_div_scale_f32 v1, null, v13, v13, 1.0
	v_div_scale_f32 v3, vcc_lo, 1.0, v13, 1.0
	s_delay_alu instid0(VALU_DEP_2) | instskip(SKIP_2) | instid1(VALU_DEP_1)
	v_rcp_f32_e32 v2, v1
	s_waitcnt_depctr 0xfff
	v_fma_f32 v0, -v1, v2, 1.0
	v_fmac_f32_e32 v2, v0, v2
	v_mul_lo_u32 v0, v10, s11
	s_delay_alu instid0(VALU_DEP_2) | instskip(NEXT) | instid1(VALU_DEP_1)
	v_mul_f32_e32 v4, v3, v2
	v_fma_f32 v5, -v1, v4, v3
	s_delay_alu instid0(VALU_DEP_1) | instskip(NEXT) | instid1(VALU_DEP_1)
	v_fmac_f32_e32 v4, v5, v2
	v_fma_f32 v3, -v1, v4, v3
	v_ashrrev_i32_e32 v1, 31, v0
	s_delay_alu instid0(VALU_DEP_2) | instskip(NEXT) | instid1(VALU_DEP_2)
	v_div_fmas_f32 v2, v3, v2, v4
	v_lshlrev_b64 v[0:1], 2, v[0:1]
	s_delay_alu instid0(VALU_DEP_2) | instskip(NEXT) | instid1(VALU_DEP_2)
	v_div_fixup_f32 v2, v2, v13, 1.0
	v_add_co_u32 v0, vcc_lo, s12, v0
	s_delay_alu instid0(VALU_DEP_3)
	v_add_co_ci_u32_e32 v1, vcc_lo, s13, v1, vcc_lo
.LBB270_21:                             ; =>This Inner Loop Header: Depth=1
	global_load_b32 v3, v[0:1], off
	s_add_i32 s8, s8, -1
	s_delay_alu instid0(SALU_CYCLE_1)
	s_cmp_lg_u32 s8, 0
	s_waitcnt vmcnt(0)
	v_mul_f32_e32 v3, v2, v3
	global_store_b32 v[0:1], v3, off
	v_add_co_u32 v0, vcc_lo, v0, 4
	v_add_co_ci_u32_e32 v1, vcc_lo, 0, v1, vcc_lo
	s_cbranch_scc1 .LBB270_21
.LBB270_22:
	s_nop 0
	s_sendmsg sendmsg(MSG_DEALLOC_VGPRS)
	s_endpgm
	.section	.rodata,"a",@progbits
	.p2align	6, 0x0
	.amdhsa_kernel _ZN4vllm3moe17topkGatingSoftmaxItLi16ELi64ELi8ELi32ELb1ELi1ELNS0_23SharedExpertScoringFuncE1EEEvPKT_PKbPfiPiS9_iiiiii
		.amdhsa_group_segment_fixed_size 0
		.amdhsa_private_segment_fixed_size 0
		.amdhsa_kernarg_size 72
		.amdhsa_user_sgpr_count 15
		.amdhsa_user_sgpr_dispatch_ptr 0
		.amdhsa_user_sgpr_queue_ptr 0
		.amdhsa_user_sgpr_kernarg_segment_ptr 1
		.amdhsa_user_sgpr_dispatch_id 0
		.amdhsa_user_sgpr_private_segment_size 0
		.amdhsa_wavefront_size32 1
		.amdhsa_uses_dynamic_stack 0
		.amdhsa_enable_private_segment 0
		.amdhsa_system_sgpr_workgroup_id_x 1
		.amdhsa_system_sgpr_workgroup_id_y 0
		.amdhsa_system_sgpr_workgroup_id_z 0
		.amdhsa_system_sgpr_workgroup_info 0
		.amdhsa_system_vgpr_workitem_id 1
		.amdhsa_next_free_vgpr 53
		.amdhsa_next_free_sgpr 19
		.amdhsa_reserve_vcc 1
		.amdhsa_float_round_mode_32 0
		.amdhsa_float_round_mode_16_64 0
		.amdhsa_float_denorm_mode_32 3
		.amdhsa_float_denorm_mode_16_64 3
		.amdhsa_dx10_clamp 1
		.amdhsa_ieee_mode 1
		.amdhsa_fp16_overflow 0
		.amdhsa_workgroup_processor_mode 1
		.amdhsa_memory_ordered 1
		.amdhsa_forward_progress 0
		.amdhsa_shared_vgpr_count 0
		.amdhsa_exception_fp_ieee_invalid_op 0
		.amdhsa_exception_fp_denorm_src 0
		.amdhsa_exception_fp_ieee_div_zero 0
		.amdhsa_exception_fp_ieee_overflow 0
		.amdhsa_exception_fp_ieee_underflow 0
		.amdhsa_exception_fp_ieee_inexact 0
		.amdhsa_exception_int_div_zero 0
	.end_amdhsa_kernel
	.section	.text._ZN4vllm3moe17topkGatingSoftmaxItLi16ELi64ELi8ELi32ELb1ELi1ELNS0_23SharedExpertScoringFuncE1EEEvPKT_PKbPfiPiS9_iiiiii,"axG",@progbits,_ZN4vllm3moe17topkGatingSoftmaxItLi16ELi64ELi8ELi32ELb1ELi1ELNS0_23SharedExpertScoringFuncE1EEEvPKT_PKbPfiPiS9_iiiiii,comdat
.Lfunc_end270:
	.size	_ZN4vllm3moe17topkGatingSoftmaxItLi16ELi64ELi8ELi32ELb1ELi1ELNS0_23SharedExpertScoringFuncE1EEEvPKT_PKbPfiPiS9_iiiiii, .Lfunc_end270-_ZN4vllm3moe17topkGatingSoftmaxItLi16ELi64ELi8ELi32ELb1ELi1ELNS0_23SharedExpertScoringFuncE1EEEvPKT_PKbPfiPiS9_iiiiii
                                        ; -- End function
	.section	.AMDGPU.csdata,"",@progbits
; Kernel info:
; codeLenInByte = 3020
; NumSgprs: 21
; NumVgprs: 53
; ScratchSize: 0
; MemoryBound: 0
; FloatMode: 240
; IeeeMode: 1
; LDSByteSize: 0 bytes/workgroup (compile time only)
; SGPRBlocks: 2
; VGPRBlocks: 6
; NumSGPRsForWavesPerEU: 21
; NumVGPRsForWavesPerEU: 53
; Occupancy: 16
; WaveLimiterHint : 0
; COMPUTE_PGM_RSRC2:SCRATCH_EN: 0
; COMPUTE_PGM_RSRC2:USER_SGPR: 15
; COMPUTE_PGM_RSRC2:TRAP_HANDLER: 0
; COMPUTE_PGM_RSRC2:TGID_X_EN: 1
; COMPUTE_PGM_RSRC2:TGID_Y_EN: 0
; COMPUTE_PGM_RSRC2:TGID_Z_EN: 0
; COMPUTE_PGM_RSRC2:TIDIG_COMP_CNT: 1
	.section	.text._ZN4vllm3moe17topkGatingSoftmaxItLi16ELi64ELi8ELi32ELb0ELi1ELNS0_23SharedExpertScoringFuncE1EEEvPKT_PKbPfiPiS9_iiiiii,"axG",@progbits,_ZN4vllm3moe17topkGatingSoftmaxItLi16ELi64ELi8ELi32ELb0ELi1ELNS0_23SharedExpertScoringFuncE1EEEvPKT_PKbPfiPiS9_iiiiii,comdat
	.protected	_ZN4vllm3moe17topkGatingSoftmaxItLi16ELi64ELi8ELi32ELb0ELi1ELNS0_23SharedExpertScoringFuncE1EEEvPKT_PKbPfiPiS9_iiiiii ; -- Begin function _ZN4vllm3moe17topkGatingSoftmaxItLi16ELi64ELi8ELi32ELb0ELi1ELNS0_23SharedExpertScoringFuncE1EEEvPKT_PKbPfiPiS9_iiiiii
	.globl	_ZN4vllm3moe17topkGatingSoftmaxItLi16ELi64ELi8ELi32ELb0ELi1ELNS0_23SharedExpertScoringFuncE1EEEvPKT_PKbPfiPiS9_iiiiii
	.p2align	8
	.type	_ZN4vllm3moe17topkGatingSoftmaxItLi16ELi64ELi8ELi32ELb0ELi1ELNS0_23SharedExpertScoringFuncE1EEEvPKT_PKbPfiPiS9_iiiiii,@function
_ZN4vllm3moe17topkGatingSoftmaxItLi16ELi64ELi8ELi32ELb0ELi1ELNS0_23SharedExpertScoringFuncE1EEEvPKT_PKbPfiPiS9_iiiiii: ; @_ZN4vllm3moe17topkGatingSoftmaxItLi16ELi64ELi8ELi32ELb0ELi1ELNS0_23SharedExpertScoringFuncE1EEEvPKT_PKbPfiPiS9_iiiiii
; %bb.0:
	s_load_b32 s16, s[0:1], 0x18
	v_bfe_u32 v1, v0, 10, 10
	v_and_b32_e32 v0, 0x3ff, v0
	s_lshl_b32 s18, s15, 6
	s_mov_b32 s2, exec_lo
	s_delay_alu instid0(VALU_DEP_2) | instskip(NEXT) | instid1(VALU_DEP_2)
	v_lshlrev_b32_e32 v41, 3, v1
	v_lshrrev_b32_e32 v42, 2, v0
	s_delay_alu instid0(VALU_DEP_1) | instskip(SKIP_1) | instid1(VALU_DEP_1)
	v_add3_u32 v10, s18, v41, v42
	s_waitcnt lgkmcnt(0)
	v_cmpx_gt_i32_e64 s16, v10
	s_cbranch_execz .LBB271_23
; %bb.1:
	s_clause 0x1
	s_load_b128 s[4:7], s[0:1], 0x0
	s_load_b64 s[12:13], s[0:1], 0x10
	s_waitcnt lgkmcnt(0)
	s_cmp_eq_u64 s[6:7], 0
	s_cbranch_scc1 .LBB271_3
; %bb.2:
	v_ashrrev_i32_e32 v2, 31, v10
	v_add_co_u32 v1, vcc_lo, s6, v10
	s_delay_alu instid0(VALU_DEP_2) | instskip(SKIP_3) | instid1(VALU_DEP_1)
	v_add_co_ci_u32_e32 v2, vcc_lo, s7, v2, vcc_lo
	global_load_u8 v1, v[1:2], off
	s_waitcnt vmcnt(0)
	v_and_b32_e32 v1, 1, v1
	v_cmp_eq_u32_e32 vcc_lo, 1, v1
	s_xor_b32 s2, vcc_lo, -1
	s_delay_alu instid0(SALU_CYCLE_1)
	s_or_not1_b32 s17, s2, exec_lo
	s_branch .LBB271_4
.LBB271_3:
	s_mov_b32 s17, -1
.LBB271_4:
	s_clause 0x1
	s_load_b64 s[14:15], s[0:1], 0x40
	s_load_b128 s[8:11], s[0:1], 0x30
	v_and_b32_e32 v21, 3, v0
	s_delay_alu instid0(VALU_DEP_1) | instskip(SKIP_3) | instid1(VALU_DEP_1)
	v_dual_mov_b32 v11, 0 :: v_dual_lshlrev_b32 v22, 4, v21
	v_cmp_eq_u32_e64 s2, 0, v21
	s_waitcnt lgkmcnt(0)
	v_mul_lo_u32 v1, v10, s15
	v_ashrrev_i32_e32 v2, 31, v1
	s_delay_alu instid0(VALU_DEP_1) | instskip(SKIP_1) | instid1(VALU_DEP_2)
	v_lshlrev_b64 v[0:1], 1, v[1:2]
	v_lshlrev_b32_e32 v2, 5, v21
	v_add_co_u32 v8, vcc_lo, s4, v0
	s_delay_alu instid0(VALU_DEP_3) | instskip(NEXT) | instid1(VALU_DEP_2)
	v_add_co_ci_u32_e32 v9, vcc_lo, s5, v1, vcc_lo
	v_add_co_u32 v4, vcc_lo, v8, v2
	s_delay_alu instid0(VALU_DEP_2)
	v_add_co_ci_u32_e32 v5, vcc_lo, 0, v9, vcc_lo
	s_clause 0x1
	global_load_b128 v[0:3], v[4:5], off offset:16
	global_load_b128 v[4:7], v[4:5], off
	s_and_saveexec_b32 s3, s2
	s_cbranch_execz .LBB271_6
; %bb.5:
	global_load_u16 v8, v[8:9], off offset:128
	s_waitcnt vmcnt(0)
	v_cvt_f32_u32_e32 v8, v8
	s_delay_alu instid0(VALU_DEP_1) | instskip(SKIP_1) | instid1(VALU_DEP_2)
	v_mul_f32_e32 v9, 0xbfb8aa3b, v8
	v_cmp_nlt_f32_e32 vcc_lo, 0x42ce8ed0, v8
	v_rndne_f32_e32 v12, v9
	v_fma_f32 v13, 0xbfb8aa3b, v8, -v9
	s_delay_alu instid0(VALU_DEP_2) | instskip(NEXT) | instid1(VALU_DEP_2)
	v_sub_f32_e32 v9, v9, v12
	v_fmamk_f32 v13, v8, 0xb2a5705f, v13
	v_cvt_i32_f32_e32 v12, v12
	s_delay_alu instid0(VALU_DEP_2) | instskip(NEXT) | instid1(VALU_DEP_1)
	v_add_f32_e32 v9, v9, v13
	v_exp_f32_e32 v9, v9
	s_waitcnt_depctr 0xfff
	v_ldexp_f32 v9, v9, v12
	s_delay_alu instid0(VALU_DEP_1) | instskip(SKIP_1) | instid1(VALU_DEP_2)
	v_cndmask_b32_e32 v9, 0, v9, vcc_lo
	v_cmp_ngt_f32_e32 vcc_lo, 0xc2b17218, v8
	v_cndmask_b32_e32 v8, 0x7f800000, v9, vcc_lo
	s_delay_alu instid0(VALU_DEP_1) | instskip(NEXT) | instid1(VALU_DEP_1)
	v_add_f32_e32 v12, 1.0, v8
	v_div_scale_f32 v13, null, v12, v12, 1.0
	v_div_scale_f32 v15, vcc_lo, 1.0, v12, 1.0
	s_delay_alu instid0(VALU_DEP_2) | instskip(SKIP_2) | instid1(VALU_DEP_1)
	v_rcp_f32_e32 v14, v13
	s_waitcnt_depctr 0xfff
	v_fma_f32 v8, -v13, v14, 1.0
	v_fmac_f32_e32 v14, v8, v14
	v_mad_u64_u32 v[8:9], null, v10, s11, s[8:9]
	s_delay_alu instid0(VALU_DEP_2) | instskip(NEXT) | instid1(VALU_DEP_2)
	v_mul_f32_e32 v16, v15, v14
	v_ashrrev_i32_e32 v9, 31, v8
	s_delay_alu instid0(VALU_DEP_2) | instskip(NEXT) | instid1(VALU_DEP_2)
	v_fma_f32 v17, -v13, v16, v15
	v_lshlrev_b64 v[8:9], 2, v[8:9]
	s_delay_alu instid0(VALU_DEP_2) | instskip(NEXT) | instid1(VALU_DEP_1)
	v_fmac_f32_e32 v16, v17, v14
	v_fma_f32 v13, -v13, v16, v15
	s_delay_alu instid0(VALU_DEP_1) | instskip(NEXT) | instid1(VALU_DEP_4)
	v_div_fmas_f32 v13, v13, v14, v16
	v_add_co_u32 v8, vcc_lo, s12, v8
	v_add_co_ci_u32_e32 v9, vcc_lo, s13, v9, vcc_lo
	s_delay_alu instid0(VALU_DEP_3)
	v_div_fixup_f32 v12, v13, v12, 1.0
	global_store_b32 v[8:9], v12, off
.LBB271_6:
	s_or_b32 exec_lo, exec_lo, s3
	s_waitcnt vmcnt(0)
	v_and_b32_e32 v8, 0xffff, v4
	v_lshrrev_b32_e32 v4, 16, v4
	v_or_b32_e32 v28, 1, v22
	v_or_b32_e32 v29, 2, v22
	;; [unrolled: 1-line block ×3, first 2 shown]
	v_cvt_f32_u32_e32 v25, v8
	v_cvt_f32_u32_e32 v23, v4
	v_or_b32_e32 v31, 4, v22
	v_or_b32_e32 v32, 5, v22
	;; [unrolled: 1-line block ×4, first 2 shown]
	v_cmp_lt_f32_e32 vcc_lo, v25, v23
	v_or_b32_e32 v35, 8, v22
	v_or_b32_e32 v36, 9, v22
	;; [unrolled: 1-line block ×4, first 2 shown]
	v_cndmask_b32_e32 v8, v25, v23, vcc_lo
	v_and_b32_e32 v4, 0xffff, v5
	v_lshrrev_b32_e32 v5, 16, v5
	v_or_b32_e32 v39, 12, v22
	v_or_b32_e32 v40, 13, v22
	;; [unrolled: 1-line block ×3, first 2 shown]
	v_cvt_f32_u32_e32 v27, v4
	v_cndmask_b32_e32 v4, v22, v28, vcc_lo
	v_cvt_f32_u32_e32 v26, v5
	v_or_b32_e32 v44, 15, v22
	s_delay_alu instid0(VALU_DEP_4) | instskip(SKIP_2) | instid1(VALU_DEP_2)
	v_cmp_lt_f32_e32 vcc_lo, v8, v27
	v_dual_cndmask_b32 v5, v8, v27 :: v_dual_and_b32 v8, 0xffff, v6
	v_lshrrev_b32_e32 v6, 16, v6
	v_cvt_f32_u32_e32 v24, v8
	v_cndmask_b32_e32 v4, v4, v29, vcc_lo
	s_delay_alu instid0(VALU_DEP_4) | instskip(NEXT) | instid1(VALU_DEP_4)
	v_cmp_lt_f32_e32 vcc_lo, v5, v26
	v_cvt_f32_u32_e32 v20, v6
	v_dual_cndmask_b32 v5, v5, v26 :: v_dual_and_b32 v6, 0xffff, v7
	s_delay_alu instid0(VALU_DEP_4) | instskip(NEXT) | instid1(VALU_DEP_2)
	v_cndmask_b32_e32 v4, v4, v30, vcc_lo
	v_cvt_f32_u32_e32 v19, v6
	v_lshrrev_b32_e32 v6, 16, v7
	s_delay_alu instid0(VALU_DEP_4) | instskip(NEXT) | instid1(VALU_DEP_2)
	v_cmp_lt_f32_e32 vcc_lo, v5, v24
	v_cvt_f32_u32_e32 v18, v6
	v_and_b32_e32 v6, 0xffff, v0
	v_dual_cndmask_b32 v5, v5, v24 :: v_dual_cndmask_b32 v4, v4, v31
	v_lshrrev_b32_e32 v0, 16, v0
	s_delay_alu instid0(VALU_DEP_3) | instskip(NEXT) | instid1(VALU_DEP_3)
	v_cvt_f32_u32_e32 v17, v6
	v_cmp_lt_f32_e32 vcc_lo, v5, v20
	s_delay_alu instid0(VALU_DEP_3) | instskip(SKIP_2) | instid1(VALU_DEP_2)
	v_cvt_f32_u32_e32 v16, v0
	v_cndmask_b32_e32 v5, v5, v20, vcc_lo
	v_cndmask_b32_e32 v4, v4, v32, vcc_lo
	v_cmp_lt_f32_e32 vcc_lo, v5, v19
	s_delay_alu instid0(VALU_DEP_2) | instskip(NEXT) | instid1(VALU_DEP_1)
	v_dual_cndmask_b32 v5, v5, v19 :: v_dual_cndmask_b32 v4, v4, v33
	v_cmp_lt_f32_e32 vcc_lo, v5, v18
	v_cndmask_b32_e32 v5, v5, v18, vcc_lo
	s_delay_alu instid0(VALU_DEP_3) | instskip(NEXT) | instid1(VALU_DEP_2)
	v_cndmask_b32_e32 v4, v4, v34, vcc_lo
	v_cmp_lt_f32_e32 vcc_lo, v5, v17
	s_delay_alu instid0(VALU_DEP_2) | instskip(SKIP_3) | instid1(VALU_DEP_3)
	v_cndmask_b32_e32 v0, v4, v35, vcc_lo
	v_cndmask_b32_e32 v4, v5, v17, vcc_lo
	v_and_b32_e32 v5, 0xffff, v1
	v_lshrrev_b32_e32 v1, 16, v1
	v_cmp_lt_f32_e32 vcc_lo, v4, v16
	s_delay_alu instid0(VALU_DEP_3) | instskip(NEXT) | instid1(VALU_DEP_3)
	v_cvt_f32_u32_e32 v15, v5
	v_cvt_f32_u32_e32 v14, v1
	v_cndmask_b32_e32 v4, v4, v16, vcc_lo
	v_cndmask_b32_e32 v0, v0, v36, vcc_lo
	s_delay_alu instid0(VALU_DEP_2) | instskip(SKIP_1) | instid1(VALU_DEP_3)
	v_cmp_lt_f32_e32 vcc_lo, v4, v15
	v_cndmask_b32_e32 v1, v4, v15, vcc_lo
	v_cndmask_b32_e32 v0, v0, v37, vcc_lo
	v_and_b32_e32 v4, 0xffff, v2
	v_lshrrev_b32_e32 v2, 16, v2
	s_delay_alu instid0(VALU_DEP_4) | instskip(NEXT) | instid1(VALU_DEP_3)
	v_cmp_lt_f32_e32 vcc_lo, v1, v14
	v_cvt_f32_u32_e32 v13, v4
	s_delay_alu instid0(VALU_DEP_3) | instskip(SKIP_2) | instid1(VALU_DEP_2)
	v_cvt_f32_u32_e32 v9, v2
	v_dual_cndmask_b32 v1, v1, v14 :: v_dual_and_b32 v2, 0xffff, v3
	v_cndmask_b32_e32 v0, v0, v38, vcc_lo
	v_cvt_f32_u32_e32 v8, v2
	s_delay_alu instid0(VALU_DEP_3) | instskip(SKIP_1) | instid1(VALU_DEP_4)
	v_cmp_lt_f32_e32 vcc_lo, v1, v13
	v_lshrrev_b32_e32 v2, 16, v3
	v_dual_cndmask_b32 v1, v1, v13 :: v_dual_cndmask_b32 v0, v0, v39
	s_delay_alu instid0(VALU_DEP_2) | instskip(NEXT) | instid1(VALU_DEP_2)
	v_cvt_f32_u32_e32 v7, v2
	v_cmp_lt_f32_e32 vcc_lo, v1, v9
	s_delay_alu instid0(VALU_DEP_3) | instskip(NEXT) | instid1(VALU_DEP_1)
	v_dual_cndmask_b32 v1, v1, v9 :: v_dual_cndmask_b32 v0, v0, v40
	v_cmp_lt_f32_e32 vcc_lo, v1, v8
	s_delay_alu instid0(VALU_DEP_2) | instskip(NEXT) | instid1(VALU_DEP_1)
	v_dual_cndmask_b32 v1, v1, v8 :: v_dual_cndmask_b32 v0, v0, v43
	v_cmp_lt_f32_e32 vcc_lo, v1, v7
	s_delay_alu instid0(VALU_DEP_2) | instskip(NEXT) | instid1(VALU_DEP_1)
	v_dual_cndmask_b32 v0, v0, v44 :: v_dual_cndmask_b32 v1, v1, v7
	v_mov_b32_dpp v3, v0 quad_perm:[1,0,3,2] row_mask:0xf bank_mask:0xf
	s_delay_alu instid0(VALU_DEP_2) | instskip(NEXT) | instid1(VALU_DEP_2)
	v_mov_b32_dpp v2, v1 quad_perm:[1,0,3,2] row_mask:0xf bank_mask:0xf
	v_cmp_lt_i32_e64 s3, v3, v0
	s_delay_alu instid0(VALU_DEP_2) | instskip(SKIP_1) | instid1(VALU_DEP_3)
	v_cmp_eq_f32_e32 vcc_lo, v1, v2
	v_cmp_lt_f32_e64 s4, v1, v2
	s_and_b32 s3, vcc_lo, s3
	s_delay_alu instid0(VALU_DEP_1) | instid1(SALU_CYCLE_1)
	s_or_b32 vcc_lo, s4, s3
	v_dual_cndmask_b32 v1, v1, v2 :: v_dual_cndmask_b32 v0, v0, v3
	s_delay_alu instid0(VALU_DEP_1) | instskip(NEXT) | instid1(VALU_DEP_2)
	v_mov_b32_dpp v3, v1 quad_perm:[2,3,0,1] row_mask:0xf bank_mask:0xf
	v_mov_b32_dpp v2, v0 quad_perm:[2,3,0,1] row_mask:0xf bank_mask:0xf
	s_delay_alu instid0(VALU_DEP_2) | instskip(NEXT) | instid1(VALU_DEP_2)
	v_cmp_eq_f32_e32 vcc_lo, v1, v3
	v_cmp_lt_i32_e64 s3, v2, v0
	v_cmp_lt_f32_e64 s4, v1, v3
	s_delay_alu instid0(VALU_DEP_2)
	s_and_b32 s3, vcc_lo, s3
	s_delay_alu instid0(VALU_DEP_1) | instid1(SALU_CYCLE_1)
	s_or_b32 s3, s4, s3
	s_cmp_gt_i32 s8, 0
	v_cndmask_b32_e64 v12, v1, v3, s3
	s_cselect_b32 s15, -1, 0
	s_delay_alu instid0(SALU_CYCLE_1)
	s_and_b32 vcc_lo, exec_lo, s15
	s_cbranch_vccz .LBB271_18
; %bb.7:
	s_load_b128 s[4:7], s[0:1], 0x20
	v_mul_lo_u32 v1, v10, s11
	v_mul_lo_u32 v3, v10, s14
	v_mul_lo_u32 v5, v10, s8
	v_cndmask_b32_e64 v0, v0, v2, s3
	v_mov_b32_e32 v11, 0
	s_and_saveexec_b32 s1, s2
	s_cbranch_execz .LBB271_9
; %bb.8:
	v_sub_f32_e32 v11, v12, v12
	v_cmp_le_i32_e32 vcc_lo, s9, v0
	v_cmp_gt_i32_e64 s0, s10, v0
	v_subrev_nc_u32_e32 v51, s9, v0
	v_ashrrev_i32_e32 v6, 31, v5
	v_mul_f32_e32 v2, 0x3fb8aa3b, v11
	s_delay_alu instid0(VALU_DEP_4) | instskip(NEXT) | instid1(SALU_CYCLE_1)
	s_and_b32 s0, vcc_lo, s0
	s_and_b32 vcc_lo, s17, s0
	s_delay_alu instid0(VALU_DEP_1) | instskip(SKIP_2) | instid1(VALU_DEP_3)
	v_rndne_f32_e32 v47, v2
	v_fma_f32 v4, 0x3fb8aa3b, v11, -v2
	v_lshlrev_b64 v[49:50], 2, v[5:6]
	v_sub_f32_e32 v2, v2, v47
	s_delay_alu instid0(VALU_DEP_3) | instskip(NEXT) | instid1(VALU_DEP_1)
	v_fmamk_f32 v4, v11, 0x32a5705f, v4
	v_add_f32_e32 v4, v2, v4
	v_ashrrev_i32_e32 v2, 31, v1
	s_delay_alu instid0(VALU_DEP_2) | instskip(NEXT) | instid1(VALU_DEP_1)
	v_exp_f32_e32 v52, v4
	v_lshlrev_b64 v[45:46], 2, v[1:2]
	v_ashrrev_i32_e32 v4, 31, v3
	v_cvt_i32_f32_e32 v2, v47
	s_delay_alu instid0(VALU_DEP_2) | instskip(SKIP_3) | instid1(TRANS32_DEP_1)
	v_lshlrev_b64 v[47:48], 2, v[3:4]
	v_cndmask_b32_e32 v4, 64, v51, vcc_lo
	v_add_co_u32 v45, vcc_lo, s12, v45
	v_add_co_ci_u32_e32 v46, vcc_lo, s13, v46, vcc_lo
	v_ldexp_f32 v2, v52, v2
	v_cmp_ngt_f32_e32 vcc_lo, 0xc2ce8ed0, v11
	s_delay_alu instid0(VALU_DEP_2)
	v_cndmask_b32_e32 v2, 0, v2, vcc_lo
	s_waitcnt lgkmcnt(0)
	v_add_co_u32 v47, vcc_lo, s4, v47
	v_add_co_ci_u32_e32 v48, vcc_lo, s5, v48, vcc_lo
	v_cmp_nlt_f32_e32 vcc_lo, 0x42b17218, v11
	v_cndmask_b32_e32 v11, 0x7f800000, v2, vcc_lo
	v_add_co_u32 v49, vcc_lo, s6, v49
	v_add_co_ci_u32_e32 v50, vcc_lo, s7, v50, vcc_lo
	global_store_b32 v[47:48], v4, off
	global_store_b32 v[45:46], v11, off
	;; [unrolled: 1-line block ×3, first 2 shown]
.LBB271_9:
	s_or_b32 exec_lo, exec_lo, s1
	v_ashrrev_i32_e32 v4, 31, v0
	s_mov_b32 s0, exec_lo
	s_delay_alu instid0(VALU_DEP_1) | instskip(NEXT) | instid1(VALU_DEP_1)
	v_lshrrev_b32_e32 v2, 28, v4
	v_add_nc_u32_e32 v2, v0, v2
	s_delay_alu instid0(VALU_DEP_1) | instskip(NEXT) | instid1(VALU_DEP_1)
	v_ashrrev_i32_e32 v2, 4, v2
	v_lshrrev_b32_e32 v6, 30, v2
	s_delay_alu instid0(VALU_DEP_1) | instskip(NEXT) | instid1(VALU_DEP_1)
	v_add_nc_u32_e32 v6, v2, v6
	v_and_b32_e32 v6, -4, v6
	s_delay_alu instid0(VALU_DEP_1) | instskip(NEXT) | instid1(VALU_DEP_1)
	v_sub_nc_u32_e32 v6, v2, v6
	v_cmpx_eq_u32_e64 v21, v6
	s_cbranch_execz .LBB271_11
; %bb.10:
	v_lshrrev_b32_e32 v4, 26, v4
	v_lshlrev_b32_e32 v2, 4, v2
	s_delay_alu instid0(VALU_DEP_2) | instskip(NEXT) | instid1(VALU_DEP_2)
	v_add_nc_u32_e32 v4, v0, v4
	v_sub_nc_u32_e32 v0, v0, v2
	s_delay_alu instid0(VALU_DEP_2) | instskip(NEXT) | instid1(VALU_DEP_1)
	v_ashrrev_i32_e32 v2, 6, v4
	v_lshl_add_u32 v0, v2, 4, v0
	s_delay_alu instid0(VALU_DEP_1)
	v_cmp_ne_u32_e32 vcc_lo, 15, v0
	v_cndmask_b32_e32 v7, 0xff800000, v7, vcc_lo
	v_cmp_ne_u32_e32 vcc_lo, 14, v0
	v_cndmask_b32_e32 v8, 0xff800000, v8, vcc_lo
	v_cmp_ne_u32_e32 vcc_lo, 13, v0
	v_cndmask_b32_e32 v9, 0xff800000, v9, vcc_lo
	v_cmp_ne_u32_e32 vcc_lo, 12, v0
	v_cndmask_b32_e32 v13, 0xff800000, v13, vcc_lo
	v_cmp_ne_u32_e32 vcc_lo, 11, v0
	v_cndmask_b32_e32 v14, 0xff800000, v14, vcc_lo
	v_cmp_ne_u32_e32 vcc_lo, 10, v0
	v_cndmask_b32_e32 v15, 0xff800000, v15, vcc_lo
	v_cmp_ne_u32_e32 vcc_lo, 9, v0
	v_cndmask_b32_e32 v16, 0xff800000, v16, vcc_lo
	v_cmp_ne_u32_e32 vcc_lo, 8, v0
	v_cndmask_b32_e32 v17, 0xff800000, v17, vcc_lo
	v_cmp_ne_u32_e32 vcc_lo, 7, v0
	v_cndmask_b32_e32 v18, 0xff800000, v18, vcc_lo
	v_cmp_ne_u32_e32 vcc_lo, 6, v0
	v_cndmask_b32_e32 v19, 0xff800000, v19, vcc_lo
	v_cmp_ne_u32_e32 vcc_lo, 5, v0
	v_cndmask_b32_e32 v20, 0xff800000, v20, vcc_lo
	v_cmp_ne_u32_e32 vcc_lo, 4, v0
	v_cndmask_b32_e32 v24, 0xff800000, v24, vcc_lo
	v_cmp_ne_u32_e32 vcc_lo, 3, v0
	v_cndmask_b32_e32 v26, 0xff800000, v26, vcc_lo
	v_cmp_ne_u32_e32 vcc_lo, 2, v0
	v_cndmask_b32_e32 v27, 0xff800000, v27, vcc_lo
	v_cmp_ne_u32_e32 vcc_lo, 1, v0
	v_cndmask_b32_e32 v23, 0xff800000, v23, vcc_lo
	v_cmp_ne_u32_e32 vcc_lo, 0, v0
	v_cndmask_b32_e32 v25, 0xff800000, v25, vcc_lo
.LBB271_11:
	s_or_b32 exec_lo, exec_lo, s0
	s_cmp_eq_u32 s8, 1
	s_cbranch_scc1 .LBB271_18
; %bb.12:
	s_add_i32 s18, s18, s16
	v_add_nc_u32_e32 v0, 1, v5
	v_add3_u32 v6, s18, v42, v41
	v_add_nc_u32_e32 v2, 1, v3
	v_add_nc_u32_e32 v4, 1, v1
	s_add_i32 s3, s8, -1
	s_branch .LBB271_14
.LBB271_13:                             ;   in Loop: Header=BB271_14 Depth=1
	s_or_b32 exec_lo, exec_lo, s0
	v_add_nc_u32_e32 v6, s16, v6
	v_add_nc_u32_e32 v0, 1, v0
	;; [unrolled: 1-line block ×4, first 2 shown]
	s_add_i32 s3, s3, -1
	s_delay_alu instid0(SALU_CYCLE_1)
	s_cmp_eq_u32 s3, 0
	s_cbranch_scc1 .LBB271_18
.LBB271_14:                             ; =>This Inner Loop Header: Depth=1
	v_cmp_gt_f32_e32 vcc_lo, v23, v25
	v_cndmask_b32_e32 v3, v25, v23, vcc_lo
	v_cndmask_b32_e32 v1, v22, v28, vcc_lo
	s_delay_alu instid0(VALU_DEP_2) | instskip(SKIP_1) | instid1(VALU_DEP_3)
	v_cmp_gt_f32_e32 vcc_lo, v27, v3
	v_cndmask_b32_e32 v3, v3, v27, vcc_lo
	v_cndmask_b32_e32 v1, v1, v29, vcc_lo
	s_delay_alu instid0(VALU_DEP_2) | instskip(SKIP_1) | instid1(VALU_DEP_3)
	;; [unrolled: 4-line block ×13, first 2 shown]
	v_cmp_gt_f32_e32 vcc_lo, v8, v3
	v_cndmask_b32_e32 v3, v3, v8, vcc_lo
	v_cndmask_b32_e32 v1, v1, v43, vcc_lo
	s_delay_alu instid0(VALU_DEP_2) | instskip(NEXT) | instid1(VALU_DEP_2)
	v_cmp_gt_f32_e32 vcc_lo, v7, v3
	v_cndmask_b32_e32 v5, v1, v44, vcc_lo
	v_cndmask_b32_e32 v1, v3, v7, vcc_lo
	s_delay_alu instid0(VALU_DEP_2) | instskip(NEXT) | instid1(VALU_DEP_2)
	v_mov_b32_dpp v3, v5 quad_perm:[1,0,3,2] row_mask:0xf bank_mask:0xf
	v_mov_b32_dpp v41, v1 quad_perm:[1,0,3,2] row_mask:0xf bank_mask:0xf
	s_delay_alu instid0(VALU_DEP_2) | instskip(NEXT) | instid1(VALU_DEP_2)
	v_cmp_lt_i32_e32 vcc_lo, v3, v5
	v_cmp_eq_f32_e64 s0, v1, v41
	v_cmp_lt_f32_e64 s1, v1, v41
	s_delay_alu instid0(VALU_DEP_2)
	s_and_b32 s0, s0, vcc_lo
	s_delay_alu instid0(VALU_DEP_1) | instid1(SALU_CYCLE_1)
	s_or_b32 vcc_lo, s1, s0
	v_cndmask_b32_e32 v1, v1, v41, vcc_lo
	v_cndmask_b32_e32 v5, v5, v3, vcc_lo
	s_delay_alu instid0(VALU_DEP_2) | instskip(NEXT) | instid1(VALU_DEP_2)
	v_mov_b32_dpp v3, v1 quad_perm:[2,3,0,1] row_mask:0xf bank_mask:0xf
	v_mov_b32_dpp v41, v5 quad_perm:[2,3,0,1] row_mask:0xf bank_mask:0xf
	s_delay_alu instid0(VALU_DEP_2) | instskip(NEXT) | instid1(VALU_DEP_2)
	v_cmp_eq_f32_e32 vcc_lo, v1, v3
	v_cmp_lt_i32_e64 s0, v41, v5
	v_cmp_lt_f32_e64 s1, v1, v3
	s_delay_alu instid0(VALU_DEP_2)
	s_and_b32 s0, vcc_lo, s0
	s_delay_alu instid0(VALU_DEP_1) | instid1(SALU_CYCLE_1)
	s_or_b32 vcc_lo, s1, s0
	v_cndmask_b32_e32 v41, v5, v41, vcc_lo
	s_and_saveexec_b32 s1, s2
	s_cbranch_execz .LBB271_16
; %bb.15:                               ;   in Loop: Header=BB271_14 Depth=1
	v_cndmask_b32_e32 v1, v1, v3, vcc_lo
	s_delay_alu instid0(VALU_DEP_2) | instskip(SKIP_3) | instid1(VALU_DEP_3)
	v_cmp_le_i32_e32 vcc_lo, s9, v41
	v_cmp_gt_i32_e64 s0, s10, v41
	v_subrev_nc_u32_e32 v51, s9, v41
	v_ashrrev_i32_e32 v5, 31, v4
	s_and_b32 s0, vcc_lo, s0
	s_delay_alu instid0(SALU_CYCLE_1) | instskip(SKIP_1) | instid1(VALU_DEP_1)
	s_and_b32 vcc_lo, s17, s0
	v_sub_f32_e32 v42, v1, v12
	v_mul_f32_e32 v1, 0x3fb8aa3b, v42
	s_delay_alu instid0(VALU_DEP_1) | instskip(SKIP_1) | instid1(VALU_DEP_2)
	v_fma_f32 v3, 0x3fb8aa3b, v42, -v1
	v_rndne_f32_e32 v45, v1
	v_fmac_f32_e32 v3, 0x32a5705f, v42
	s_delay_alu instid0(VALU_DEP_2) | instskip(SKIP_2) | instid1(VALU_DEP_3)
	v_sub_f32_e32 v1, v1, v45
	v_cvt_i32_f32_e32 v50, v45
	v_lshlrev_b64 v[45:46], 2, v[4:5]
	v_add_f32_e32 v1, v1, v3
	v_ashrrev_i32_e32 v3, 31, v2
	s_delay_alu instid0(VALU_DEP_2) | instskip(SKIP_1) | instid1(VALU_DEP_2)
	v_exp_f32_e32 v49, v1
	v_ashrrev_i32_e32 v1, 31, v0
	v_lshlrev_b64 v[47:48], 2, v[2:3]
	s_waitcnt_depctr 0xfff
	v_ldexp_f32 v3, v49, v50
	v_lshlrev_b64 v[49:50], 2, v[0:1]
	v_cndmask_b32_e32 v1, 64, v51, vcc_lo
	v_cmp_ngt_f32_e32 vcc_lo, 0xc2ce8ed0, v42
	s_delay_alu instid0(VALU_DEP_4) | instskip(SKIP_3) | instid1(VALU_DEP_4)
	v_cndmask_b32_e32 v3, 0, v3, vcc_lo
	v_add_co_u32 v45, vcc_lo, s12, v45
	v_add_co_ci_u32_e32 v46, vcc_lo, s13, v46, vcc_lo
	v_cmp_nlt_f32_e32 vcc_lo, 0x42b17218, v42
	v_cndmask_b32_e32 v3, 0x7f800000, v3, vcc_lo
	s_waitcnt lgkmcnt(0)
	v_add_co_u32 v47, vcc_lo, s4, v47
	v_add_co_ci_u32_e32 v48, vcc_lo, s5, v48, vcc_lo
	v_add_co_u32 v49, vcc_lo, s6, v49
	v_add_f32_e32 v11, v11, v3
	v_add_co_ci_u32_e32 v50, vcc_lo, s7, v50, vcc_lo
	global_store_b32 v[45:46], v3, off
	global_store_b32 v[47:48], v1, off
	;; [unrolled: 1-line block ×3, first 2 shown]
.LBB271_16:                             ;   in Loop: Header=BB271_14 Depth=1
	s_or_b32 exec_lo, exec_lo, s1
	s_delay_alu instid0(VALU_DEP_1) | instskip(SKIP_1) | instid1(VALU_DEP_1)
	v_ashrrev_i32_e32 v3, 31, v41
	s_mov_b32 s0, exec_lo
	v_lshrrev_b32_e32 v1, 28, v3
	s_delay_alu instid0(VALU_DEP_1) | instskip(NEXT) | instid1(VALU_DEP_1)
	v_add_nc_u32_e32 v1, v41, v1
	v_ashrrev_i32_e32 v1, 4, v1
	s_delay_alu instid0(VALU_DEP_1) | instskip(NEXT) | instid1(VALU_DEP_1)
	v_lshrrev_b32_e32 v5, 30, v1
	v_add_nc_u32_e32 v5, v1, v5
	s_delay_alu instid0(VALU_DEP_1) | instskip(NEXT) | instid1(VALU_DEP_1)
	v_and_b32_e32 v5, -4, v5
	v_sub_nc_u32_e32 v5, v1, v5
	s_delay_alu instid0(VALU_DEP_1)
	v_cmpx_eq_u32_e64 v21, v5
	s_cbranch_execz .LBB271_13
; %bb.17:                               ;   in Loop: Header=BB271_14 Depth=1
	v_lshrrev_b32_e32 v3, 26, v3
	v_lshlrev_b32_e32 v1, 4, v1
	s_delay_alu instid0(VALU_DEP_2) | instskip(NEXT) | instid1(VALU_DEP_2)
	v_add_nc_u32_e32 v3, v41, v3
	v_sub_nc_u32_e32 v1, v41, v1
	s_delay_alu instid0(VALU_DEP_2) | instskip(NEXT) | instid1(VALU_DEP_1)
	v_ashrrev_i32_e32 v3, 6, v3
	v_lshl_add_u32 v1, v3, 4, v1
	s_delay_alu instid0(VALU_DEP_1)
	v_cmp_ne_u32_e32 vcc_lo, 15, v1
	v_cndmask_b32_e32 v7, 0xff800000, v7, vcc_lo
	v_cmp_ne_u32_e32 vcc_lo, 14, v1
	v_cndmask_b32_e32 v8, 0xff800000, v8, vcc_lo
	;; [unrolled: 2-line block ×16, first 2 shown]
	s_branch .LBB271_13
.LBB271_18:
	s_delay_alu instid0(VALU_DEP_1) | instskip(SKIP_4) | instid1(VALU_DEP_4)
	v_sub_f32_e32 v3, v27, v12
	v_sub_f32_e32 v0, v25, v12
	;; [unrolled: 1-line block ×5, first 2 shown]
	v_dual_mul_f32 v25, 0x3fb8aa3b, v3 :: v_dual_mul_f32 v2, 0x3fb8aa3b, v0
	s_delay_alu instid0(VALU_DEP_4)
	v_mul_f32_e32 v27, 0x3fb8aa3b, v6
	v_cmp_ngt_f32_e32 vcc_lo, 0xc2ce8ed0, v0
	v_sub_f32_e32 v14, v14, v12
	v_sub_f32_e32 v8, v8, v12
	v_rndne_f32_e32 v22, v2
	v_sub_f32_e32 v1, v23, v12
	v_fma_f32 v21, 0x3fb8aa3b, v0, -v2
	s_delay_alu instid0(VALU_DEP_3) | instskip(NEXT) | instid1(VALU_DEP_3)
	v_sub_f32_e32 v2, v2, v22
	v_mul_f32_e32 v4, 0x3fb8aa3b, v1
	v_cvt_i32_f32_e32 v22, v22
	s_delay_alu instid0(VALU_DEP_2) | instskip(SKIP_1) | instid1(VALU_DEP_1)
	v_fma_f32 v23, 0x3fb8aa3b, v1, -v4
	v_rndne_f32_e32 v24, v4
	v_dual_fmac_f32 v23, 0x32a5705f, v1 :: v_dual_sub_f32 v4, v4, v24
	v_sub_f32_e32 v5, v26, v12
	v_cvt_i32_f32_e32 v24, v24
	s_delay_alu instid0(VALU_DEP_3) | instskip(SKIP_1) | instid1(VALU_DEP_4)
	v_add_f32_e32 v4, v4, v23
	v_rndne_f32_e32 v23, v25
	v_mul_f32_e32 v26, 0x3fb8aa3b, v5
	s_delay_alu instid0(VALU_DEP_3) | instskip(NEXT) | instid1(VALU_DEP_1)
	v_exp_f32_e32 v4, v4
	v_fma_f32 v28, 0x3fb8aa3b, v5, -v26
	s_delay_alu instid0(VALU_DEP_1) | instskip(NEXT) | instid1(VALU_DEP_1)
	v_dual_fmac_f32 v21, 0x32a5705f, v0 :: v_dual_fmac_f32 v28, 0x32a5705f, v5
	v_add_f32_e32 v2, v2, v21
	v_fma_f32 v21, 0x3fb8aa3b, v3, -v25
	v_sub_f32_e32 v25, v25, v23
	s_waitcnt_depctr 0xfff
	v_ldexp_f32 v4, v4, v24
	v_rndne_f32_e32 v29, v26
	v_exp_f32_e32 v2, v2
	v_fmac_f32_e32 v21, 0x32a5705f, v3
	v_cvt_i32_f32_e32 v23, v23
	s_waitcnt_depctr 0xfff
	v_ldexp_f32 v2, v2, v22
	s_delay_alu instid0(VALU_DEP_1) | instskip(SKIP_1) | instid1(VALU_DEP_2)
	v_dual_add_f32 v21, v25, v21 :: v_dual_cndmask_b32 v2, 0, v2
	v_cmp_ngt_f32_e32 vcc_lo, 0xc2ce8ed0, v1
	v_exp_f32_e32 v21, v21
	v_cndmask_b32_e32 v4, 0, v4, vcc_lo
	v_cmp_nlt_f32_e32 vcc_lo, 0x42b17218, v0
	v_cndmask_b32_e32 v0, 0x7f800000, v2, vcc_lo
	v_cmp_nlt_f32_e32 vcc_lo, 0x42b17218, v1
	v_fma_f32 v2, 0x3fb8aa3b, v6, -v27
	v_cndmask_b32_e32 v1, 0x7f800000, v4, vcc_lo
	s_delay_alu instid0(TRANS32_DEP_1) | instskip(SKIP_3) | instid1(VALU_DEP_4)
	v_ldexp_f32 v4, v21, v23
	v_cmp_ngt_f32_e32 vcc_lo, 0xc2ce8ed0, v3
	v_sub_f32_e32 v22, v26, v29
	v_rndne_f32_e32 v21, v27
	v_dual_add_f32 v0, v0, v1 :: v_dual_cndmask_b32 v1, 0, v4
	v_cmp_nlt_f32_e32 vcc_lo, 0x42b17218, v3
	s_delay_alu instid0(VALU_DEP_4) | instskip(SKIP_3) | instid1(VALU_DEP_4)
	v_add_f32_e32 v22, v22, v28
	v_cvt_i32_f32_e32 v4, v29
	v_sub_f32_e32 v23, v27, v21
	v_cndmask_b32_e32 v1, 0x7f800000, v1, vcc_lo
	v_exp_f32_e32 v22, v22
	v_cmp_ngt_f32_e32 vcc_lo, 0xc2ce8ed0, v5
	s_delay_alu instid0(VALU_DEP_2) | instskip(SKIP_2) | instid1(VALU_DEP_1)
	v_add_f32_e32 v0, v0, v1
	s_waitcnt_depctr 0xfff
	v_ldexp_f32 v3, v22, v4
	v_cndmask_b32_e32 v1, 0, v3, vcc_lo
	v_cmp_nlt_f32_e32 vcc_lo, 0x42b17218, v5
	v_sub_f32_e32 v20, v20, v12
	v_cvt_i32_f32_e32 v5, v21
	v_mul_f32_e32 v21, 0x3fb8aa3b, v19
	v_cndmask_b32_e32 v1, 0x7f800000, v1, vcc_lo
	v_cmp_ngt_f32_e32 vcc_lo, 0xc2ce8ed0, v6
	v_mul_f32_e32 v4, 0x3fb8aa3b, v20
	s_delay_alu instid0(VALU_DEP_3) | instskip(NEXT) | instid1(VALU_DEP_2)
	v_add_f32_e32 v0, v0, v1
	v_fma_f32 v3, 0x3fb8aa3b, v20, -v4
	s_delay_alu instid0(VALU_DEP_1) | instskip(NEXT) | instid1(VALU_DEP_1)
	v_dual_fmac_f32 v2, 0x32a5705f, v6 :: v_dual_fmac_f32 v3, 0x32a5705f, v20
	v_add_f32_e32 v2, v23, v2
	s_delay_alu instid0(VALU_DEP_1) | instskip(SKIP_2) | instid1(VALU_DEP_1)
	v_exp_f32_e32 v2, v2
	s_waitcnt_depctr 0xfff
	v_ldexp_f32 v1, v2, v5
	v_cndmask_b32_e32 v1, 0, v1, vcc_lo
	v_rndne_f32_e32 v22, v4
	v_cmp_nlt_f32_e32 vcc_lo, 0x42b17218, v6
	s_delay_alu instid0(VALU_DEP_2) | instskip(SKIP_2) | instid1(VALU_DEP_3)
	v_dual_sub_f32 v4, v4, v22 :: v_dual_cndmask_b32 v1, 0x7f800000, v1
	v_cvt_i32_f32_e32 v6, v22
	v_cmp_ngt_f32_e32 vcc_lo, 0xc2ce8ed0, v20
	v_add_f32_e32 v2, v4, v3
	v_fma_f32 v3, 0x3fb8aa3b, v19, -v21
	v_rndne_f32_e32 v4, v21
	s_delay_alu instid0(VALU_DEP_2) | instskip(NEXT) | instid1(VALU_DEP_2)
	v_fmac_f32_e32 v3, 0x32a5705f, v19
	v_sub_f32_e32 v5, v21, v4
	v_cvt_i32_f32_e32 v4, v4
	s_delay_alu instid0(VALU_DEP_2)
	v_add_f32_e32 v3, v5, v3
	v_mul_f32_e32 v5, 0x3fb8aa3b, v18
	v_exp_f32_e32 v2, v2
	v_add_f32_e32 v0, v0, v1
	s_waitcnt_depctr 0xfff
	v_ldexp_f32 v1, v2, v6
	v_exp_f32_e32 v2, v3
	v_fma_f32 v3, 0x3fb8aa3b, v18, -v5
	v_rndne_f32_e32 v6, v5
	s_delay_alu instid0(VALU_DEP_3) | instskip(SKIP_1) | instid1(VALU_DEP_4)
	v_cndmask_b32_e32 v1, 0, v1, vcc_lo
	v_cmp_nlt_f32_e32 vcc_lo, 0x42b17218, v20
	v_fmac_f32_e32 v3, 0x32a5705f, v18
	v_mul_f32_e32 v20, 0x3fb8aa3b, v14
	s_delay_alu instid0(TRANS32_DEP_1) | instskip(SKIP_4) | instid1(VALU_DEP_4)
	v_ldexp_f32 v2, v2, v4
	v_dual_sub_f32 v4, v17, v12 :: v_dual_cndmask_b32 v1, 0x7f800000, v1
	v_cmp_ngt_f32_e32 vcc_lo, 0xc2ce8ed0, v19
	v_sub_f32_e32 v5, v5, v6
	v_cvt_i32_f32_e32 v6, v6
	v_dual_add_f32 v0, v0, v1 :: v_dual_cndmask_b32 v1, 0, v2
	v_cmp_nlt_f32_e32 vcc_lo, 0x42b17218, v19
	s_delay_alu instid0(VALU_DEP_2) | instskip(SKIP_3) | instid1(VALU_DEP_4)
	v_cndmask_b32_e32 v1, 0x7f800000, v1, vcc_lo
	v_add_f32_e32 v3, v5, v3
	v_sub_f32_e32 v5, v16, v12
	v_cmp_ngt_f32_e32 vcc_lo, 0xc2ce8ed0, v18
	v_add_f32_e32 v0, v0, v1
	s_delay_alu instid0(VALU_DEP_4) | instskip(NEXT) | instid1(VALU_DEP_3)
	v_exp_f32_e32 v2, v3
	v_mul_f32_e32 v19, 0x3fb8aa3b, v5
	s_waitcnt_depctr 0xfff
	v_ldexp_f32 v1, v2, v6
	v_rndne_f32_e32 v6, v19
	v_mul_f32_e32 v3, 0x3fb8aa3b, v4
	s_delay_alu instid0(VALU_DEP_3) | instskip(SKIP_1) | instid1(VALU_DEP_3)
	v_cndmask_b32_e32 v1, 0, v1, vcc_lo
	v_cmp_nlt_f32_e32 vcc_lo, 0x42b17218, v18
	v_fma_f32 v16, 0x3fb8aa3b, v4, -v3
	v_rndne_f32_e32 v17, v3
	s_delay_alu instid0(VALU_DEP_4) | instskip(NEXT) | instid1(VALU_DEP_3)
	v_cndmask_b32_e32 v1, 0x7f800000, v1, vcc_lo
	v_fmac_f32_e32 v16, 0x32a5705f, v4
	s_delay_alu instid0(VALU_DEP_3) | instskip(SKIP_1) | instid1(VALU_DEP_4)
	v_sub_f32_e32 v2, v3, v17
	v_fma_f32 v3, 0x3fb8aa3b, v5, -v19
	v_dual_sub_f32 v15, v15, v12 :: v_dual_add_f32 v0, v0, v1
	v_cvt_i32_f32_e32 v17, v17
	s_delay_alu instid0(VALU_DEP_3) | instskip(SKIP_2) | instid1(VALU_DEP_3)
	v_dual_add_f32 v2, v2, v16 :: v_dual_fmac_f32 v3, 0x32a5705f, v5
	v_sub_f32_e32 v16, v19, v6
	v_cmp_ngt_f32_e32 vcc_lo, 0xc2ce8ed0, v4
	v_exp_f32_e32 v2, v2
	s_delay_alu instid0(VALU_DEP_2)
	v_add_f32_e32 v3, v16, v3
	s_waitcnt_depctr 0xfff
	v_ldexp_f32 v1, v2, v17
	v_rndne_f32_e32 v17, v20
	v_mul_f32_e32 v19, 0x3fb8aa3b, v15
	v_cvt_i32_f32_e32 v2, v6
	s_delay_alu instid0(VALU_DEP_4) | instskip(SKIP_1) | instid1(VALU_DEP_4)
	v_cndmask_b32_e32 v1, 0, v1, vcc_lo
	v_cmp_nlt_f32_e32 vcc_lo, 0x42b17218, v4
	v_fma_f32 v16, 0x3fb8aa3b, v15, -v19
	v_rndne_f32_e32 v18, v19
	s_delay_alu instid0(VALU_DEP_4) | instskip(NEXT) | instid1(VALU_DEP_2)
	v_cndmask_b32_e32 v1, 0x7f800000, v1, vcc_lo
	v_dual_fmac_f32 v16, 0x32a5705f, v15 :: v_dual_sub_f32 v19, v19, v18
	v_cvt_i32_f32_e32 v4, v18
	v_cmp_ngt_f32_e32 vcc_lo, 0xc2ce8ed0, v5
	s_delay_alu instid0(VALU_DEP_4) | instskip(NEXT) | instid1(VALU_DEP_4)
	v_add_f32_e32 v0, v0, v1
	v_add_f32_e32 v6, v19, v16
	v_fma_f32 v16, 0x3fb8aa3b, v14, -v20
	s_delay_alu instid0(VALU_DEP_1)
	v_fmac_f32_e32 v16, 0x32a5705f, v14
	v_exp_f32_e32 v3, v3
	s_waitcnt_depctr 0xfff
	v_ldexp_f32 v2, v3, v2
	v_exp_f32_e32 v3, v6
	v_sub_f32_e32 v6, v20, v17
	s_delay_alu instid0(VALU_DEP_2) | instskip(SKIP_1) | instid1(VALU_DEP_3)
	v_cndmask_b32_e32 v2, 0, v2, vcc_lo
	v_cmp_nlt_f32_e32 vcc_lo, 0x42b17218, v5
	v_add_f32_e32 v6, v6, v16
	s_waitcnt_depctr 0xfff
	v_ldexp_f32 v1, v3, v4
	v_sub_f32_e32 v4, v13, v12
	v_exp_f32_e32 v3, v6
	v_sub_f32_e32 v6, v9, v12
	v_mul_f32_e32 v13, 0x3fb8aa3b, v8
	s_delay_alu instid0(VALU_DEP_3) | instskip(SKIP_3) | instid1(VALU_DEP_3)
	v_mul_f32_e32 v5, 0x3fb8aa3b, v4
	v_cndmask_b32_e32 v2, 0x7f800000, v2, vcc_lo
	v_cmp_ngt_f32_e32 vcc_lo, 0xc2ce8ed0, v15
	v_mul_f32_e32 v9, 0x3fb8aa3b, v6
	v_dual_add_f32 v0, v0, v2 :: v_dual_cndmask_b32 v1, 0, v1
	v_cvt_i32_f32_e32 v2, v17
	v_cmp_nlt_f32_e32 vcc_lo, 0x42b17218, v15
	s_delay_alu instid0(VALU_DEP_2) | instskip(NEXT) | instid1(VALU_DEP_4)
	v_ldexp_f32 v2, v3, v2
	v_cndmask_b32_e32 v1, 0x7f800000, v1, vcc_lo
	v_cmp_ngt_f32_e32 vcc_lo, 0xc2ce8ed0, v14
	s_delay_alu instid0(VALU_DEP_2)
	v_add_f32_e32 v0, v0, v1
	v_fma_f32 v1, 0x3fb8aa3b, v4, -v5
	v_rndne_f32_e32 v3, v5
	v_cndmask_b32_e32 v2, 0, v2, vcc_lo
	v_cmp_nlt_f32_e32 vcc_lo, 0x42b17218, v14
	v_rndne_f32_e32 v14, v13
	v_fmac_f32_e32 v1, 0x32a5705f, v4
	v_sub_f32_e32 v5, v5, v3
	v_cvt_i32_f32_e32 v3, v3
	v_cndmask_b32_e32 v2, 0x7f800000, v2, vcc_lo
	v_cmp_ngt_f32_e32 vcc_lo, 0xc2ce8ed0, v4
	s_delay_alu instid0(VALU_DEP_4) | instskip(SKIP_1) | instid1(VALU_DEP_4)
	v_add_f32_e32 v1, v5, v1
	v_rndne_f32_e32 v5, v9
	v_add_f32_e32 v0, v0, v2
	v_fma_f32 v2, 0x3fb8aa3b, v6, -v9
	v_sub_f32_e32 v7, v7, v12
	v_exp_f32_e32 v1, v1
	v_fma_f32 v12, 0x3fb8aa3b, v8, -v13
	s_delay_alu instid0(VALU_DEP_3) | instskip(SKIP_1) | instid1(VALU_DEP_3)
	v_dual_sub_f32 v9, v9, v5 :: v_dual_fmac_f32 v2, 0x32a5705f, v6
	v_cvt_i32_f32_e32 v5, v5
	v_fmac_f32_e32 v12, 0x32a5705f, v8
	s_delay_alu instid0(VALU_DEP_3) | instskip(SKIP_4) | instid1(VALU_DEP_2)
	v_dual_mul_f32 v15, 0x3fb8aa3b, v7 :: v_dual_add_f32 v2, v9, v2
	s_waitcnt_depctr 0xfff
	v_ldexp_f32 v1, v1, v3
	v_rndne_f32_e32 v16, v15
	v_exp_f32_e32 v2, v2
	v_cndmask_b32_e32 v1, 0, v1, vcc_lo
	v_cmp_nlt_f32_e32 vcc_lo, 0x42b17218, v4
	v_cvt_i32_f32_e32 v4, v14
	s_delay_alu instid0(VALU_DEP_3)
	v_cndmask_b32_e32 v1, 0x7f800000, v1, vcc_lo
	v_sub_f32_e32 v9, v13, v14
	s_waitcnt_depctr 0xfff
	v_ldexp_f32 v2, v2, v5
	v_cmp_ngt_f32_e32 vcc_lo, 0xc2ce8ed0, v6
	v_fma_f32 v13, 0x3fb8aa3b, v7, -v15
	v_dual_add_f32 v0, v0, v1 :: v_dual_add_f32 v3, v9, v12
	s_delay_alu instid0(VALU_DEP_4) | instskip(SKIP_2) | instid1(VALU_DEP_4)
	v_cndmask_b32_e32 v2, 0, v2, vcc_lo
	v_cmp_nlt_f32_e32 vcc_lo, 0x42b17218, v6
	v_sub_f32_e32 v9, v15, v16
	v_exp_f32_e32 v3, v3
	s_delay_alu instid0(VALU_DEP_3) | instskip(SKIP_2) | instid1(VALU_DEP_2)
	v_cndmask_b32_e32 v2, 0x7f800000, v2, vcc_lo
	v_fmac_f32_e32 v13, 0x32a5705f, v7
	v_cmp_ngt_f32_e32 vcc_lo, 0xc2ce8ed0, v8
	v_dual_add_f32 v0, v0, v2 :: v_dual_add_f32 v9, v9, v13
	s_waitcnt_depctr 0xfff
	v_ldexp_f32 v1, v3, v4
	v_cvt_i32_f32_e32 v3, v16
	v_exp_f32_e32 v5, v9
	s_delay_alu instid0(VALU_DEP_2) | instskip(SKIP_1) | instid1(VALU_DEP_2)
	v_cndmask_b32_e32 v1, 0, v1, vcc_lo
	v_cmp_nlt_f32_e32 vcc_lo, 0x42b17218, v8
	v_cndmask_b32_e32 v1, 0x7f800000, v1, vcc_lo
	v_cmp_ngt_f32_e32 vcc_lo, 0xc2ce8ed0, v7
	s_waitcnt_depctr 0xfff
	v_ldexp_f32 v3, v5, v3
	s_delay_alu instid0(VALU_DEP_1) | instskip(SKIP_1) | instid1(VALU_DEP_2)
	v_cndmask_b32_e32 v2, 0, v3, vcc_lo
	v_cmp_nlt_f32_e32 vcc_lo, 0x42b17218, v7
	v_dual_add_f32 v0, v0, v1 :: v_dual_cndmask_b32 v1, 0x7f800000, v2
	s_delay_alu instid0(VALU_DEP_1) | instskip(NEXT) | instid1(VALU_DEP_1)
	v_add_f32_e32 v0, v0, v1
	v_mov_b32_dpp v1, v0 quad_perm:[1,0,3,2] row_mask:0xf bank_mask:0xf
	s_delay_alu instid0(VALU_DEP_1) | instskip(NEXT) | instid1(VALU_DEP_1)
	v_add_f32_e32 v0, v0, v1
	v_mov_b32_dpp v1, v0 quad_perm:[2,3,0,1] row_mask:0xf bank_mask:0xf
	s_and_b32 exec_lo, exec_lo, s2
	s_cbranch_execz .LBB271_23
; %bb.19:
	s_delay_alu instid0(VALU_DEP_1) | instskip(NEXT) | instid1(VALU_DEP_1)
	v_add_f32_e32 v0, v0, v1
	v_add_f32_e32 v0, v11, v0
	s_delay_alu instid0(VALU_DEP_1)
	v_cmp_neq_f32_e32 vcc_lo, 0, v0
	s_and_b32 exec_lo, exec_lo, vcc_lo
	s_cbranch_execz .LBB271_23
; %bb.20:
	s_and_not1_b32 vcc_lo, exec_lo, s15
	s_cbranch_vccnz .LBB271_23
; %bb.21:
	v_div_scale_f32 v2, null, v0, v0, 1.0
	v_div_scale_f32 v4, vcc_lo, 1.0, v0, 1.0
	s_delay_alu instid0(VALU_DEP_2) | instskip(SKIP_2) | instid1(VALU_DEP_1)
	v_rcp_f32_e32 v3, v2
	s_waitcnt_depctr 0xfff
	v_fma_f32 v1, -v2, v3, 1.0
	v_fmac_f32_e32 v3, v1, v3
	v_mul_lo_u32 v1, v10, s11
	s_delay_alu instid0(VALU_DEP_2) | instskip(NEXT) | instid1(VALU_DEP_1)
	v_mul_f32_e32 v5, v4, v3
	v_fma_f32 v6, -v2, v5, v4
	s_delay_alu instid0(VALU_DEP_1) | instskip(NEXT) | instid1(VALU_DEP_1)
	v_fmac_f32_e32 v5, v6, v3
	v_fma_f32 v4, -v2, v5, v4
	v_ashrrev_i32_e32 v2, 31, v1
	s_delay_alu instid0(VALU_DEP_2) | instskip(NEXT) | instid1(VALU_DEP_2)
	v_div_fmas_f32 v5, v4, v3, v5
	v_lshlrev_b64 v[3:4], 2, v[1:2]
	s_delay_alu instid0(VALU_DEP_2) | instskip(NEXT) | instid1(VALU_DEP_2)
	v_div_fixup_f32 v2, v5, v0, 1.0
	v_add_co_u32 v0, vcc_lo, s12, v3
	s_delay_alu instid0(VALU_DEP_3)
	v_add_co_ci_u32_e32 v1, vcc_lo, s13, v4, vcc_lo
.LBB271_22:                             ; =>This Inner Loop Header: Depth=1
	global_load_b32 v3, v[0:1], off
	s_add_i32 s8, s8, -1
	s_delay_alu instid0(SALU_CYCLE_1)
	s_cmp_lg_u32 s8, 0
	s_waitcnt vmcnt(0)
	v_mul_f32_e32 v3, v2, v3
	global_store_b32 v[0:1], v3, off
	v_add_co_u32 v0, vcc_lo, v0, 4
	v_add_co_ci_u32_e32 v1, vcc_lo, 0, v1, vcc_lo
	s_cbranch_scc1 .LBB271_22
.LBB271_23:
	s_nop 0
	s_sendmsg sendmsg(MSG_DEALLOC_VGPRS)
	s_endpgm
	.section	.rodata,"a",@progbits
	.p2align	6, 0x0
	.amdhsa_kernel _ZN4vllm3moe17topkGatingSoftmaxItLi16ELi64ELi8ELi32ELb0ELi1ELNS0_23SharedExpertScoringFuncE1EEEvPKT_PKbPfiPiS9_iiiiii
		.amdhsa_group_segment_fixed_size 0
		.amdhsa_private_segment_fixed_size 0
		.amdhsa_kernarg_size 72
		.amdhsa_user_sgpr_count 15
		.amdhsa_user_sgpr_dispatch_ptr 0
		.amdhsa_user_sgpr_queue_ptr 0
		.amdhsa_user_sgpr_kernarg_segment_ptr 1
		.amdhsa_user_sgpr_dispatch_id 0
		.amdhsa_user_sgpr_private_segment_size 0
		.amdhsa_wavefront_size32 1
		.amdhsa_uses_dynamic_stack 0
		.amdhsa_enable_private_segment 0
		.amdhsa_system_sgpr_workgroup_id_x 1
		.amdhsa_system_sgpr_workgroup_id_y 0
		.amdhsa_system_sgpr_workgroup_id_z 0
		.amdhsa_system_sgpr_workgroup_info 0
		.amdhsa_system_vgpr_workitem_id 1
		.amdhsa_next_free_vgpr 53
		.amdhsa_next_free_sgpr 19
		.amdhsa_reserve_vcc 1
		.amdhsa_float_round_mode_32 0
		.amdhsa_float_round_mode_16_64 0
		.amdhsa_float_denorm_mode_32 3
		.amdhsa_float_denorm_mode_16_64 3
		.amdhsa_dx10_clamp 1
		.amdhsa_ieee_mode 1
		.amdhsa_fp16_overflow 0
		.amdhsa_workgroup_processor_mode 1
		.amdhsa_memory_ordered 1
		.amdhsa_forward_progress 0
		.amdhsa_shared_vgpr_count 0
		.amdhsa_exception_fp_ieee_invalid_op 0
		.amdhsa_exception_fp_denorm_src 0
		.amdhsa_exception_fp_ieee_div_zero 0
		.amdhsa_exception_fp_ieee_overflow 0
		.amdhsa_exception_fp_ieee_underflow 0
		.amdhsa_exception_fp_ieee_inexact 0
		.amdhsa_exception_int_div_zero 0
	.end_amdhsa_kernel
	.section	.text._ZN4vllm3moe17topkGatingSoftmaxItLi16ELi64ELi8ELi32ELb0ELi1ELNS0_23SharedExpertScoringFuncE1EEEvPKT_PKbPfiPiS9_iiiiii,"axG",@progbits,_ZN4vllm3moe17topkGatingSoftmaxItLi16ELi64ELi8ELi32ELb0ELi1ELNS0_23SharedExpertScoringFuncE1EEEvPKT_PKbPfiPiS9_iiiiii,comdat
.Lfunc_end271:
	.size	_ZN4vllm3moe17topkGatingSoftmaxItLi16ELi64ELi8ELi32ELb0ELi1ELNS0_23SharedExpertScoringFuncE1EEEvPKT_PKbPfiPiS9_iiiiii, .Lfunc_end271-_ZN4vllm3moe17topkGatingSoftmaxItLi16ELi64ELi8ELi32ELb0ELi1ELNS0_23SharedExpertScoringFuncE1EEEvPKT_PKbPfiPiS9_iiiiii
                                        ; -- End function
	.section	.AMDGPU.csdata,"",@progbits
; Kernel info:
; codeLenInByte = 4752
; NumSgprs: 21
; NumVgprs: 53
; ScratchSize: 0
; MemoryBound: 0
; FloatMode: 240
; IeeeMode: 1
; LDSByteSize: 0 bytes/workgroup (compile time only)
; SGPRBlocks: 2
; VGPRBlocks: 6
; NumSGPRsForWavesPerEU: 21
; NumVGPRsForWavesPerEU: 53
; Occupancy: 16
; WaveLimiterHint : 0
; COMPUTE_PGM_RSRC2:SCRATCH_EN: 0
; COMPUTE_PGM_RSRC2:USER_SGPR: 15
; COMPUTE_PGM_RSRC2:TRAP_HANDLER: 0
; COMPUTE_PGM_RSRC2:TGID_X_EN: 1
; COMPUTE_PGM_RSRC2:TGID_Y_EN: 0
; COMPUTE_PGM_RSRC2:TGID_Z_EN: 0
; COMPUTE_PGM_RSRC2:TIDIG_COMP_CNT: 1
	.section	.text._ZN4vllm3moe17topkGatingSoftmaxItLi16ELi64ELi8ELi32ELb1ELi2ELNS0_23SharedExpertScoringFuncE1EEEvPKT_PKbPfiPiS9_iiiiii,"axG",@progbits,_ZN4vllm3moe17topkGatingSoftmaxItLi16ELi64ELi8ELi32ELb1ELi2ELNS0_23SharedExpertScoringFuncE1EEEvPKT_PKbPfiPiS9_iiiiii,comdat
	.protected	_ZN4vllm3moe17topkGatingSoftmaxItLi16ELi64ELi8ELi32ELb1ELi2ELNS0_23SharedExpertScoringFuncE1EEEvPKT_PKbPfiPiS9_iiiiii ; -- Begin function _ZN4vllm3moe17topkGatingSoftmaxItLi16ELi64ELi8ELi32ELb1ELi2ELNS0_23SharedExpertScoringFuncE1EEEvPKT_PKbPfiPiS9_iiiiii
	.globl	_ZN4vllm3moe17topkGatingSoftmaxItLi16ELi64ELi8ELi32ELb1ELi2ELNS0_23SharedExpertScoringFuncE1EEEvPKT_PKbPfiPiS9_iiiiii
	.p2align	8
	.type	_ZN4vllm3moe17topkGatingSoftmaxItLi16ELi64ELi8ELi32ELb1ELi2ELNS0_23SharedExpertScoringFuncE1EEEvPKT_PKbPfiPiS9_iiiiii,@function
_ZN4vllm3moe17topkGatingSoftmaxItLi16ELi64ELi8ELi32ELb1ELi2ELNS0_23SharedExpertScoringFuncE1EEEvPKT_PKbPfiPiS9_iiiiii: ; @_ZN4vllm3moe17topkGatingSoftmaxItLi16ELi64ELi8ELi32ELb1ELi2ELNS0_23SharedExpertScoringFuncE1EEEvPKT_PKbPfiPiS9_iiiiii
; %bb.0:
	s_load_b32 s16, s[0:1], 0x18
	v_bfe_u32 v1, v0, 10, 10
	v_and_b32_e32 v0, 0x3ff, v0
	s_lshl_b32 s18, s15, 6
	s_mov_b32 s2, exec_lo
	s_delay_alu instid0(VALU_DEP_2) | instskip(NEXT) | instid1(VALU_DEP_2)
	v_lshlrev_b32_e32 v42, 3, v1
	v_lshrrev_b32_e32 v43, 2, v0
	s_delay_alu instid0(VALU_DEP_1) | instskip(SKIP_1) | instid1(VALU_DEP_1)
	v_add3_u32 v8, s18, v42, v43
	s_waitcnt lgkmcnt(0)
	v_cmpx_gt_i32_e64 s16, v8
	s_cbranch_execz .LBB272_22
; %bb.1:
	s_clause 0x1
	s_load_b128 s[4:7], s[0:1], 0x0
	s_load_b64 s[12:13], s[0:1], 0x10
	s_waitcnt lgkmcnt(0)
	s_cmp_eq_u64 s[6:7], 0
	s_cbranch_scc1 .LBB272_3
; %bb.2:
	v_ashrrev_i32_e32 v2, 31, v8
	v_add_co_u32 v1, vcc_lo, s6, v8
	s_delay_alu instid0(VALU_DEP_2) | instskip(SKIP_3) | instid1(VALU_DEP_1)
	v_add_co_ci_u32_e32 v2, vcc_lo, s7, v2, vcc_lo
	global_load_u8 v1, v[1:2], off
	s_waitcnt vmcnt(0)
	v_and_b32_e32 v1, 1, v1
	v_cmp_eq_u32_e32 vcc_lo, 1, v1
	s_xor_b32 s2, vcc_lo, -1
	s_delay_alu instid0(SALU_CYCLE_1)
	s_or_not1_b32 s17, s2, exec_lo
	s_branch .LBB272_4
.LBB272_3:
	s_mov_b32 s17, -1
.LBB272_4:
	s_load_b64 s[14:15], s[0:1], 0x40
	v_and_b32_e32 v9, 3, v0
	s_mov_b32 s2, exec_lo
	s_delay_alu instid0(VALU_DEP_1) | instskip(SKIP_2) | instid1(VALU_DEP_1)
	v_dual_mov_b32 v11, 0 :: v_dual_lshlrev_b32 v10, 4, v9
	s_waitcnt lgkmcnt(0)
	v_mul_lo_u32 v1, v8, s15
	v_ashrrev_i32_e32 v2, 31, v1
	s_delay_alu instid0(VALU_DEP_1) | instskip(SKIP_1) | instid1(VALU_DEP_2)
	v_lshlrev_b64 v[0:1], 1, v[1:2]
	v_lshlrev_b32_e32 v2, 5, v9
	v_add_co_u32 v12, vcc_lo, s4, v0
	s_delay_alu instid0(VALU_DEP_3) | instskip(SKIP_1) | instid1(VALU_DEP_2)
	v_add_co_ci_u32_e32 v13, vcc_lo, s5, v1, vcc_lo
	s_load_b128 s[4:7], s[0:1], 0x30
	v_add_co_u32 v4, vcc_lo, v12, v2
	s_delay_alu instid0(VALU_DEP_2)
	v_add_co_ci_u32_e32 v5, vcc_lo, 0, v13, vcc_lo
	s_clause 0x1
	global_load_b128 v[0:3], v[4:5], off offset:16
	global_load_b128 v[4:7], v[4:5], off
	v_cmpx_gt_u32_e32 2, v9
	s_cbranch_execz .LBB272_6
; %bb.5:
	v_lshlrev_b32_e32 v14, 1, v9
	s_delay_alu instid0(VALU_DEP_1) | instskip(SKIP_4) | instid1(VALU_DEP_1)
	v_add_co_u32 v12, vcc_lo, v12, v14
	v_add_co_ci_u32_e32 v13, vcc_lo, 0, v13, vcc_lo
	global_load_u16 v12, v[12:13], off offset:128
	s_waitcnt vmcnt(0)
	v_cvt_f32_u32_e32 v12, v12
	v_mul_f32_e32 v13, 0xbfb8aa3b, v12
	v_cmp_nlt_f32_e32 vcc_lo, 0x42ce8ed0, v12
	s_delay_alu instid0(VALU_DEP_2) | instskip(SKIP_1) | instid1(VALU_DEP_1)
	v_fma_f32 v14, 0xbfb8aa3b, v12, -v13
	v_rndne_f32_e32 v15, v13
	v_dual_fmamk_f32 v14, v12, 0xb2a5705f, v14 :: v_dual_sub_f32 v13, v13, v15
	s_delay_alu instid0(VALU_DEP_1) | instskip(SKIP_1) | instid1(VALU_DEP_2)
	v_add_f32_e32 v13, v13, v14
	v_cvt_i32_f32_e32 v14, v15
	v_exp_f32_e32 v13, v13
	s_waitcnt_depctr 0xfff
	v_ldexp_f32 v13, v13, v14
	s_delay_alu instid0(VALU_DEP_1) | instskip(SKIP_1) | instid1(VALU_DEP_2)
	v_cndmask_b32_e32 v13, 0, v13, vcc_lo
	v_cmp_ngt_f32_e32 vcc_lo, 0xc2b17218, v12
	v_cndmask_b32_e32 v12, 0x7f800000, v13, vcc_lo
	s_delay_alu instid0(VALU_DEP_1) | instskip(NEXT) | instid1(VALU_DEP_1)
	v_add_f32_e32 v14, 1.0, v12
	v_div_scale_f32 v13, null, v14, v14, 1.0
	v_div_scale_f32 v16, vcc_lo, 1.0, v14, 1.0
	s_delay_alu instid0(VALU_DEP_2) | instskip(SKIP_2) | instid1(VALU_DEP_1)
	v_rcp_f32_e32 v15, v13
	s_waitcnt_depctr 0xfff
	v_fma_f32 v12, -v13, v15, 1.0
	v_fmac_f32_e32 v15, v12, v15
	s_waitcnt lgkmcnt(0)
	v_mul_lo_u32 v12, v8, s7
	s_delay_alu instid0(VALU_DEP_2) | instskip(NEXT) | instid1(VALU_DEP_2)
	v_mul_f32_e32 v17, v16, v15
	v_add3_u32 v12, v12, s4, v9
	s_delay_alu instid0(VALU_DEP_2) | instskip(NEXT) | instid1(VALU_DEP_1)
	v_fma_f32 v18, -v13, v17, v16
	v_fmac_f32_e32 v17, v18, v15
	s_delay_alu instid0(VALU_DEP_1) | instskip(NEXT) | instid1(VALU_DEP_4)
	v_fma_f32 v16, -v13, v17, v16
	v_ashrrev_i32_e32 v13, 31, v12
	s_delay_alu instid0(VALU_DEP_2) | instskip(NEXT) | instid1(VALU_DEP_2)
	v_div_fmas_f32 v15, v16, v15, v17
	v_lshlrev_b64 v[12:13], 2, v[12:13]
	s_delay_alu instid0(VALU_DEP_2) | instskip(NEXT) | instid1(VALU_DEP_2)
	v_div_fixup_f32 v14, v15, v14, 1.0
	v_add_co_u32 v12, vcc_lo, s12, v12
	s_delay_alu instid0(VALU_DEP_3)
	v_add_co_ci_u32_e32 v13, vcc_lo, s13, v13, vcc_lo
	global_store_b32 v[12:13], v14, off
.LBB272_6:
	s_or_b32 exec_lo, exec_lo, s2
	s_waitcnt vmcnt(0)
	v_and_b32_e32 v12, 0xffff, v4
	v_lshrrev_b32_e32 v4, 16, v4
	v_or_b32_e32 v14, 1, v10
	v_or_b32_e32 v16, 2, v10
	;; [unrolled: 1-line block ×3, first 2 shown]
	v_cvt_f32_u32_e32 v12, v12
	v_cvt_f32_u32_e32 v13, v4
	v_or_b32_e32 v22, 5, v10
	v_or_b32_e32 v25, 7, v10
	;; [unrolled: 1-line block ×4, first 2 shown]
	v_cmp_lt_f32_e32 vcc_lo, v12, v13
	v_or_b32_e32 v31, 10, v10
	v_or_b32_e32 v33, 11, v10
	;; [unrolled: 1-line block ×3, first 2 shown]
	v_dual_cndmask_b32 v18, v12, v13 :: v_dual_and_b32 v19, 0xffff, v6
	v_lshrrev_b32_e32 v6, 16, v6
	v_or_b32_e32 v37, 13, v10
	v_or_b32_e32 v39, 14, v10
	s_delay_alu instid0(VALU_DEP_4)
	v_cvt_f32_u32_e32 v19, v19
	v_and_b32_e32 v4, 0xffff, v5
	v_lshrrev_b32_e32 v5, 16, v5
	v_cvt_f32_u32_e32 v21, v6
	v_and_b32_e32 v6, 0xffff, v7
	v_or_b32_e32 v41, 15, v10
	v_cvt_f32_u32_e32 v15, v4
	v_cvt_f32_u32_e32 v17, v5
	v_cndmask_b32_e32 v4, v10, v14, vcc_lo
	v_cvt_f32_u32_e32 v23, v6
	v_lshrrev_b32_e32 v6, 16, v7
	v_cmp_lt_f32_e32 vcc_lo, v18, v15
	v_or_b32_e32 v7, 6, v10
	s_delay_alu instid0(VALU_DEP_3) | instskip(SKIP_4) | instid1(VALU_DEP_4)
	v_cvt_f32_u32_e32 v24, v6
	v_dual_cndmask_b32 v5, v18, v15 :: v_dual_cndmask_b32 v4, v4, v16
	v_or_b32_e32 v18, 3, v10
	v_and_b32_e32 v6, 0xffff, v0
	v_lshrrev_b32_e32 v0, 16, v0
	v_cmp_lt_f32_e32 vcc_lo, v5, v17
	s_delay_alu instid0(VALU_DEP_3) | instskip(NEXT) | instid1(VALU_DEP_3)
	v_cvt_f32_u32_e32 v26, v6
	v_cvt_f32_u32_e32 v28, v0
	v_dual_cndmask_b32 v5, v5, v17 :: v_dual_cndmask_b32 v4, v4, v18
	s_delay_alu instid0(VALU_DEP_1) | instskip(NEXT) | instid1(VALU_DEP_2)
	v_cmp_lt_f32_e32 vcc_lo, v5, v19
	v_dual_cndmask_b32 v5, v5, v19 :: v_dual_cndmask_b32 v4, v4, v20
	s_delay_alu instid0(VALU_DEP_1) | instskip(NEXT) | instid1(VALU_DEP_2)
	v_cmp_lt_f32_e32 vcc_lo, v5, v21
	v_dual_cndmask_b32 v5, v5, v21 :: v_dual_cndmask_b32 v4, v4, v22
	s_delay_alu instid0(VALU_DEP_1) | instskip(SKIP_1) | instid1(VALU_DEP_3)
	v_cmp_lt_f32_e32 vcc_lo, v5, v23
	v_cndmask_b32_e32 v5, v5, v23, vcc_lo
	v_cndmask_b32_e32 v4, v4, v7, vcc_lo
	s_delay_alu instid0(VALU_DEP_2) | instskip(NEXT) | instid1(VALU_DEP_2)
	v_cmp_lt_f32_e32 vcc_lo, v5, v24
	v_dual_cndmask_b32 v5, v5, v24 :: v_dual_cndmask_b32 v4, v4, v25
	s_delay_alu instid0(VALU_DEP_1) | instskip(NEXT) | instid1(VALU_DEP_2)
	v_cmp_lt_f32_e32 vcc_lo, v5, v26
	v_cndmask_b32_e32 v0, v4, v27, vcc_lo
	v_dual_cndmask_b32 v4, v5, v26 :: v_dual_and_b32 v5, 0xffff, v1
	v_lshrrev_b32_e32 v1, 16, v1
	s_delay_alu instid0(VALU_DEP_2) | instskip(NEXT) | instid1(VALU_DEP_3)
	v_cmp_lt_f32_e32 vcc_lo, v4, v28
	v_cvt_f32_u32_e32 v30, v5
	s_delay_alu instid0(VALU_DEP_3) | instskip(SKIP_2) | instid1(VALU_DEP_2)
	v_cvt_f32_u32_e32 v32, v1
	v_cndmask_b32_e32 v4, v4, v28, vcc_lo
	v_cndmask_b32_e32 v0, v0, v29, vcc_lo
	v_cmp_lt_f32_e32 vcc_lo, v4, v30
	v_cndmask_b32_e32 v1, v4, v30, vcc_lo
	s_delay_alu instid0(VALU_DEP_3) | instskip(SKIP_2) | instid1(VALU_DEP_4)
	v_cndmask_b32_e32 v0, v0, v31, vcc_lo
	v_and_b32_e32 v4, 0xffff, v2
	v_lshrrev_b32_e32 v2, 16, v2
	v_cmp_lt_f32_e32 vcc_lo, v1, v32
	s_delay_alu instid0(VALU_DEP_3) | instskip(NEXT) | instid1(VALU_DEP_3)
	v_cvt_f32_u32_e32 v34, v4
	v_cvt_f32_u32_e32 v36, v2
	v_dual_cndmask_b32 v1, v1, v32 :: v_dual_and_b32 v2, 0xffff, v3
	v_cndmask_b32_e32 v0, v0, v33, vcc_lo
	s_delay_alu instid0(VALU_DEP_2) | instskip(NEXT) | instid1(VALU_DEP_3)
	v_cvt_f32_u32_e32 v38, v2
	v_cmp_lt_f32_e32 vcc_lo, v1, v34
	v_lshrrev_b32_e32 v2, 16, v3
	s_delay_alu instid0(VALU_DEP_4) | instskip(NEXT) | instid1(VALU_DEP_2)
	v_dual_cndmask_b32 v1, v1, v34 :: v_dual_cndmask_b32 v0, v0, v35
	v_cvt_f32_u32_e32 v40, v2
	s_delay_alu instid0(VALU_DEP_2) | instskip(NEXT) | instid1(VALU_DEP_3)
	v_cmp_lt_f32_e32 vcc_lo, v1, v36
	v_dual_cndmask_b32 v1, v1, v36 :: v_dual_cndmask_b32 v0, v0, v37
	s_delay_alu instid0(VALU_DEP_1) | instskip(NEXT) | instid1(VALU_DEP_2)
	v_cmp_lt_f32_e32 vcc_lo, v1, v38
	v_dual_cndmask_b32 v1, v1, v38 :: v_dual_cndmask_b32 v0, v0, v39
	s_delay_alu instid0(VALU_DEP_1) | instskip(NEXT) | instid1(VALU_DEP_2)
	;; [unrolled: 3-line block ×3, first 2 shown]
	v_mov_b32_dpp v2, v1 quad_perm:[1,0,3,2] row_mask:0xf bank_mask:0xf
	v_mov_b32_dpp v3, v0 quad_perm:[1,0,3,2] row_mask:0xf bank_mask:0xf
	s_delay_alu instid0(VALU_DEP_2) | instskip(NEXT) | instid1(VALU_DEP_2)
	v_cmp_eq_f32_e64 s2, v1, v2
	v_cmp_lt_i32_e32 vcc_lo, v3, v0
	v_cmp_lt_f32_e64 s3, v1, v2
	s_delay_alu instid0(VALU_DEP_3)
	s_and_b32 s2, s2, vcc_lo
	s_delay_alu instid0(VALU_DEP_1) | instid1(SALU_CYCLE_1)
	s_or_b32 vcc_lo, s3, s2
	s_waitcnt lgkmcnt(0)
	s_cmp_gt_i32 s4, 0
	v_cndmask_b32_e32 v2, v1, v2, vcc_lo
	v_cndmask_b32_e32 v0, v0, v3, vcc_lo
	v_cmp_eq_u32_e32 vcc_lo, 0, v9
	s_cselect_b32 s3, -1, 0
	s_cmp_lt_i32 s4, 1
	v_mov_b32_dpp v4, v2 quad_perm:[2,3,0,1] row_mask:0xf bank_mask:0xf
	v_mov_b32_dpp v6, v0 quad_perm:[2,3,0,1] row_mask:0xf bank_mask:0xf
	s_cbranch_scc1 .LBB272_18
; %bb.7:
	s_load_b128 s[8:11], s[0:1], 0x20
	s_delay_alu instid0(VALU_DEP_2) | instskip(NEXT) | instid1(VALU_DEP_2)
	v_cmp_eq_f32_e64 s0, v2, v4
	v_cmp_lt_i32_e64 s1, v6, v0
	v_cmp_lt_f32_e64 s2, v2, v4
	v_mul_lo_u32 v1, v8, s7
	v_mul_lo_u32 v3, v8, s14
	v_mul_lo_u32 v5, v8, s4
	s_and_b32 s0, s0, s1
	v_mov_b32_e32 v11, 0
	s_or_b32 s0, s2, s0
	s_delay_alu instid0(SALU_CYCLE_1)
	v_cndmask_b32_e64 v0, v0, v6, s0
	v_cndmask_b32_e64 v44, v2, v4, s0
	s_and_saveexec_b32 s2, vcc_lo
	s_cbranch_execz .LBB272_9
; %bb.8:
	s_delay_alu instid0(VALU_DEP_1)
	v_sub_f32_e32 v11, v44, v44
	v_cmp_le_i32_e64 s0, s5, v0
	v_cmp_gt_i32_e64 s1, s6, v0
	v_subrev_nc_u32_e32 v51, s5, v0
	v_ashrrev_i32_e32 v6, 31, v5
	v_mul_f32_e32 v2, 0x3fb8aa3b, v11
	s_delay_alu instid0(VALU_DEP_4) | instskip(NEXT) | instid1(SALU_CYCLE_1)
	s_and_b32 s0, s0, s1
	s_and_b32 s0, s17, s0
	s_delay_alu instid0(VALU_DEP_1) | instskip(SKIP_2) | instid1(VALU_DEP_3)
	v_rndne_f32_e32 v47, v2
	v_fma_f32 v4, 0x3fb8aa3b, v11, -v2
	v_lshlrev_b64 v[49:50], 2, v[5:6]
	v_sub_f32_e32 v2, v2, v47
	s_delay_alu instid0(VALU_DEP_3) | instskip(NEXT) | instid1(VALU_DEP_1)
	v_fmamk_f32 v4, v11, 0x32a5705f, v4
	v_add_f32_e32 v4, v2, v4
	v_ashrrev_i32_e32 v2, 31, v1
	s_delay_alu instid0(VALU_DEP_2) | instskip(NEXT) | instid1(VALU_DEP_1)
	v_exp_f32_e32 v52, v4
	v_lshlrev_b64 v[45:46], 2, v[1:2]
	v_ashrrev_i32_e32 v4, 31, v3
	v_cvt_i32_f32_e32 v2, v47
	s_delay_alu instid0(VALU_DEP_2) | instskip(SKIP_2) | instid1(VALU_DEP_1)
	v_lshlrev_b64 v[47:48], 2, v[3:4]
	v_cndmask_b32_e64 v4, 64, v51, s0
	v_add_co_u32 v45, s0, s12, v45
	v_add_co_ci_u32_e64 v46, s0, s13, v46, s0
	s_delay_alu instid0(TRANS32_DEP_1) | instskip(SKIP_1) | instid1(VALU_DEP_1)
	v_ldexp_f32 v2, v52, v2
	v_cmp_ngt_f32_e64 s0, 0xc2ce8ed0, v11
	v_cndmask_b32_e64 v2, 0, v2, s0
	s_waitcnt lgkmcnt(0)
	v_add_co_u32 v47, s0, s8, v47
	s_delay_alu instid0(VALU_DEP_1) | instskip(SKIP_1) | instid1(VALU_DEP_1)
	v_add_co_ci_u32_e64 v48, s0, s9, v48, s0
	v_cmp_nlt_f32_e64 s0, 0x42b17218, v11
	v_cndmask_b32_e64 v11, 0x7f800000, v2, s0
	v_add_co_u32 v49, s0, s10, v49
	s_delay_alu instid0(VALU_DEP_1)
	v_add_co_ci_u32_e64 v50, s0, s11, v50, s0
	global_store_b32 v[47:48], v4, off
	global_store_b32 v[45:46], v11, off
	;; [unrolled: 1-line block ×3, first 2 shown]
.LBB272_9:
	s_or_b32 exec_lo, exec_lo, s2
	v_ashrrev_i32_e32 v4, 31, v0
	s_mov_b32 s1, exec_lo
	s_delay_alu instid0(VALU_DEP_1) | instskip(NEXT) | instid1(VALU_DEP_1)
	v_lshrrev_b32_e32 v2, 28, v4
	v_add_nc_u32_e32 v2, v0, v2
	s_delay_alu instid0(VALU_DEP_1) | instskip(NEXT) | instid1(VALU_DEP_1)
	v_ashrrev_i32_e32 v2, 4, v2
	v_lshrrev_b32_e32 v6, 30, v2
	s_delay_alu instid0(VALU_DEP_1) | instskip(NEXT) | instid1(VALU_DEP_1)
	v_add_nc_u32_e32 v6, v2, v6
	v_and_b32_e32 v6, -4, v6
	s_delay_alu instid0(VALU_DEP_1) | instskip(NEXT) | instid1(VALU_DEP_1)
	v_sub_nc_u32_e32 v6, v2, v6
	v_cmpx_eq_u32_e64 v9, v6
	s_cbranch_execz .LBB272_11
; %bb.10:
	v_lshrrev_b32_e32 v4, 26, v4
	v_lshlrev_b32_e32 v2, 4, v2
	s_delay_alu instid0(VALU_DEP_2) | instskip(NEXT) | instid1(VALU_DEP_2)
	v_add_nc_u32_e32 v4, v0, v4
	v_sub_nc_u32_e32 v0, v0, v2
	s_delay_alu instid0(VALU_DEP_2) | instskip(NEXT) | instid1(VALU_DEP_1)
	v_ashrrev_i32_e32 v2, 6, v4
	v_lshl_add_u32 v0, v2, 4, v0
	s_delay_alu instid0(VALU_DEP_1) | instskip(NEXT) | instid1(VALU_DEP_1)
	v_cmp_ne_u32_e64 s0, 15, v0
	v_cndmask_b32_e64 v40, 0xff800000, v40, s0
	v_cmp_ne_u32_e64 s0, 14, v0
	s_delay_alu instid0(VALU_DEP_1) | instskip(SKIP_1) | instid1(VALU_DEP_1)
	v_cndmask_b32_e64 v38, 0xff800000, v38, s0
	v_cmp_ne_u32_e64 s0, 13, v0
	v_cndmask_b32_e64 v36, 0xff800000, v36, s0
	v_cmp_ne_u32_e64 s0, 12, v0
	s_delay_alu instid0(VALU_DEP_1) | instskip(SKIP_1) | instid1(VALU_DEP_1)
	v_cndmask_b32_e64 v34, 0xff800000, v34, s0
	;; [unrolled: 5-line block ×7, first 2 shown]
	v_cmp_ne_u32_e64 s0, 1, v0
	v_cndmask_b32_e64 v13, 0xff800000, v13, s0
	v_cmp_ne_u32_e64 s0, 0, v0
	s_delay_alu instid0(VALU_DEP_1)
	v_cndmask_b32_e64 v12, 0xff800000, v12, s0
.LBB272_11:
	s_or_b32 exec_lo, exec_lo, s1
	s_cmp_eq_u32 s4, 1
	s_cbranch_scc1 .LBB272_18
; %bb.12:
	s_add_i32 s18, s18, s16
	v_add_nc_u32_e32 v0, 1, v5
	v_add3_u32 v6, s18, v43, v42
	v_add_nc_u32_e32 v2, 1, v3
	v_add_nc_u32_e32 v4, 1, v1
	s_add_i32 s14, s4, -1
	s_branch .LBB272_14
.LBB272_13:                             ;   in Loop: Header=BB272_14 Depth=1
	s_or_b32 exec_lo, exec_lo, s1
	v_add_nc_u32_e32 v6, s16, v6
	v_add_nc_u32_e32 v0, 1, v0
	;; [unrolled: 1-line block ×4, first 2 shown]
	s_add_i32 s14, s14, -1
	s_delay_alu instid0(SALU_CYCLE_1)
	s_cmp_eq_u32 s14, 0
	s_cbranch_scc1 .LBB272_18
.LBB272_14:                             ; =>This Inner Loop Header: Depth=1
	v_cmp_gt_f32_e64 s0, v13, v12
	s_delay_alu instid0(VALU_DEP_1) | instskip(SKIP_1) | instid1(VALU_DEP_2)
	v_cndmask_b32_e64 v3, v12, v13, s0
	v_cndmask_b32_e64 v1, v10, v14, s0
	v_cmp_gt_f32_e64 s0, v15, v3
	s_delay_alu instid0(VALU_DEP_1) | instskip(NEXT) | instid1(VALU_DEP_3)
	v_cndmask_b32_e64 v3, v3, v15, s0
	v_cndmask_b32_e64 v1, v1, v16, s0
	s_delay_alu instid0(VALU_DEP_2) | instskip(NEXT) | instid1(VALU_DEP_1)
	v_cmp_gt_f32_e64 s0, v17, v3
	v_cndmask_b32_e64 v3, v3, v17, s0
	s_delay_alu instid0(VALU_DEP_3) | instskip(NEXT) | instid1(VALU_DEP_2)
	v_cndmask_b32_e64 v1, v1, v18, s0
	v_cmp_gt_f32_e64 s0, v19, v3
	s_delay_alu instid0(VALU_DEP_1) | instskip(NEXT) | instid1(VALU_DEP_3)
	v_cndmask_b32_e64 v3, v3, v19, s0
	v_cndmask_b32_e64 v1, v1, v20, s0
	s_delay_alu instid0(VALU_DEP_2) | instskip(NEXT) | instid1(VALU_DEP_1)
	v_cmp_gt_f32_e64 s0, v21, v3
	v_cndmask_b32_e64 v3, v3, v21, s0
	s_delay_alu instid0(VALU_DEP_3) | instskip(NEXT) | instid1(VALU_DEP_2)
	;; [unrolled: 9-line block ×6, first 2 shown]
	v_cndmask_b32_e64 v1, v1, v37, s0
	v_cmp_gt_f32_e64 s0, v38, v3
	s_delay_alu instid0(VALU_DEP_1) | instskip(NEXT) | instid1(VALU_DEP_3)
	v_cndmask_b32_e64 v3, v3, v38, s0
	v_cndmask_b32_e64 v1, v1, v39, s0
	s_delay_alu instid0(VALU_DEP_2) | instskip(NEXT) | instid1(VALU_DEP_1)
	v_cmp_gt_f32_e64 s0, v40, v3
	v_cndmask_b32_e64 v5, v1, v41, s0
	v_cndmask_b32_e64 v1, v3, v40, s0
	s_delay_alu instid0(VALU_DEP_2) | instskip(NEXT) | instid1(VALU_DEP_2)
	v_mov_b32_dpp v3, v5 quad_perm:[1,0,3,2] row_mask:0xf bank_mask:0xf
	v_mov_b32_dpp v42, v1 quad_perm:[1,0,3,2] row_mask:0xf bank_mask:0xf
	s_delay_alu instid0(VALU_DEP_2) | instskip(NEXT) | instid1(VALU_DEP_2)
	v_cmp_lt_i32_e64 s0, v3, v5
	v_cmp_eq_f32_e64 s1, v1, v42
	v_cmp_lt_f32_e64 s2, v1, v42
	s_delay_alu instid0(VALU_DEP_2)
	s_and_b32 s0, s1, s0
	s_delay_alu instid0(VALU_DEP_1) | instid1(SALU_CYCLE_1)
	s_or_b32 s0, s2, s0
	s_delay_alu instid0(SALU_CYCLE_1) | instskip(SKIP_1) | instid1(VALU_DEP_2)
	v_cndmask_b32_e64 v1, v1, v42, s0
	v_cndmask_b32_e64 v5, v5, v3, s0
	v_mov_b32_dpp v3, v1 quad_perm:[2,3,0,1] row_mask:0xf bank_mask:0xf
	s_delay_alu instid0(VALU_DEP_2) | instskip(NEXT) | instid1(VALU_DEP_2)
	v_mov_b32_dpp v42, v5 quad_perm:[2,3,0,1] row_mask:0xf bank_mask:0xf
	v_cmp_eq_f32_e64 s0, v1, v3
	s_delay_alu instid0(VALU_DEP_2) | instskip(SKIP_1) | instid1(VALU_DEP_2)
	v_cmp_lt_i32_e64 s1, v42, v5
	v_cmp_lt_f32_e64 s2, v1, v3
	s_and_b32 s0, s0, s1
	s_delay_alu instid0(VALU_DEP_1) | instid1(SALU_CYCLE_1)
	s_or_b32 s0, s2, s0
	s_delay_alu instid0(SALU_CYCLE_1)
	v_cndmask_b32_e64 v42, v5, v42, s0
	s_and_saveexec_b32 s2, vcc_lo
	s_cbranch_execz .LBB272_16
; %bb.15:                               ;   in Loop: Header=BB272_14 Depth=1
	v_cndmask_b32_e64 v1, v1, v3, s0
	s_delay_alu instid0(VALU_DEP_2) | instskip(SKIP_4) | instid1(VALU_DEP_4)
	v_cmp_le_i32_e64 s0, s5, v42
	v_cmp_gt_i32_e64 s1, s6, v42
	v_ashrrev_i32_e32 v5, 31, v4
	v_subrev_nc_u32_e32 v51, s5, v42
	v_sub_f32_e32 v43, v1, v44
	s_and_b32 s0, s0, s1
	s_delay_alu instid0(SALU_CYCLE_1) | instskip(NEXT) | instid1(VALU_DEP_1)
	s_and_b32 s0, s17, s0
	v_mul_f32_e32 v1, 0x3fb8aa3b, v43
	s_delay_alu instid0(VALU_DEP_1) | instskip(SKIP_1) | instid1(VALU_DEP_2)
	v_fma_f32 v3, 0x3fb8aa3b, v43, -v1
	v_rndne_f32_e32 v45, v1
	v_fmac_f32_e32 v3, 0x32a5705f, v43
	s_delay_alu instid0(VALU_DEP_2) | instskip(SKIP_2) | instid1(VALU_DEP_3)
	v_sub_f32_e32 v1, v1, v45
	v_cvt_i32_f32_e32 v50, v45
	v_lshlrev_b64 v[45:46], 2, v[4:5]
	v_add_f32_e32 v1, v1, v3
	v_ashrrev_i32_e32 v3, 31, v2
	s_delay_alu instid0(VALU_DEP_2) | instskip(SKIP_1) | instid1(VALU_DEP_2)
	v_exp_f32_e32 v49, v1
	v_ashrrev_i32_e32 v1, 31, v0
	v_lshlrev_b64 v[47:48], 2, v[2:3]
	s_waitcnt_depctr 0xfff
	v_ldexp_f32 v3, v49, v50
	v_lshlrev_b64 v[49:50], 2, v[0:1]
	v_cndmask_b32_e64 v1, 64, v51, s0
	v_cmp_ngt_f32_e64 s0, 0xc2ce8ed0, v43
	s_delay_alu instid0(VALU_DEP_1) | instskip(SKIP_1) | instid1(VALU_DEP_1)
	v_cndmask_b32_e64 v3, 0, v3, s0
	v_add_co_u32 v45, s0, s12, v45
	v_add_co_ci_u32_e64 v46, s0, s13, v46, s0
	v_cmp_nlt_f32_e64 s0, 0x42b17218, v43
	s_delay_alu instid0(VALU_DEP_1) | instskip(SKIP_2) | instid1(VALU_DEP_1)
	v_cndmask_b32_e64 v3, 0x7f800000, v3, s0
	s_waitcnt lgkmcnt(0)
	v_add_co_u32 v47, s0, s8, v47
	v_add_co_ci_u32_e64 v48, s0, s9, v48, s0
	v_add_co_u32 v49, s0, s10, v49
	v_add_f32_e32 v11, v11, v3
	v_add_co_ci_u32_e64 v50, s0, s11, v50, s0
	global_store_b32 v[45:46], v3, off
	global_store_b32 v[47:48], v1, off
	;; [unrolled: 1-line block ×3, first 2 shown]
.LBB272_16:                             ;   in Loop: Header=BB272_14 Depth=1
	s_or_b32 exec_lo, exec_lo, s2
	s_delay_alu instid0(VALU_DEP_1) | instskip(SKIP_1) | instid1(VALU_DEP_1)
	v_ashrrev_i32_e32 v3, 31, v42
	s_mov_b32 s1, exec_lo
	v_lshrrev_b32_e32 v1, 28, v3
	s_delay_alu instid0(VALU_DEP_1) | instskip(NEXT) | instid1(VALU_DEP_1)
	v_add_nc_u32_e32 v1, v42, v1
	v_ashrrev_i32_e32 v1, 4, v1
	s_delay_alu instid0(VALU_DEP_1) | instskip(NEXT) | instid1(VALU_DEP_1)
	v_lshrrev_b32_e32 v5, 30, v1
	v_add_nc_u32_e32 v5, v1, v5
	s_delay_alu instid0(VALU_DEP_1) | instskip(NEXT) | instid1(VALU_DEP_1)
	v_and_b32_e32 v5, -4, v5
	v_sub_nc_u32_e32 v5, v1, v5
	s_delay_alu instid0(VALU_DEP_1)
	v_cmpx_eq_u32_e64 v9, v5
	s_cbranch_execz .LBB272_13
; %bb.17:                               ;   in Loop: Header=BB272_14 Depth=1
	v_lshrrev_b32_e32 v3, 26, v3
	v_lshlrev_b32_e32 v1, 4, v1
	s_delay_alu instid0(VALU_DEP_2) | instskip(NEXT) | instid1(VALU_DEP_2)
	v_add_nc_u32_e32 v3, v42, v3
	v_sub_nc_u32_e32 v1, v42, v1
	s_delay_alu instid0(VALU_DEP_2) | instskip(NEXT) | instid1(VALU_DEP_1)
	v_ashrrev_i32_e32 v3, 6, v3
	v_lshl_add_u32 v1, v3, 4, v1
	s_delay_alu instid0(VALU_DEP_1) | instskip(NEXT) | instid1(VALU_DEP_1)
	v_cmp_ne_u32_e64 s0, 15, v1
	v_cndmask_b32_e64 v40, 0xff800000, v40, s0
	v_cmp_ne_u32_e64 s0, 14, v1
	s_delay_alu instid0(VALU_DEP_1) | instskip(SKIP_1) | instid1(VALU_DEP_1)
	v_cndmask_b32_e64 v38, 0xff800000, v38, s0
	v_cmp_ne_u32_e64 s0, 13, v1
	v_cndmask_b32_e64 v36, 0xff800000, v36, s0
	v_cmp_ne_u32_e64 s0, 12, v1
	s_delay_alu instid0(VALU_DEP_1) | instskip(SKIP_1) | instid1(VALU_DEP_1)
	v_cndmask_b32_e64 v34, 0xff800000, v34, s0
	;; [unrolled: 5-line block ×7, first 2 shown]
	v_cmp_ne_u32_e64 s0, 1, v1
	v_cndmask_b32_e64 v13, 0xff800000, v13, s0
	v_cmp_ne_u32_e64 s0, 0, v1
	s_delay_alu instid0(VALU_DEP_1)
	v_cndmask_b32_e64 v12, 0xff800000, v12, s0
	s_branch .LBB272_13
.LBB272_18:
	v_cmp_eq_u32_e32 vcc_lo, 0, v9
	v_cmp_neq_f32_e64 s0, 0, v11
	s_delay_alu instid0(VALU_DEP_1) | instskip(NEXT) | instid1(SALU_CYCLE_1)
	s_and_b32 s0, vcc_lo, s0
	s_and_b32 exec_lo, exec_lo, s0
	s_cbranch_execz .LBB272_22
; %bb.19:
	s_and_not1_b32 vcc_lo, exec_lo, s3
	s_cbranch_vccnz .LBB272_22
; %bb.20:
	v_div_scale_f32 v1, null, v11, v11, 1.0
	v_div_scale_f32 v3, vcc_lo, 1.0, v11, 1.0
	s_delay_alu instid0(VALU_DEP_2) | instskip(SKIP_2) | instid1(VALU_DEP_1)
	v_rcp_f32_e32 v2, v1
	s_waitcnt_depctr 0xfff
	v_fma_f32 v0, -v1, v2, 1.0
	v_fmac_f32_e32 v2, v0, v2
	v_mul_lo_u32 v0, v8, s7
	s_delay_alu instid0(VALU_DEP_2) | instskip(NEXT) | instid1(VALU_DEP_1)
	v_mul_f32_e32 v4, v3, v2
	v_fma_f32 v5, -v1, v4, v3
	s_delay_alu instid0(VALU_DEP_1) | instskip(NEXT) | instid1(VALU_DEP_1)
	v_fmac_f32_e32 v4, v5, v2
	v_fma_f32 v3, -v1, v4, v3
	v_ashrrev_i32_e32 v1, 31, v0
	s_delay_alu instid0(VALU_DEP_2) | instskip(NEXT) | instid1(VALU_DEP_2)
	v_div_fmas_f32 v2, v3, v2, v4
	v_lshlrev_b64 v[0:1], 2, v[0:1]
	s_delay_alu instid0(VALU_DEP_2) | instskip(NEXT) | instid1(VALU_DEP_2)
	v_div_fixup_f32 v2, v2, v11, 1.0
	v_add_co_u32 v0, vcc_lo, s12, v0
	s_delay_alu instid0(VALU_DEP_3)
	v_add_co_ci_u32_e32 v1, vcc_lo, s13, v1, vcc_lo
.LBB272_21:                             ; =>This Inner Loop Header: Depth=1
	global_load_b32 v3, v[0:1], off
	s_add_i32 s4, s4, -1
	s_delay_alu instid0(SALU_CYCLE_1)
	s_cmp_lg_u32 s4, 0
	s_waitcnt vmcnt(0)
	v_mul_f32_e32 v3, v2, v3
	global_store_b32 v[0:1], v3, off
	v_add_co_u32 v0, vcc_lo, v0, 4
	v_add_co_ci_u32_e32 v1, vcc_lo, 0, v1, vcc_lo
	s_cbranch_scc1 .LBB272_21
.LBB272_22:
	s_nop 0
	s_sendmsg sendmsg(MSG_DEALLOC_VGPRS)
	s_endpgm
	.section	.rodata,"a",@progbits
	.p2align	6, 0x0
	.amdhsa_kernel _ZN4vllm3moe17topkGatingSoftmaxItLi16ELi64ELi8ELi32ELb1ELi2ELNS0_23SharedExpertScoringFuncE1EEEvPKT_PKbPfiPiS9_iiiiii
		.amdhsa_group_segment_fixed_size 0
		.amdhsa_private_segment_fixed_size 0
		.amdhsa_kernarg_size 72
		.amdhsa_user_sgpr_count 15
		.amdhsa_user_sgpr_dispatch_ptr 0
		.amdhsa_user_sgpr_queue_ptr 0
		.amdhsa_user_sgpr_kernarg_segment_ptr 1
		.amdhsa_user_sgpr_dispatch_id 0
		.amdhsa_user_sgpr_private_segment_size 0
		.amdhsa_wavefront_size32 1
		.amdhsa_uses_dynamic_stack 0
		.amdhsa_enable_private_segment 0
		.amdhsa_system_sgpr_workgroup_id_x 1
		.amdhsa_system_sgpr_workgroup_id_y 0
		.amdhsa_system_sgpr_workgroup_id_z 0
		.amdhsa_system_sgpr_workgroup_info 0
		.amdhsa_system_vgpr_workitem_id 1
		.amdhsa_next_free_vgpr 53
		.amdhsa_next_free_sgpr 19
		.amdhsa_reserve_vcc 1
		.amdhsa_float_round_mode_32 0
		.amdhsa_float_round_mode_16_64 0
		.amdhsa_float_denorm_mode_32 3
		.amdhsa_float_denorm_mode_16_64 3
		.amdhsa_dx10_clamp 1
		.amdhsa_ieee_mode 1
		.amdhsa_fp16_overflow 0
		.amdhsa_workgroup_processor_mode 1
		.amdhsa_memory_ordered 1
		.amdhsa_forward_progress 0
		.amdhsa_shared_vgpr_count 0
		.amdhsa_exception_fp_ieee_invalid_op 0
		.amdhsa_exception_fp_denorm_src 0
		.amdhsa_exception_fp_ieee_div_zero 0
		.amdhsa_exception_fp_ieee_overflow 0
		.amdhsa_exception_fp_ieee_underflow 0
		.amdhsa_exception_fp_ieee_inexact 0
		.amdhsa_exception_int_div_zero 0
	.end_amdhsa_kernel
	.section	.text._ZN4vllm3moe17topkGatingSoftmaxItLi16ELi64ELi8ELi32ELb1ELi2ELNS0_23SharedExpertScoringFuncE1EEEvPKT_PKbPfiPiS9_iiiiii,"axG",@progbits,_ZN4vllm3moe17topkGatingSoftmaxItLi16ELi64ELi8ELi32ELb1ELi2ELNS0_23SharedExpertScoringFuncE1EEEvPKT_PKbPfiPiS9_iiiiii,comdat
.Lfunc_end272:
	.size	_ZN4vllm3moe17topkGatingSoftmaxItLi16ELi64ELi8ELi32ELb1ELi2ELNS0_23SharedExpertScoringFuncE1EEEvPKT_PKbPfiPiS9_iiiiii, .Lfunc_end272-_ZN4vllm3moe17topkGatingSoftmaxItLi16ELi64ELi8ELi32ELb1ELi2ELNS0_23SharedExpertScoringFuncE1EEEvPKT_PKbPfiPiS9_iiiiii
                                        ; -- End function
	.section	.AMDGPU.csdata,"",@progbits
; Kernel info:
; codeLenInByte = 3708
; NumSgprs: 21
; NumVgprs: 53
; ScratchSize: 0
; MemoryBound: 0
; FloatMode: 240
; IeeeMode: 1
; LDSByteSize: 0 bytes/workgroup (compile time only)
; SGPRBlocks: 2
; VGPRBlocks: 6
; NumSGPRsForWavesPerEU: 21
; NumVGPRsForWavesPerEU: 53
; Occupancy: 16
; WaveLimiterHint : 0
; COMPUTE_PGM_RSRC2:SCRATCH_EN: 0
; COMPUTE_PGM_RSRC2:USER_SGPR: 15
; COMPUTE_PGM_RSRC2:TRAP_HANDLER: 0
; COMPUTE_PGM_RSRC2:TGID_X_EN: 1
; COMPUTE_PGM_RSRC2:TGID_Y_EN: 0
; COMPUTE_PGM_RSRC2:TGID_Z_EN: 0
; COMPUTE_PGM_RSRC2:TIDIG_COMP_CNT: 1
	.section	.text._ZN4vllm3moe17topkGatingSoftmaxItLi16ELi64ELi8ELi32ELb0ELi2ELNS0_23SharedExpertScoringFuncE1EEEvPKT_PKbPfiPiS9_iiiiii,"axG",@progbits,_ZN4vllm3moe17topkGatingSoftmaxItLi16ELi64ELi8ELi32ELb0ELi2ELNS0_23SharedExpertScoringFuncE1EEEvPKT_PKbPfiPiS9_iiiiii,comdat
	.protected	_ZN4vllm3moe17topkGatingSoftmaxItLi16ELi64ELi8ELi32ELb0ELi2ELNS0_23SharedExpertScoringFuncE1EEEvPKT_PKbPfiPiS9_iiiiii ; -- Begin function _ZN4vllm3moe17topkGatingSoftmaxItLi16ELi64ELi8ELi32ELb0ELi2ELNS0_23SharedExpertScoringFuncE1EEEvPKT_PKbPfiPiS9_iiiiii
	.globl	_ZN4vllm3moe17topkGatingSoftmaxItLi16ELi64ELi8ELi32ELb0ELi2ELNS0_23SharedExpertScoringFuncE1EEEvPKT_PKbPfiPiS9_iiiiii
	.p2align	8
	.type	_ZN4vllm3moe17topkGatingSoftmaxItLi16ELi64ELi8ELi32ELb0ELi2ELNS0_23SharedExpertScoringFuncE1EEEvPKT_PKbPfiPiS9_iiiiii,@function
_ZN4vllm3moe17topkGatingSoftmaxItLi16ELi64ELi8ELi32ELb0ELi2ELNS0_23SharedExpertScoringFuncE1EEEvPKT_PKbPfiPiS9_iiiiii: ; @_ZN4vllm3moe17topkGatingSoftmaxItLi16ELi64ELi8ELi32ELb0ELi2ELNS0_23SharedExpertScoringFuncE1EEEvPKT_PKbPfiPiS9_iiiiii
; %bb.0:
	s_load_b32 s16, s[0:1], 0x18
	v_bfe_u32 v1, v0, 10, 10
	v_and_b32_e32 v0, 0x3ff, v0
	s_lshl_b32 s18, s15, 6
	s_mov_b32 s2, exec_lo
	s_delay_alu instid0(VALU_DEP_2) | instskip(NEXT) | instid1(VALU_DEP_2)
	v_lshlrev_b32_e32 v40, 3, v1
	v_lshrrev_b32_e32 v41, 2, v0
	s_delay_alu instid0(VALU_DEP_1) | instskip(SKIP_1) | instid1(VALU_DEP_1)
	v_add3_u32 v8, s18, v40, v41
	s_waitcnt lgkmcnt(0)
	v_cmpx_gt_i32_e64 s16, v8
	s_cbranch_execz .LBB273_23
; %bb.1:
	s_clause 0x1
	s_load_b128 s[4:7], s[0:1], 0x0
	s_load_b64 s[12:13], s[0:1], 0x10
	s_waitcnt lgkmcnt(0)
	s_cmp_eq_u64 s[6:7], 0
	s_cbranch_scc1 .LBB273_3
; %bb.2:
	v_ashrrev_i32_e32 v2, 31, v8
	v_add_co_u32 v1, vcc_lo, s6, v8
	s_delay_alu instid0(VALU_DEP_2) | instskip(SKIP_3) | instid1(VALU_DEP_1)
	v_add_co_ci_u32_e32 v2, vcc_lo, s7, v2, vcc_lo
	global_load_u8 v1, v[1:2], off
	s_waitcnt vmcnt(0)
	v_and_b32_e32 v1, 1, v1
	v_cmp_eq_u32_e32 vcc_lo, 1, v1
	s_xor_b32 s2, vcc_lo, -1
	s_delay_alu instid0(SALU_CYCLE_1)
	s_or_not1_b32 s17, s2, exec_lo
	s_branch .LBB273_4
.LBB273_3:
	s_mov_b32 s17, -1
.LBB273_4:
	s_load_b64 s[14:15], s[0:1], 0x40
	v_dual_mov_b32 v10, 0 :: v_dual_and_b32 v9, 3, v0
	s_mov_b32 s2, exec_lo
	s_delay_alu instid0(VALU_DEP_1) | instskip(SKIP_2) | instid1(VALU_DEP_1)
	v_lshlrev_b32_e32 v22, 4, v9
	s_waitcnt lgkmcnt(0)
	v_mul_lo_u32 v1, v8, s15
	v_ashrrev_i32_e32 v2, 31, v1
	s_delay_alu instid0(VALU_DEP_1) | instskip(SKIP_1) | instid1(VALU_DEP_2)
	v_lshlrev_b64 v[0:1], 1, v[1:2]
	v_lshlrev_b32_e32 v2, 5, v9
	v_add_co_u32 v11, vcc_lo, s4, v0
	s_delay_alu instid0(VALU_DEP_3) | instskip(SKIP_1) | instid1(VALU_DEP_2)
	v_add_co_ci_u32_e32 v12, vcc_lo, s5, v1, vcc_lo
	s_load_b128 s[4:7], s[0:1], 0x30
	v_add_co_u32 v4, vcc_lo, v11, v2
	s_delay_alu instid0(VALU_DEP_2)
	v_add_co_ci_u32_e32 v5, vcc_lo, 0, v12, vcc_lo
	s_clause 0x1
	global_load_b128 v[0:3], v[4:5], off offset:16
	global_load_b128 v[4:7], v[4:5], off
	v_cmpx_gt_u32_e32 2, v9
	s_cbranch_execz .LBB273_6
; %bb.5:
	v_lshlrev_b32_e32 v13, 1, v9
	s_delay_alu instid0(VALU_DEP_1) | instskip(SKIP_4) | instid1(VALU_DEP_1)
	v_add_co_u32 v11, vcc_lo, v11, v13
	v_add_co_ci_u32_e32 v12, vcc_lo, 0, v12, vcc_lo
	global_load_u16 v11, v[11:12], off offset:128
	s_waitcnt vmcnt(0)
	v_cvt_f32_u32_e32 v11, v11
	v_mul_f32_e32 v12, 0xbfb8aa3b, v11
	v_cmp_nlt_f32_e32 vcc_lo, 0x42ce8ed0, v11
	s_delay_alu instid0(VALU_DEP_2) | instskip(SKIP_1) | instid1(VALU_DEP_1)
	v_fma_f32 v13, 0xbfb8aa3b, v11, -v12
	v_rndne_f32_e32 v14, v12
	v_dual_fmamk_f32 v13, v11, 0xb2a5705f, v13 :: v_dual_sub_f32 v12, v12, v14
	s_delay_alu instid0(VALU_DEP_1) | instskip(SKIP_1) | instid1(VALU_DEP_2)
	v_add_f32_e32 v12, v12, v13
	v_cvt_i32_f32_e32 v13, v14
	v_exp_f32_e32 v12, v12
	s_waitcnt_depctr 0xfff
	v_ldexp_f32 v12, v12, v13
	s_delay_alu instid0(VALU_DEP_1) | instskip(SKIP_1) | instid1(VALU_DEP_2)
	v_cndmask_b32_e32 v12, 0, v12, vcc_lo
	v_cmp_ngt_f32_e32 vcc_lo, 0xc2b17218, v11
	v_cndmask_b32_e32 v11, 0x7f800000, v12, vcc_lo
	s_delay_alu instid0(VALU_DEP_1) | instskip(NEXT) | instid1(VALU_DEP_1)
	v_add_f32_e32 v13, 1.0, v11
	v_div_scale_f32 v12, null, v13, v13, 1.0
	v_div_scale_f32 v15, vcc_lo, 1.0, v13, 1.0
	s_delay_alu instid0(VALU_DEP_2) | instskip(SKIP_2) | instid1(VALU_DEP_1)
	v_rcp_f32_e32 v14, v12
	s_waitcnt_depctr 0xfff
	v_fma_f32 v11, -v12, v14, 1.0
	v_fmac_f32_e32 v14, v11, v14
	s_waitcnt lgkmcnt(0)
	v_mul_lo_u32 v11, v8, s7
	s_delay_alu instid0(VALU_DEP_2) | instskip(NEXT) | instid1(VALU_DEP_2)
	v_mul_f32_e32 v16, v15, v14
	v_add3_u32 v11, v11, s4, v9
	s_delay_alu instid0(VALU_DEP_2) | instskip(NEXT) | instid1(VALU_DEP_1)
	v_fma_f32 v17, -v12, v16, v15
	v_fmac_f32_e32 v16, v17, v14
	s_delay_alu instid0(VALU_DEP_1) | instskip(NEXT) | instid1(VALU_DEP_4)
	v_fma_f32 v15, -v12, v16, v15
	v_ashrrev_i32_e32 v12, 31, v11
	s_delay_alu instid0(VALU_DEP_2) | instskip(NEXT) | instid1(VALU_DEP_2)
	v_div_fmas_f32 v14, v15, v14, v16
	v_lshlrev_b64 v[11:12], 2, v[11:12]
	s_delay_alu instid0(VALU_DEP_2) | instskip(NEXT) | instid1(VALU_DEP_2)
	v_div_fixup_f32 v13, v14, v13, 1.0
	v_add_co_u32 v11, vcc_lo, s12, v11
	s_delay_alu instid0(VALU_DEP_3)
	v_add_co_ci_u32_e32 v12, vcc_lo, s13, v12, vcc_lo
	global_store_b32 v[11:12], v13, off
.LBB273_6:
	s_or_b32 exec_lo, exec_lo, s2
	v_or_b32_e32 v29, 2, v22
	s_waitcnt vmcnt(0)
	v_and_b32_e32 v11, 0xffff, v4
	v_lshrrev_b32_e32 v4, 16, v4
	v_or_b32_e32 v28, 1, v22
	v_or_b32_e32 v30, 3, v22
	;; [unrolled: 1-line block ×3, first 2 shown]
	v_cvt_f32_u32_e32 v25, v11
	v_cvt_f32_u32_e32 v23, v4
	v_or_b32_e32 v32, 5, v22
	v_or_b32_e32 v33, 6, v22
	;; [unrolled: 1-line block ×4, first 2 shown]
	v_cmp_lt_f32_e32 vcc_lo, v25, v23
	v_and_b32_e32 v4, 0xffff, v5
	v_lshrrev_b32_e32 v5, 16, v5
	v_or_b32_e32 v36, 9, v22
	v_or_b32_e32 v37, 10, v22
	v_cndmask_b32_e32 v11, v25, v23, vcc_lo
	v_cvt_f32_u32_e32 v27, v4
	v_cndmask_b32_e32 v4, v22, v28, vcc_lo
	v_cvt_f32_u32_e32 v26, v5
	v_or_b32_e32 v38, 11, v22
	v_or_b32_e32 v39, 12, v22
	v_cmp_lt_f32_e32 vcc_lo, v11, v27
	v_or_b32_e32 v42, 13, v22
	v_or_b32_e32 v43, 14, v22
	;; [unrolled: 1-line block ×3, first 2 shown]
	v_dual_cndmask_b32 v5, v11, v27 :: v_dual_cndmask_b32 v4, v4, v29
	s_delay_alu instid0(VALU_DEP_1) | instskip(SKIP_1) | instid1(VALU_DEP_3)
	v_cmp_lt_f32_e32 vcc_lo, v5, v26
	v_cndmask_b32_e32 v5, v5, v26, vcc_lo
	v_cndmask_b32_e32 v4, v4, v30, vcc_lo
	v_and_b32_e32 v11, 0xffff, v6
	v_lshrrev_b32_e32 v6, 16, v6
	s_delay_alu instid0(VALU_DEP_2) | instskip(NEXT) | instid1(VALU_DEP_2)
	v_cvt_f32_u32_e32 v24, v11
	v_cvt_f32_u32_e32 v21, v6
	v_and_b32_e32 v6, 0xffff, v7
	s_delay_alu instid0(VALU_DEP_3) | instskip(NEXT) | instid1(VALU_DEP_2)
	v_cmp_lt_f32_e32 vcc_lo, v5, v24
	v_cvt_f32_u32_e32 v20, v6
	v_lshrrev_b32_e32 v6, 16, v7
	v_dual_cndmask_b32 v5, v5, v24 :: v_dual_cndmask_b32 v4, v4, v31
	s_delay_alu instid0(VALU_DEP_2) | instskip(NEXT) | instid1(VALU_DEP_2)
	v_cvt_f32_u32_e32 v19, v6
	v_cmp_lt_f32_e32 vcc_lo, v5, v21
	s_delay_alu instid0(VALU_DEP_3) | instskip(NEXT) | instid1(VALU_DEP_1)
	v_dual_cndmask_b32 v4, v4, v32 :: v_dual_cndmask_b32 v5, v5, v21
	v_cmp_lt_f32_e32 vcc_lo, v5, v20
	s_delay_alu instid0(VALU_DEP_2) | instskip(NEXT) | instid1(VALU_DEP_1)
	v_dual_cndmask_b32 v4, v4, v33 :: v_dual_cndmask_b32 v5, v5, v20
	v_cmp_lt_f32_e32 vcc_lo, v5, v19
	v_and_b32_e32 v6, 0xffff, v0
	v_lshrrev_b32_e32 v0, 16, v0
	v_cndmask_b32_e32 v5, v5, v19, vcc_lo
	s_delay_alu instid0(VALU_DEP_3) | instskip(SKIP_1) | instid1(VALU_DEP_4)
	v_cvt_f32_u32_e32 v18, v6
	v_cndmask_b32_e32 v4, v4, v34, vcc_lo
	v_cvt_f32_u32_e32 v17, v0
	s_delay_alu instid0(VALU_DEP_3) | instskip(NEXT) | instid1(VALU_DEP_3)
	v_cmp_lt_f32_e32 vcc_lo, v5, v18
	v_cndmask_b32_e32 v0, v4, v35, vcc_lo
	v_dual_cndmask_b32 v4, v5, v18 :: v_dual_and_b32 v5, 0xffff, v1
	v_lshrrev_b32_e32 v1, 16, v1
	s_delay_alu instid0(VALU_DEP_2) | instskip(NEXT) | instid1(VALU_DEP_3)
	v_cmp_lt_f32_e32 vcc_lo, v4, v17
	v_cvt_f32_u32_e32 v16, v5
	s_delay_alu instid0(VALU_DEP_3) | instskip(SKIP_2) | instid1(VALU_DEP_2)
	v_cvt_f32_u32_e32 v15, v1
	v_cndmask_b32_e32 v4, v4, v17, vcc_lo
	v_cndmask_b32_e32 v0, v0, v36, vcc_lo
	v_cmp_lt_f32_e32 vcc_lo, v4, v16
	v_dual_cndmask_b32 v1, v4, v16 :: v_dual_and_b32 v4, 0xffff, v2
	v_lshrrev_b32_e32 v2, 16, v2
	s_delay_alu instid0(VALU_DEP_2) | instskip(NEXT) | instid1(VALU_DEP_2)
	v_cvt_f32_u32_e32 v14, v4
	v_cvt_f32_u32_e32 v12, v2
	v_and_b32_e32 v2, 0xffff, v3
	s_delay_alu instid0(VALU_DEP_1) | instskip(SKIP_4) | instid1(VALU_DEP_2)
	v_cvt_f32_u32_e32 v11, v2
	v_cndmask_b32_e32 v0, v0, v37, vcc_lo
	v_cmp_lt_f32_e32 vcc_lo, v1, v15
	v_lshrrev_b32_e32 v2, 16, v3
	v_cndmask_b32_e32 v1, v1, v15, vcc_lo
	v_cvt_f32_u32_e32 v7, v2
	v_cndmask_b32_e32 v0, v0, v38, vcc_lo
	s_delay_alu instid0(VALU_DEP_3) | instskip(NEXT) | instid1(VALU_DEP_2)
	v_cmp_lt_f32_e32 vcc_lo, v1, v14
	v_dual_cndmask_b32 v1, v1, v14 :: v_dual_cndmask_b32 v0, v0, v39
	s_delay_alu instid0(VALU_DEP_1) | instskip(NEXT) | instid1(VALU_DEP_2)
	v_cmp_lt_f32_e32 vcc_lo, v1, v12
	v_dual_cndmask_b32 v1, v1, v12 :: v_dual_cndmask_b32 v0, v0, v42
	s_delay_alu instid0(VALU_DEP_1) | instskip(SKIP_1) | instid1(VALU_DEP_3)
	v_cmp_lt_f32_e32 vcc_lo, v1, v11
	v_cndmask_b32_e32 v1, v1, v11, vcc_lo
	v_cndmask_b32_e32 v0, v0, v43, vcc_lo
	s_delay_alu instid0(VALU_DEP_2) | instskip(NEXT) | instid1(VALU_DEP_2)
	v_cmp_lt_f32_e32 vcc_lo, v1, v7
	v_dual_cndmask_b32 v0, v0, v44 :: v_dual_cndmask_b32 v1, v1, v7
	s_delay_alu instid0(VALU_DEP_1) | instskip(NEXT) | instid1(VALU_DEP_2)
	v_mov_b32_dpp v2, v0 quad_perm:[1,0,3,2] row_mask:0xf bank_mask:0xf
	v_mov_b32_dpp v3, v1 quad_perm:[1,0,3,2] row_mask:0xf bank_mask:0xf
	s_delay_alu instid0(VALU_DEP_2) | instskip(NEXT) | instid1(VALU_DEP_2)
	v_cmp_lt_i32_e32 vcc_lo, v2, v0
	v_cmp_eq_f32_e64 s2, v1, v3
	v_cmp_lt_f32_e64 s3, v1, v3
	s_delay_alu instid0(VALU_DEP_2)
	s_and_b32 s2, s2, vcc_lo
	s_delay_alu instid0(VALU_DEP_1) | instid1(SALU_CYCLE_1)
	s_or_b32 vcc_lo, s3, s2
	v_dual_cndmask_b32 v1, v1, v3 :: v_dual_cndmask_b32 v0, v0, v2
	s_delay_alu instid0(VALU_DEP_1) | instskip(NEXT) | instid1(VALU_DEP_2)
	v_mov_b32_dpp v3, v1 quad_perm:[2,3,0,1] row_mask:0xf bank_mask:0xf
	v_mov_b32_dpp v2, v0 quad_perm:[2,3,0,1] row_mask:0xf bank_mask:0xf
	s_delay_alu instid0(VALU_DEP_2) | instskip(NEXT) | instid1(VALU_DEP_2)
	v_cmp_eq_f32_e32 vcc_lo, v1, v3
	v_cmp_lt_i32_e64 s2, v2, v0
	v_cmp_lt_f32_e64 s3, v1, v3
	s_delay_alu instid0(VALU_DEP_2) | instskip(SKIP_1) | instid1(VALU_DEP_2)
	s_and_b32 s2, vcc_lo, s2
	v_cmp_eq_u32_e32 vcc_lo, 0, v9
	s_or_b32 s2, s3, s2
	s_waitcnt lgkmcnt(0)
	s_cmp_gt_i32 s4, 0
	v_cndmask_b32_e64 v13, v1, v3, s2
	s_cselect_b32 s3, -1, 0
	s_cmp_lt_i32 s4, 1
	s_cbranch_scc1 .LBB273_18
; %bb.7:
	s_load_b128 s[8:11], s[0:1], 0x20
	v_mul_lo_u32 v1, v8, s7
	v_mul_lo_u32 v3, v8, s14
	;; [unrolled: 1-line block ×3, first 2 shown]
	v_cndmask_b32_e64 v0, v0, v2, s2
	v_mov_b32_e32 v10, 0
	s_and_saveexec_b32 s2, vcc_lo
	s_cbranch_execz .LBB273_9
; %bb.8:
	v_sub_f32_e32 v10, v13, v13
	v_cmp_le_i32_e64 s0, s5, v0
	v_cmp_gt_i32_e64 s1, s6, v0
	v_subrev_nc_u32_e32 v51, s5, v0
	v_ashrrev_i32_e32 v6, 31, v5
	v_mul_f32_e32 v2, 0x3fb8aa3b, v10
	s_delay_alu instid0(VALU_DEP_4) | instskip(NEXT) | instid1(SALU_CYCLE_1)
	s_and_b32 s0, s0, s1
	s_and_b32 s0, s17, s0
	s_delay_alu instid0(VALU_DEP_1) | instskip(SKIP_2) | instid1(VALU_DEP_3)
	v_rndne_f32_e32 v47, v2
	v_fma_f32 v4, 0x3fb8aa3b, v10, -v2
	v_lshlrev_b64 v[49:50], 2, v[5:6]
	v_sub_f32_e32 v2, v2, v47
	s_delay_alu instid0(VALU_DEP_3) | instskip(NEXT) | instid1(VALU_DEP_1)
	v_fmamk_f32 v4, v10, 0x32a5705f, v4
	v_add_f32_e32 v4, v2, v4
	v_ashrrev_i32_e32 v2, 31, v1
	s_delay_alu instid0(VALU_DEP_2) | instskip(NEXT) | instid1(VALU_DEP_1)
	v_exp_f32_e32 v52, v4
	v_lshlrev_b64 v[45:46], 2, v[1:2]
	v_ashrrev_i32_e32 v4, 31, v3
	v_cvt_i32_f32_e32 v2, v47
	s_delay_alu instid0(VALU_DEP_2) | instskip(SKIP_2) | instid1(VALU_DEP_1)
	v_lshlrev_b64 v[47:48], 2, v[3:4]
	v_cndmask_b32_e64 v4, 64, v51, s0
	v_add_co_u32 v45, s0, s12, v45
	v_add_co_ci_u32_e64 v46, s0, s13, v46, s0
	s_delay_alu instid0(TRANS32_DEP_1) | instskip(SKIP_1) | instid1(VALU_DEP_1)
	v_ldexp_f32 v2, v52, v2
	v_cmp_ngt_f32_e64 s0, 0xc2ce8ed0, v10
	v_cndmask_b32_e64 v2, 0, v2, s0
	s_waitcnt lgkmcnt(0)
	v_add_co_u32 v47, s0, s8, v47
	s_delay_alu instid0(VALU_DEP_1) | instskip(SKIP_1) | instid1(VALU_DEP_1)
	v_add_co_ci_u32_e64 v48, s0, s9, v48, s0
	v_cmp_nlt_f32_e64 s0, 0x42b17218, v10
	v_cndmask_b32_e64 v10, 0x7f800000, v2, s0
	v_add_co_u32 v49, s0, s10, v49
	s_delay_alu instid0(VALU_DEP_1)
	v_add_co_ci_u32_e64 v50, s0, s11, v50, s0
	global_store_b32 v[47:48], v4, off
	global_store_b32 v[45:46], v10, off
	;; [unrolled: 1-line block ×3, first 2 shown]
.LBB273_9:
	s_or_b32 exec_lo, exec_lo, s2
	v_ashrrev_i32_e32 v4, 31, v0
	s_mov_b32 s1, exec_lo
	s_delay_alu instid0(VALU_DEP_1) | instskip(NEXT) | instid1(VALU_DEP_1)
	v_lshrrev_b32_e32 v2, 28, v4
	v_add_nc_u32_e32 v2, v0, v2
	s_delay_alu instid0(VALU_DEP_1) | instskip(NEXT) | instid1(VALU_DEP_1)
	v_ashrrev_i32_e32 v2, 4, v2
	v_lshrrev_b32_e32 v6, 30, v2
	s_delay_alu instid0(VALU_DEP_1) | instskip(NEXT) | instid1(VALU_DEP_1)
	v_add_nc_u32_e32 v6, v2, v6
	v_and_b32_e32 v6, -4, v6
	s_delay_alu instid0(VALU_DEP_1) | instskip(NEXT) | instid1(VALU_DEP_1)
	v_sub_nc_u32_e32 v6, v2, v6
	v_cmpx_eq_u32_e64 v9, v6
	s_cbranch_execz .LBB273_11
; %bb.10:
	v_lshrrev_b32_e32 v4, 26, v4
	v_lshlrev_b32_e32 v2, 4, v2
	s_delay_alu instid0(VALU_DEP_2) | instskip(NEXT) | instid1(VALU_DEP_2)
	v_add_nc_u32_e32 v4, v0, v4
	v_sub_nc_u32_e32 v0, v0, v2
	s_delay_alu instid0(VALU_DEP_2) | instskip(NEXT) | instid1(VALU_DEP_1)
	v_ashrrev_i32_e32 v2, 6, v4
	v_lshl_add_u32 v0, v2, 4, v0
	s_delay_alu instid0(VALU_DEP_1) | instskip(NEXT) | instid1(VALU_DEP_1)
	v_cmp_ne_u32_e64 s0, 15, v0
	v_cndmask_b32_e64 v7, 0xff800000, v7, s0
	v_cmp_ne_u32_e64 s0, 14, v0
	s_delay_alu instid0(VALU_DEP_1) | instskip(SKIP_1) | instid1(VALU_DEP_1)
	v_cndmask_b32_e64 v11, 0xff800000, v11, s0
	v_cmp_ne_u32_e64 s0, 13, v0
	v_cndmask_b32_e64 v12, 0xff800000, v12, s0
	v_cmp_ne_u32_e64 s0, 12, v0
	s_delay_alu instid0(VALU_DEP_1) | instskip(SKIP_1) | instid1(VALU_DEP_1)
	v_cndmask_b32_e64 v14, 0xff800000, v14, s0
	;; [unrolled: 5-line block ×7, first 2 shown]
	v_cmp_ne_u32_e64 s0, 1, v0
	v_cndmask_b32_e64 v23, 0xff800000, v23, s0
	v_cmp_ne_u32_e64 s0, 0, v0
	s_delay_alu instid0(VALU_DEP_1)
	v_cndmask_b32_e64 v25, 0xff800000, v25, s0
.LBB273_11:
	s_or_b32 exec_lo, exec_lo, s1
	s_cmp_eq_u32 s4, 1
	s_cbranch_scc1 .LBB273_18
; %bb.12:
	s_add_i32 s18, s18, s16
	v_add_nc_u32_e32 v0, 1, v5
	v_add3_u32 v6, s18, v41, v40
	v_add_nc_u32_e32 v2, 1, v3
	v_add_nc_u32_e32 v4, 1, v1
	s_add_i32 s14, s4, -1
	s_branch .LBB273_14
.LBB273_13:                             ;   in Loop: Header=BB273_14 Depth=1
	s_or_b32 exec_lo, exec_lo, s1
	v_add_nc_u32_e32 v6, s16, v6
	v_add_nc_u32_e32 v0, 1, v0
	;; [unrolled: 1-line block ×4, first 2 shown]
	s_add_i32 s14, s14, -1
	s_delay_alu instid0(SALU_CYCLE_1)
	s_cmp_eq_u32 s14, 0
	s_cbranch_scc1 .LBB273_18
.LBB273_14:                             ; =>This Inner Loop Header: Depth=1
	v_cmp_gt_f32_e64 s0, v23, v25
	s_delay_alu instid0(VALU_DEP_1) | instskip(SKIP_1) | instid1(VALU_DEP_2)
	v_cndmask_b32_e64 v3, v25, v23, s0
	v_cndmask_b32_e64 v1, v22, v28, s0
	v_cmp_gt_f32_e64 s0, v27, v3
	s_delay_alu instid0(VALU_DEP_1) | instskip(NEXT) | instid1(VALU_DEP_3)
	v_cndmask_b32_e64 v3, v3, v27, s0
	v_cndmask_b32_e64 v1, v1, v29, s0
	s_delay_alu instid0(VALU_DEP_2) | instskip(NEXT) | instid1(VALU_DEP_1)
	v_cmp_gt_f32_e64 s0, v26, v3
	v_cndmask_b32_e64 v3, v3, v26, s0
	s_delay_alu instid0(VALU_DEP_3) | instskip(NEXT) | instid1(VALU_DEP_2)
	v_cndmask_b32_e64 v1, v1, v30, s0
	v_cmp_gt_f32_e64 s0, v24, v3
	s_delay_alu instid0(VALU_DEP_1) | instskip(NEXT) | instid1(VALU_DEP_3)
	v_cndmask_b32_e64 v3, v3, v24, s0
	v_cndmask_b32_e64 v1, v1, v31, s0
	s_delay_alu instid0(VALU_DEP_2) | instskip(NEXT) | instid1(VALU_DEP_1)
	v_cmp_gt_f32_e64 s0, v21, v3
	v_cndmask_b32_e64 v3, v3, v21, s0
	s_delay_alu instid0(VALU_DEP_3) | instskip(NEXT) | instid1(VALU_DEP_2)
	;; [unrolled: 9-line block ×6, first 2 shown]
	v_cndmask_b32_e64 v1, v1, v42, s0
	v_cmp_gt_f32_e64 s0, v11, v3
	s_delay_alu instid0(VALU_DEP_1) | instskip(NEXT) | instid1(VALU_DEP_3)
	v_cndmask_b32_e64 v3, v3, v11, s0
	v_cndmask_b32_e64 v1, v1, v43, s0
	s_delay_alu instid0(VALU_DEP_2) | instskip(NEXT) | instid1(VALU_DEP_1)
	v_cmp_gt_f32_e64 s0, v7, v3
	v_cndmask_b32_e64 v5, v1, v44, s0
	v_cndmask_b32_e64 v1, v3, v7, s0
	s_delay_alu instid0(VALU_DEP_2) | instskip(NEXT) | instid1(VALU_DEP_2)
	v_mov_b32_dpp v3, v5 quad_perm:[1,0,3,2] row_mask:0xf bank_mask:0xf
	v_mov_b32_dpp v40, v1 quad_perm:[1,0,3,2] row_mask:0xf bank_mask:0xf
	s_delay_alu instid0(VALU_DEP_2) | instskip(NEXT) | instid1(VALU_DEP_2)
	v_cmp_lt_i32_e64 s0, v3, v5
	v_cmp_eq_f32_e64 s1, v1, v40
	v_cmp_lt_f32_e64 s2, v1, v40
	s_delay_alu instid0(VALU_DEP_2)
	s_and_b32 s0, s1, s0
	s_delay_alu instid0(VALU_DEP_1) | instid1(SALU_CYCLE_1)
	s_or_b32 s0, s2, s0
	s_delay_alu instid0(SALU_CYCLE_1) | instskip(SKIP_1) | instid1(VALU_DEP_2)
	v_cndmask_b32_e64 v1, v1, v40, s0
	v_cndmask_b32_e64 v5, v5, v3, s0
	v_mov_b32_dpp v3, v1 quad_perm:[2,3,0,1] row_mask:0xf bank_mask:0xf
	s_delay_alu instid0(VALU_DEP_2) | instskip(NEXT) | instid1(VALU_DEP_2)
	v_mov_b32_dpp v40, v5 quad_perm:[2,3,0,1] row_mask:0xf bank_mask:0xf
	v_cmp_eq_f32_e64 s0, v1, v3
	s_delay_alu instid0(VALU_DEP_2) | instskip(SKIP_1) | instid1(VALU_DEP_2)
	v_cmp_lt_i32_e64 s1, v40, v5
	v_cmp_lt_f32_e64 s2, v1, v3
	s_and_b32 s0, s0, s1
	s_delay_alu instid0(VALU_DEP_1) | instid1(SALU_CYCLE_1)
	s_or_b32 s0, s2, s0
	s_delay_alu instid0(SALU_CYCLE_1)
	v_cndmask_b32_e64 v40, v5, v40, s0
	s_and_saveexec_b32 s2, vcc_lo
	s_cbranch_execz .LBB273_16
; %bb.15:                               ;   in Loop: Header=BB273_14 Depth=1
	v_cndmask_b32_e64 v1, v1, v3, s0
	s_delay_alu instid0(VALU_DEP_2) | instskip(SKIP_4) | instid1(VALU_DEP_4)
	v_cmp_le_i32_e64 s0, s5, v40
	v_cmp_gt_i32_e64 s1, s6, v40
	v_ashrrev_i32_e32 v5, 31, v4
	v_subrev_nc_u32_e32 v51, s5, v40
	v_sub_f32_e32 v41, v1, v13
	s_and_b32 s0, s0, s1
	s_delay_alu instid0(SALU_CYCLE_1) | instskip(NEXT) | instid1(VALU_DEP_1)
	s_and_b32 s0, s17, s0
	v_mul_f32_e32 v1, 0x3fb8aa3b, v41
	s_delay_alu instid0(VALU_DEP_1) | instskip(SKIP_1) | instid1(VALU_DEP_2)
	v_fma_f32 v3, 0x3fb8aa3b, v41, -v1
	v_rndne_f32_e32 v45, v1
	v_fmac_f32_e32 v3, 0x32a5705f, v41
	s_delay_alu instid0(VALU_DEP_2) | instskip(SKIP_2) | instid1(VALU_DEP_3)
	v_sub_f32_e32 v1, v1, v45
	v_cvt_i32_f32_e32 v50, v45
	v_lshlrev_b64 v[45:46], 2, v[4:5]
	v_add_f32_e32 v1, v1, v3
	v_ashrrev_i32_e32 v3, 31, v2
	s_delay_alu instid0(VALU_DEP_2) | instskip(SKIP_1) | instid1(VALU_DEP_2)
	v_exp_f32_e32 v49, v1
	v_ashrrev_i32_e32 v1, 31, v0
	v_lshlrev_b64 v[47:48], 2, v[2:3]
	s_waitcnt_depctr 0xfff
	v_ldexp_f32 v3, v49, v50
	v_lshlrev_b64 v[49:50], 2, v[0:1]
	v_cndmask_b32_e64 v1, 64, v51, s0
	v_cmp_ngt_f32_e64 s0, 0xc2ce8ed0, v41
	s_delay_alu instid0(VALU_DEP_1) | instskip(SKIP_1) | instid1(VALU_DEP_1)
	v_cndmask_b32_e64 v3, 0, v3, s0
	v_add_co_u32 v45, s0, s12, v45
	v_add_co_ci_u32_e64 v46, s0, s13, v46, s0
	v_cmp_nlt_f32_e64 s0, 0x42b17218, v41
	s_delay_alu instid0(VALU_DEP_1) | instskip(SKIP_2) | instid1(VALU_DEP_1)
	v_cndmask_b32_e64 v3, 0x7f800000, v3, s0
	s_waitcnt lgkmcnt(0)
	v_add_co_u32 v47, s0, s8, v47
	v_add_co_ci_u32_e64 v48, s0, s9, v48, s0
	s_delay_alu instid0(VALU_DEP_3) | instskip(SKIP_1) | instid1(VALU_DEP_1)
	v_add_f32_e32 v10, v10, v3
	v_add_co_u32 v49, s0, s10, v49
	v_add_co_ci_u32_e64 v50, s0, s11, v50, s0
	global_store_b32 v[45:46], v3, off
	global_store_b32 v[47:48], v1, off
	;; [unrolled: 1-line block ×3, first 2 shown]
.LBB273_16:                             ;   in Loop: Header=BB273_14 Depth=1
	s_or_b32 exec_lo, exec_lo, s2
	s_delay_alu instid0(VALU_DEP_1) | instskip(SKIP_1) | instid1(VALU_DEP_1)
	v_ashrrev_i32_e32 v3, 31, v40
	s_mov_b32 s1, exec_lo
	v_lshrrev_b32_e32 v1, 28, v3
	s_delay_alu instid0(VALU_DEP_1) | instskip(NEXT) | instid1(VALU_DEP_1)
	v_add_nc_u32_e32 v1, v40, v1
	v_ashrrev_i32_e32 v1, 4, v1
	s_delay_alu instid0(VALU_DEP_1) | instskip(NEXT) | instid1(VALU_DEP_1)
	v_lshrrev_b32_e32 v5, 30, v1
	v_add_nc_u32_e32 v5, v1, v5
	s_delay_alu instid0(VALU_DEP_1) | instskip(NEXT) | instid1(VALU_DEP_1)
	v_and_b32_e32 v5, -4, v5
	v_sub_nc_u32_e32 v5, v1, v5
	s_delay_alu instid0(VALU_DEP_1)
	v_cmpx_eq_u32_e64 v9, v5
	s_cbranch_execz .LBB273_13
; %bb.17:                               ;   in Loop: Header=BB273_14 Depth=1
	v_lshrrev_b32_e32 v3, 26, v3
	v_lshlrev_b32_e32 v1, 4, v1
	s_delay_alu instid0(VALU_DEP_2) | instskip(NEXT) | instid1(VALU_DEP_2)
	v_add_nc_u32_e32 v3, v40, v3
	v_sub_nc_u32_e32 v1, v40, v1
	s_delay_alu instid0(VALU_DEP_2) | instskip(NEXT) | instid1(VALU_DEP_1)
	v_ashrrev_i32_e32 v3, 6, v3
	v_lshl_add_u32 v1, v3, 4, v1
	s_delay_alu instid0(VALU_DEP_1) | instskip(NEXT) | instid1(VALU_DEP_1)
	v_cmp_ne_u32_e64 s0, 15, v1
	v_cndmask_b32_e64 v7, 0xff800000, v7, s0
	v_cmp_ne_u32_e64 s0, 14, v1
	s_delay_alu instid0(VALU_DEP_1) | instskip(SKIP_1) | instid1(VALU_DEP_1)
	v_cndmask_b32_e64 v11, 0xff800000, v11, s0
	v_cmp_ne_u32_e64 s0, 13, v1
	v_cndmask_b32_e64 v12, 0xff800000, v12, s0
	v_cmp_ne_u32_e64 s0, 12, v1
	s_delay_alu instid0(VALU_DEP_1) | instskip(SKIP_1) | instid1(VALU_DEP_1)
	v_cndmask_b32_e64 v14, 0xff800000, v14, s0
	v_cmp_ne_u32_e64 s0, 11, v1
	v_cndmask_b32_e64 v15, 0xff800000, v15, s0
	v_cmp_ne_u32_e64 s0, 10, v1
	s_delay_alu instid0(VALU_DEP_1) | instskip(SKIP_1) | instid1(VALU_DEP_1)
	v_cndmask_b32_e64 v16, 0xff800000, v16, s0
	v_cmp_ne_u32_e64 s0, 9, v1
	v_cndmask_b32_e64 v17, 0xff800000, v17, s0
	v_cmp_ne_u32_e64 s0, 8, v1
	s_delay_alu instid0(VALU_DEP_1) | instskip(SKIP_1) | instid1(VALU_DEP_1)
	v_cndmask_b32_e64 v18, 0xff800000, v18, s0
	v_cmp_ne_u32_e64 s0, 7, v1
	v_cndmask_b32_e64 v19, 0xff800000, v19, s0
	v_cmp_ne_u32_e64 s0, 6, v1
	s_delay_alu instid0(VALU_DEP_1) | instskip(SKIP_1) | instid1(VALU_DEP_1)
	v_cndmask_b32_e64 v20, 0xff800000, v20, s0
	v_cmp_ne_u32_e64 s0, 5, v1
	v_cndmask_b32_e64 v21, 0xff800000, v21, s0
	v_cmp_ne_u32_e64 s0, 4, v1
	s_delay_alu instid0(VALU_DEP_1) | instskip(SKIP_1) | instid1(VALU_DEP_1)
	v_cndmask_b32_e64 v24, 0xff800000, v24, s0
	v_cmp_ne_u32_e64 s0, 3, v1
	v_cndmask_b32_e64 v26, 0xff800000, v26, s0
	v_cmp_ne_u32_e64 s0, 2, v1
	s_delay_alu instid0(VALU_DEP_1) | instskip(SKIP_1) | instid1(VALU_DEP_1)
	v_cndmask_b32_e64 v27, 0xff800000, v27, s0
	v_cmp_ne_u32_e64 s0, 1, v1
	v_cndmask_b32_e64 v23, 0xff800000, v23, s0
	v_cmp_ne_u32_e64 s0, 0, v1
	s_delay_alu instid0(VALU_DEP_1)
	v_cndmask_b32_e64 v25, 0xff800000, v25, s0
	s_branch .LBB273_13
.LBB273_18:
	s_delay_alu instid0(VALU_DEP_1)
	v_sub_f32_e32 v3, v27, v13
	v_sub_f32_e32 v5, v26, v13
	;; [unrolled: 1-line block ×6, first 2 shown]
	v_mul_f32_e32 v27, 0x3fb8aa3b, v5
	v_sub_f32_e32 v21, v21, v13
	v_sub_f32_e32 v19, v19, v13
	;; [unrolled: 1-line block ×4, first 2 shown]
	v_rndne_f32_e32 v30, v27
	v_sub_f32_e32 v0, v25, v13
	s_delay_alu instid0(VALU_DEP_1) | instskip(NEXT) | instid1(VALU_DEP_1)
	v_dual_sub_f32 v1, v23, v13 :: v_dual_mul_f32 v2, 0x3fb8aa3b, v0
	v_mul_f32_e32 v4, 0x3fb8aa3b, v1
	s_delay_alu instid0(VALU_DEP_2) | instskip(SKIP_1) | instid1(VALU_DEP_3)
	v_fma_f32 v22, 0x3fb8aa3b, v0, -v2
	v_rndne_f32_e32 v23, v2
	v_fma_f32 v24, 0x3fb8aa3b, v1, -v4
	v_rndne_f32_e32 v25, v4
	s_delay_alu instid0(VALU_DEP_4)
	v_fmac_f32_e32 v22, 0x32a5705f, v0
	v_mul_f32_e32 v26, 0x3fb8aa3b, v3
	v_fma_f32 v29, 0x3fb8aa3b, v5, -v27
	v_sub_f32_e32 v2, v2, v23
	v_fmac_f32_e32 v24, 0x32a5705f, v1
	v_sub_f32_e32 v4, v4, v25
	v_cvt_i32_f32_e32 v23, v23
	s_delay_alu instid0(VALU_DEP_4) | instskip(SKIP_1) | instid1(VALU_DEP_4)
	v_dual_fmac_f32 v29, 0x32a5705f, v5 :: v_dual_add_f32 v2, v2, v22
	v_fma_f32 v22, 0x3fb8aa3b, v3, -v26
	v_add_f32_e32 v4, v4, v24
	v_rndne_f32_e32 v24, v26
	v_cvt_i32_f32_e32 v25, v25
	v_exp_f32_e32 v2, v2
	v_fmac_f32_e32 v22, 0x32a5705f, v3
	v_exp_f32_e32 v4, v4
	v_sub_f32_e32 v26, v26, v24
	v_cvt_i32_f32_e32 v24, v24
	s_delay_alu instid0(VALU_DEP_2)
	v_add_f32_e32 v22, v26, v22
	s_waitcnt_depctr 0xfff
	v_ldexp_f32 v2, v2, v23
	v_sub_f32_e32 v23, v27, v30
	v_cmp_ngt_f32_e32 vcc_lo, 0xc2ce8ed0, v0
	v_ldexp_f32 v4, v4, v25
	v_exp_f32_e32 v22, v22
	s_delay_alu instid0(VALU_DEP_3) | instskip(SKIP_1) | instid1(VALU_DEP_2)
	v_dual_add_f32 v23, v23, v29 :: v_dual_cndmask_b32 v2, 0, v2
	v_cmp_ngt_f32_e32 vcc_lo, 0xc2ce8ed0, v1
	v_exp_f32_e32 v23, v23
	v_cndmask_b32_e32 v4, 0, v4, vcc_lo
	v_cmp_nlt_f32_e32 vcc_lo, 0x42b17218, v0
	v_cndmask_b32_e32 v0, 0x7f800000, v2, vcc_lo
	v_cmp_nlt_f32_e32 vcc_lo, 0x42b17218, v1
	s_delay_alu instid0(VALU_DEP_4) | instskip(SKIP_3) | instid1(VALU_DEP_4)
	v_cndmask_b32_e32 v1, 0x7f800000, v4, vcc_lo
	v_mul_f32_e32 v28, 0x3fb8aa3b, v6
	v_ldexp_f32 v4, v22, v24
	v_cmp_ngt_f32_e32 vcc_lo, 0xc2ce8ed0, v3
	v_add_f32_e32 v0, v0, v1
	s_delay_alu instid0(VALU_DEP_4)
	v_fma_f32 v2, 0x3fb8aa3b, v6, -v28
	v_rndne_f32_e32 v22, v28
	v_cndmask_b32_e32 v1, 0, v4, vcc_lo
	v_cvt_i32_f32_e32 v4, v30
	v_cmp_nlt_f32_e32 vcc_lo, 0x42b17218, v3
	v_fmac_f32_e32 v2, 0x32a5705f, v6
	v_sub_f32_e32 v24, v28, v22
	s_delay_alu instid0(VALU_DEP_4) | instskip(SKIP_2) | instid1(VALU_DEP_4)
	v_ldexp_f32 v3, v23, v4
	v_cndmask_b32_e32 v1, 0x7f800000, v1, vcc_lo
	v_mul_f32_e32 v4, 0x3fb8aa3b, v21
	v_add_f32_e32 v2, v24, v2
	v_cmp_ngt_f32_e32 vcc_lo, 0xc2ce8ed0, v5
	s_delay_alu instid0(VALU_DEP_4) | instskip(NEXT) | instid1(VALU_DEP_4)
	v_add_f32_e32 v0, v0, v1
	v_rndne_f32_e32 v23, v4
	s_delay_alu instid0(VALU_DEP_4)
	v_exp_f32_e32 v2, v2
	v_cndmask_b32_e32 v1, 0, v3, vcc_lo
	v_fma_f32 v3, 0x3fb8aa3b, v21, -v4
	v_cmp_nlt_f32_e32 vcc_lo, 0x42b17218, v5
	v_cvt_i32_f32_e32 v5, v22
	v_sub_f32_e32 v4, v4, v23
	v_mul_f32_e32 v22, 0x3fb8aa3b, v20
	v_fmac_f32_e32 v3, 0x32a5705f, v21
	v_cndmask_b32_e32 v1, 0x7f800000, v1, vcc_lo
	v_cmp_ngt_f32_e32 vcc_lo, 0xc2ce8ed0, v6
	s_delay_alu instid0(VALU_DEP_2) | instskip(SKIP_4) | instid1(VALU_DEP_4)
	v_add_f32_e32 v0, v0, v1
	v_ldexp_f32 v1, v2, v5
	v_add_f32_e32 v2, v4, v3
	v_fma_f32 v3, 0x3fb8aa3b, v20, -v22
	v_rndne_f32_e32 v4, v22
	v_cndmask_b32_e32 v1, 0, v1, vcc_lo
	s_delay_alu instid0(VALU_DEP_4) | instskip(NEXT) | instid1(VALU_DEP_3)
	v_exp_f32_e32 v2, v2
	v_fmac_f32_e32 v3, 0x32a5705f, v20
	s_delay_alu instid0(VALU_DEP_3) | instskip(SKIP_3) | instid1(VALU_DEP_4)
	v_sub_f32_e32 v5, v22, v4
	v_cmp_nlt_f32_e32 vcc_lo, 0x42b17218, v6
	v_cvt_i32_f32_e32 v6, v23
	v_cvt_i32_f32_e32 v4, v4
	v_add_f32_e32 v3, v5, v3
	v_cndmask_b32_e32 v1, 0x7f800000, v1, vcc_lo
	v_mul_f32_e32 v5, 0x3fb8aa3b, v19
	v_cmp_ngt_f32_e32 vcc_lo, 0xc2ce8ed0, v21
	s_delay_alu instid0(VALU_DEP_3) | instskip(SKIP_4) | instid1(VALU_DEP_3)
	v_add_f32_e32 v0, v0, v1
	v_ldexp_f32 v1, v2, v6
	v_exp_f32_e32 v2, v3
	v_fma_f32 v3, 0x3fb8aa3b, v19, -v5
	v_rndne_f32_e32 v6, v5
	v_cndmask_b32_e32 v1, 0, v1, vcc_lo
	v_cmp_nlt_f32_e32 vcc_lo, 0x42b17218, v21
	s_delay_alu instid0(VALU_DEP_4) | instskip(NEXT) | instid1(VALU_DEP_4)
	v_fmac_f32_e32 v3, 0x32a5705f, v19
	v_sub_f32_e32 v5, v5, v6
	v_cvt_i32_f32_e32 v6, v6
	v_mul_f32_e32 v21, 0x3fb8aa3b, v15
	v_cndmask_b32_e32 v1, 0x7f800000, v1, vcc_lo
	v_ldexp_f32 v2, v2, v4
	v_add_f32_e32 v3, v5, v3
	v_cmp_ngt_f32_e32 vcc_lo, 0xc2ce8ed0, v20
	v_sub_f32_e32 v5, v17, v13
	s_delay_alu instid0(VALU_DEP_4) | instskip(NEXT) | instid1(VALU_DEP_4)
	v_dual_add_f32 v0, v0, v1 :: v_dual_cndmask_b32 v1, 0, v2
	v_exp_f32_e32 v2, v3
	v_cmp_nlt_f32_e32 vcc_lo, 0x42b17218, v20
	s_delay_alu instid0(VALU_DEP_3) | instskip(NEXT) | instid1(VALU_DEP_3)
	v_mul_f32_e32 v20, 0x3fb8aa3b, v5
	v_cndmask_b32_e32 v1, 0x7f800000, v1, vcc_lo
	v_cmp_ngt_f32_e32 vcc_lo, 0xc2ce8ed0, v19
	s_delay_alu instid0(VALU_DEP_2) | instskip(SKIP_4) | instid1(VALU_DEP_3)
	v_add_f32_e32 v0, v0, v1
	s_waitcnt_depctr 0xfff
	v_ldexp_f32 v1, v2, v6
	v_rndne_f32_e32 v6, v20
	v_sub_f32_e32 v4, v18, v13
	v_cndmask_b32_e32 v1, 0, v1, vcc_lo
	v_cmp_nlt_f32_e32 vcc_lo, 0x42b17218, v19
	s_delay_alu instid0(VALU_DEP_3) | instskip(NEXT) | instid1(VALU_DEP_1)
	v_mul_f32_e32 v3, 0x3fb8aa3b, v4
	v_fma_f32 v17, 0x3fb8aa3b, v4, -v3
	v_rndne_f32_e32 v18, v3
	s_delay_alu instid0(VALU_DEP_1) | instskip(SKIP_2) | instid1(VALU_DEP_3)
	v_dual_fmac_f32 v17, 0x32a5705f, v4 :: v_dual_sub_f32 v2, v3, v18
	v_fma_f32 v3, 0x3fb8aa3b, v5, -v20
	v_cvt_i32_f32_e32 v18, v18
	v_dual_add_f32 v2, v2, v17 :: v_dual_sub_f32 v17, v20, v6
	v_mul_f32_e32 v20, 0x3fb8aa3b, v16
	v_cndmask_b32_e32 v1, 0x7f800000, v1, vcc_lo
	v_cmp_ngt_f32_e32 vcc_lo, 0xc2ce8ed0, v4
	s_delay_alu instid0(VALU_DEP_4) | instskip(NEXT) | instid1(VALU_DEP_3)
	v_exp_f32_e32 v2, v2
	v_rndne_f32_e32 v19, v20
	v_fmac_f32_e32 v3, 0x32a5705f, v5
	s_delay_alu instid0(VALU_DEP_1) | instskip(SKIP_1) | instid1(VALU_DEP_4)
	v_add_f32_e32 v3, v17, v3
	v_fma_f32 v17, 0x3fb8aa3b, v16, -v20
	v_sub_f32_e32 v20, v20, v19
	s_delay_alu instid0(VALU_DEP_3) | instskip(NEXT) | instid1(VALU_DEP_2)
	v_exp_f32_e32 v3, v3
	v_dual_fmac_f32 v17, 0x32a5705f, v16 :: v_dual_add_f32 v0, v0, v1
	s_delay_alu instid0(TRANS32_DEP_2) | instskip(SKIP_2) | instid1(VALU_DEP_4)
	v_ldexp_f32 v1, v2, v18
	v_cvt_i32_f32_e32 v2, v6
	v_rndne_f32_e32 v18, v21
	v_add_f32_e32 v6, v20, v17
	s_delay_alu instid0(VALU_DEP_4) | instskip(SKIP_1) | instid1(TRANS32_DEP_1)
	v_cndmask_b32_e32 v1, 0, v1, vcc_lo
	v_cmp_nlt_f32_e32 vcc_lo, 0x42b17218, v4
	v_ldexp_f32 v2, v3, v2
	s_delay_alu instid0(VALU_DEP_4) | instskip(SKIP_4) | instid1(VALU_DEP_2)
	v_exp_f32_e32 v3, v6
	v_sub_f32_e32 v6, v21, v18
	v_cvt_i32_f32_e32 v4, v19
	v_cndmask_b32_e32 v1, 0x7f800000, v1, vcc_lo
	v_cmp_ngt_f32_e32 vcc_lo, 0xc2ce8ed0, v5
	v_add_f32_e32 v0, v0, v1
	v_cndmask_b32_e32 v2, 0, v2, vcc_lo
	v_fma_f32 v17, 0x3fb8aa3b, v15, -v21
	v_cmp_nlt_f32_e32 vcc_lo, 0x42b17218, v5
	s_delay_alu instid0(TRANS32_DEP_1)
	v_ldexp_f32 v1, v3, v4
	v_sub_f32_e32 v4, v14, v13
	v_mul_f32_e32 v14, 0x3fb8aa3b, v11
	v_fmac_f32_e32 v17, 0x32a5705f, v15
	v_cndmask_b32_e32 v2, 0x7f800000, v2, vcc_lo
	v_cmp_ngt_f32_e32 vcc_lo, 0xc2ce8ed0, v16
	s_delay_alu instid0(VALU_DEP_3) | instskip(NEXT) | instid1(VALU_DEP_3)
	v_dual_mul_f32 v5, 0x3fb8aa3b, v4 :: v_dual_add_f32 v6, v6, v17
	v_add_f32_e32 v0, v0, v2
	v_cvt_i32_f32_e32 v2, v18
	s_delay_alu instid0(VALU_DEP_3) | instskip(SKIP_2) | instid1(VALU_DEP_2)
	v_exp_f32_e32 v3, v6
	v_sub_f32_e32 v6, v12, v13
	v_fma_f32 v13, 0x3fb8aa3b, v11, -v14
	v_mul_f32_e32 v12, 0x3fb8aa3b, v6
	s_delay_alu instid0(VALU_DEP_2)
	v_fmac_f32_e32 v13, 0x32a5705f, v11
	s_waitcnt_depctr 0xfff
	v_ldexp_f32 v2, v3, v2
	v_cndmask_b32_e32 v1, 0, v1, vcc_lo
	v_cmp_nlt_f32_e32 vcc_lo, 0x42b17218, v16
	v_rndne_f32_e32 v3, v5
	s_delay_alu instid0(VALU_DEP_3) | instskip(SKIP_1) | instid1(VALU_DEP_2)
	v_cndmask_b32_e32 v1, 0x7f800000, v1, vcc_lo
	v_cmp_ngt_f32_e32 vcc_lo, 0xc2ce8ed0, v15
	v_add_f32_e32 v0, v0, v1
	v_fma_f32 v1, 0x3fb8aa3b, v4, -v5
	v_dual_cndmask_b32 v2, 0, v2 :: v_dual_sub_f32 v5, v5, v3
	v_cmp_nlt_f32_e32 vcc_lo, 0x42b17218, v15
	v_cvt_i32_f32_e32 v3, v3
	s_delay_alu instid0(VALU_DEP_4) | instskip(SKIP_3) | instid1(VALU_DEP_4)
	v_fmac_f32_e32 v1, 0x32a5705f, v4
	v_rndne_f32_e32 v15, v14
	v_cndmask_b32_e32 v2, 0x7f800000, v2, vcc_lo
	v_cmp_ngt_f32_e32 vcc_lo, 0xc2ce8ed0, v4
	v_add_f32_e32 v1, v5, v1
	v_rndne_f32_e32 v5, v12
	s_delay_alu instid0(VALU_DEP_4) | instskip(SKIP_1) | instid1(VALU_DEP_4)
	v_add_f32_e32 v0, v0, v2
	v_fma_f32 v2, 0x3fb8aa3b, v6, -v12
	v_exp_f32_e32 v1, v1
	s_delay_alu instid0(VALU_DEP_3) | instskip(SKIP_3) | instid1(VALU_DEP_1)
	v_sub_f32_e32 v12, v12, v5
	v_cvt_i32_f32_e32 v5, v5
	s_waitcnt_depctr 0xfff
	v_ldexp_f32 v1, v1, v3
	v_dual_fmac_f32 v2, 0x32a5705f, v6 :: v_dual_cndmask_b32 v1, 0, v1
	s_delay_alu instid0(VALU_DEP_1) | instskip(SKIP_3) | instid1(VALU_DEP_4)
	v_add_f32_e32 v2, v12, v2
	v_cmp_nlt_f32_e32 vcc_lo, 0x42b17218, v4
	v_sub_f32_e32 v12, v14, v15
	v_cvt_i32_f32_e32 v4, v15
	v_exp_f32_e32 v2, v2
	v_cndmask_b32_e32 v1, 0x7f800000, v1, vcc_lo
	s_delay_alu instid0(VALU_DEP_3) | instskip(SKIP_1) | instid1(VALU_DEP_3)
	v_add_f32_e32 v3, v12, v13
	v_cmp_ngt_f32_e32 vcc_lo, 0xc2ce8ed0, v6
	v_add_f32_e32 v0, v0, v1
	s_delay_alu instid0(VALU_DEP_3) | instskip(SKIP_2) | instid1(VALU_DEP_1)
	v_exp_f32_e32 v3, v3
	s_waitcnt_depctr 0xfff
	v_ldexp_f32 v2, v2, v5
	v_cndmask_b32_e32 v2, 0, v2, vcc_lo
	v_cmp_nlt_f32_e32 vcc_lo, 0x42b17218, v6
	v_ldexp_f32 v1, v3, v4
	s_delay_alu instid0(VALU_DEP_3) | instskip(SKIP_2) | instid1(VALU_DEP_3)
	v_cndmask_b32_e32 v2, 0x7f800000, v2, vcc_lo
	v_cmp_ngt_f32_e32 vcc_lo, 0xc2ce8ed0, v11
	v_mul_f32_e32 v16, 0x3fb8aa3b, v7
	v_dual_add_f32 v0, v0, v2 :: v_dual_cndmask_b32 v1, 0, v1
	s_delay_alu instid0(VALU_DEP_2) | instskip(SKIP_2) | instid1(VALU_DEP_3)
	v_fma_f32 v14, 0x3fb8aa3b, v7, -v16
	v_rndne_f32_e32 v17, v16
	v_cmp_nlt_f32_e32 vcc_lo, 0x42b17218, v11
	v_fmac_f32_e32 v14, 0x32a5705f, v7
	s_delay_alu instid0(VALU_DEP_3) | instskip(SKIP_3) | instid1(VALU_DEP_4)
	v_sub_f32_e32 v12, v16, v17
	v_cndmask_b32_e32 v1, 0x7f800000, v1, vcc_lo
	v_cvt_i32_f32_e32 v3, v17
	v_cmp_ngt_f32_e32 vcc_lo, 0xc2ce8ed0, v7
	v_add_f32_e32 v12, v12, v14
	s_delay_alu instid0(VALU_DEP_4) | instskip(NEXT) | instid1(VALU_DEP_2)
	v_add_f32_e32 v0, v0, v1
	v_exp_f32_e32 v5, v12
	s_waitcnt_depctr 0xfff
	v_ldexp_f32 v3, v5, v3
	s_delay_alu instid0(VALU_DEP_1) | instskip(SKIP_1) | instid1(VALU_DEP_2)
	v_cndmask_b32_e32 v2, 0, v3, vcc_lo
	v_cmp_nlt_f32_e32 vcc_lo, 0x42b17218, v7
	v_cndmask_b32_e32 v1, 0x7f800000, v2, vcc_lo
	v_cmp_eq_u32_e32 vcc_lo, 0, v9
	s_delay_alu instid0(VALU_DEP_2) | instskip(NEXT) | instid1(VALU_DEP_1)
	v_add_f32_e32 v0, v0, v1
	v_mov_b32_dpp v1, v0 quad_perm:[1,0,3,2] row_mask:0xf bank_mask:0xf
	s_delay_alu instid0(VALU_DEP_1) | instskip(NEXT) | instid1(VALU_DEP_1)
	v_add_f32_e32 v0, v0, v1
	v_mov_b32_dpp v1, v0 quad_perm:[2,3,0,1] row_mask:0xf bank_mask:0xf
	s_and_b32 exec_lo, exec_lo, vcc_lo
	s_cbranch_execz .LBB273_23
; %bb.19:
	s_delay_alu instid0(VALU_DEP_1) | instskip(NEXT) | instid1(VALU_DEP_1)
	v_add_f32_e32 v0, v0, v1
	v_add_f32_e32 v0, v10, v0
	s_delay_alu instid0(VALU_DEP_1)
	v_cmp_neq_f32_e32 vcc_lo, 0, v0
	s_and_b32 exec_lo, exec_lo, vcc_lo
	s_cbranch_execz .LBB273_23
; %bb.20:
	s_and_not1_b32 vcc_lo, exec_lo, s3
	s_cbranch_vccnz .LBB273_23
; %bb.21:
	v_div_scale_f32 v2, null, v0, v0, 1.0
	v_div_scale_f32 v4, vcc_lo, 1.0, v0, 1.0
	s_delay_alu instid0(VALU_DEP_2) | instskip(SKIP_2) | instid1(VALU_DEP_1)
	v_rcp_f32_e32 v3, v2
	s_waitcnt_depctr 0xfff
	v_fma_f32 v1, -v2, v3, 1.0
	v_fmac_f32_e32 v3, v1, v3
	v_mul_lo_u32 v1, v8, s7
	s_delay_alu instid0(VALU_DEP_2) | instskip(NEXT) | instid1(VALU_DEP_1)
	v_mul_f32_e32 v5, v4, v3
	v_fma_f32 v6, -v2, v5, v4
	s_delay_alu instid0(VALU_DEP_1) | instskip(NEXT) | instid1(VALU_DEP_1)
	v_fmac_f32_e32 v5, v6, v3
	v_fma_f32 v4, -v2, v5, v4
	v_ashrrev_i32_e32 v2, 31, v1
	s_delay_alu instid0(VALU_DEP_2) | instskip(NEXT) | instid1(VALU_DEP_2)
	v_div_fmas_f32 v5, v4, v3, v5
	v_lshlrev_b64 v[3:4], 2, v[1:2]
	s_delay_alu instid0(VALU_DEP_2) | instskip(NEXT) | instid1(VALU_DEP_2)
	v_div_fixup_f32 v2, v5, v0, 1.0
	v_add_co_u32 v0, vcc_lo, s12, v3
	s_delay_alu instid0(VALU_DEP_3)
	v_add_co_ci_u32_e32 v1, vcc_lo, s13, v4, vcc_lo
.LBB273_22:                             ; =>This Inner Loop Header: Depth=1
	global_load_b32 v3, v[0:1], off
	s_add_i32 s4, s4, -1
	s_delay_alu instid0(SALU_CYCLE_1)
	s_cmp_lg_u32 s4, 0
	s_waitcnt vmcnt(0)
	v_mul_f32_e32 v3, v2, v3
	global_store_b32 v[0:1], v3, off
	v_add_co_u32 v0, vcc_lo, v0, 4
	v_add_co_ci_u32_e32 v1, vcc_lo, 0, v1, vcc_lo
	s_cbranch_scc1 .LBB273_22
.LBB273_23:
	s_nop 0
	s_sendmsg sendmsg(MSG_DEALLOC_VGPRS)
	s_endpgm
	.section	.rodata,"a",@progbits
	.p2align	6, 0x0
	.amdhsa_kernel _ZN4vllm3moe17topkGatingSoftmaxItLi16ELi64ELi8ELi32ELb0ELi2ELNS0_23SharedExpertScoringFuncE1EEEvPKT_PKbPfiPiS9_iiiiii
		.amdhsa_group_segment_fixed_size 0
		.amdhsa_private_segment_fixed_size 0
		.amdhsa_kernarg_size 72
		.amdhsa_user_sgpr_count 15
		.amdhsa_user_sgpr_dispatch_ptr 0
		.amdhsa_user_sgpr_queue_ptr 0
		.amdhsa_user_sgpr_kernarg_segment_ptr 1
		.amdhsa_user_sgpr_dispatch_id 0
		.amdhsa_user_sgpr_private_segment_size 0
		.amdhsa_wavefront_size32 1
		.amdhsa_uses_dynamic_stack 0
		.amdhsa_enable_private_segment 0
		.amdhsa_system_sgpr_workgroup_id_x 1
		.amdhsa_system_sgpr_workgroup_id_y 0
		.amdhsa_system_sgpr_workgroup_id_z 0
		.amdhsa_system_sgpr_workgroup_info 0
		.amdhsa_system_vgpr_workitem_id 1
		.amdhsa_next_free_vgpr 53
		.amdhsa_next_free_sgpr 19
		.amdhsa_reserve_vcc 1
		.amdhsa_float_round_mode_32 0
		.amdhsa_float_round_mode_16_64 0
		.amdhsa_float_denorm_mode_32 3
		.amdhsa_float_denorm_mode_16_64 3
		.amdhsa_dx10_clamp 1
		.amdhsa_ieee_mode 1
		.amdhsa_fp16_overflow 0
		.amdhsa_workgroup_processor_mode 1
		.amdhsa_memory_ordered 1
		.amdhsa_forward_progress 0
		.amdhsa_shared_vgpr_count 0
		.amdhsa_exception_fp_ieee_invalid_op 0
		.amdhsa_exception_fp_denorm_src 0
		.amdhsa_exception_fp_ieee_div_zero 0
		.amdhsa_exception_fp_ieee_overflow 0
		.amdhsa_exception_fp_ieee_underflow 0
		.amdhsa_exception_fp_ieee_inexact 0
		.amdhsa_exception_int_div_zero 0
	.end_amdhsa_kernel
	.section	.text._ZN4vllm3moe17topkGatingSoftmaxItLi16ELi64ELi8ELi32ELb0ELi2ELNS0_23SharedExpertScoringFuncE1EEEvPKT_PKbPfiPiS9_iiiiii,"axG",@progbits,_ZN4vllm3moe17topkGatingSoftmaxItLi16ELi64ELi8ELi32ELb0ELi2ELNS0_23SharedExpertScoringFuncE1EEEvPKT_PKbPfiPiS9_iiiiii,comdat
.Lfunc_end273:
	.size	_ZN4vllm3moe17topkGatingSoftmaxItLi16ELi64ELi8ELi32ELb0ELi2ELNS0_23SharedExpertScoringFuncE1EEEvPKT_PKbPfiPiS9_iiiiii, .Lfunc_end273-_ZN4vllm3moe17topkGatingSoftmaxItLi16ELi64ELi8ELi32ELb0ELi2ELNS0_23SharedExpertScoringFuncE1EEEvPKT_PKbPfiPiS9_iiiiii
                                        ; -- End function
	.section	.AMDGPU.csdata,"",@progbits
; Kernel info:
; codeLenInByte = 5412
; NumSgprs: 21
; NumVgprs: 53
; ScratchSize: 0
; MemoryBound: 0
; FloatMode: 240
; IeeeMode: 1
; LDSByteSize: 0 bytes/workgroup (compile time only)
; SGPRBlocks: 2
; VGPRBlocks: 6
; NumSGPRsForWavesPerEU: 21
; NumVGPRsForWavesPerEU: 53
; Occupancy: 16
; WaveLimiterHint : 0
; COMPUTE_PGM_RSRC2:SCRATCH_EN: 0
; COMPUTE_PGM_RSRC2:USER_SGPR: 15
; COMPUTE_PGM_RSRC2:TRAP_HANDLER: 0
; COMPUTE_PGM_RSRC2:TGID_X_EN: 1
; COMPUTE_PGM_RSRC2:TGID_Y_EN: 0
; COMPUTE_PGM_RSRC2:TGID_Z_EN: 0
; COMPUTE_PGM_RSRC2:TIDIG_COMP_CNT: 1
	.section	.text._ZN4vllm3moe17topkGatingSoftmaxItLi16ELi64ELi8ELi32ELb1ELi4ELNS0_23SharedExpertScoringFuncE1EEEvPKT_PKbPfiPiS9_iiiiii,"axG",@progbits,_ZN4vllm3moe17topkGatingSoftmaxItLi16ELi64ELi8ELi32ELb1ELi4ELNS0_23SharedExpertScoringFuncE1EEEvPKT_PKbPfiPiS9_iiiiii,comdat
	.protected	_ZN4vllm3moe17topkGatingSoftmaxItLi16ELi64ELi8ELi32ELb1ELi4ELNS0_23SharedExpertScoringFuncE1EEEvPKT_PKbPfiPiS9_iiiiii ; -- Begin function _ZN4vllm3moe17topkGatingSoftmaxItLi16ELi64ELi8ELi32ELb1ELi4ELNS0_23SharedExpertScoringFuncE1EEEvPKT_PKbPfiPiS9_iiiiii
	.globl	_ZN4vllm3moe17topkGatingSoftmaxItLi16ELi64ELi8ELi32ELb1ELi4ELNS0_23SharedExpertScoringFuncE1EEEvPKT_PKbPfiPiS9_iiiiii
	.p2align	8
	.type	_ZN4vllm3moe17topkGatingSoftmaxItLi16ELi64ELi8ELi32ELb1ELi4ELNS0_23SharedExpertScoringFuncE1EEEvPKT_PKbPfiPiS9_iiiiii,@function
_ZN4vllm3moe17topkGatingSoftmaxItLi16ELi64ELi8ELi32ELb1ELi4ELNS0_23SharedExpertScoringFuncE1EEEvPKT_PKbPfiPiS9_iiiiii: ; @_ZN4vllm3moe17topkGatingSoftmaxItLi16ELi64ELi8ELi32ELb1ELi4ELNS0_23SharedExpertScoringFuncE1EEEvPKT_PKbPfiPiS9_iiiiii
; %bb.0:
	s_load_b32 s16, s[0:1], 0x18
	v_bfe_u32 v1, v0, 10, 10
	v_and_b32_e32 v0, 0x3ff, v0
	s_lshl_b32 s18, s15, 6
	s_mov_b32 s2, exec_lo
	s_delay_alu instid0(VALU_DEP_2) | instskip(NEXT) | instid1(VALU_DEP_2)
	v_lshlrev_b32_e32 v6, 3, v1
	v_lshrrev_b32_e32 v38, 2, v0
	s_delay_alu instid0(VALU_DEP_1) | instskip(SKIP_1) | instid1(VALU_DEP_1)
	v_add3_u32 v43, s18, v6, v38
	s_waitcnt lgkmcnt(0)
	v_cmpx_gt_i32_e64 s16, v43
	s_cbranch_execz .LBB274_20
; %bb.1:
	s_clause 0x1
	s_load_b128 s[4:7], s[0:1], 0x0
	s_load_b64 s[12:13], s[0:1], 0x10
	s_waitcnt lgkmcnt(0)
	s_cmp_eq_u64 s[6:7], 0
	s_cbranch_scc1 .LBB274_3
; %bb.2:
	v_ashrrev_i32_e32 v2, 31, v43
	v_add_co_u32 v1, vcc_lo, s6, v43
	s_delay_alu instid0(VALU_DEP_2) | instskip(SKIP_3) | instid1(VALU_DEP_1)
	v_add_co_ci_u32_e32 v2, vcc_lo, s7, v2, vcc_lo
	global_load_u8 v1, v[1:2], off
	s_waitcnt vmcnt(0)
	v_and_b32_e32 v1, 1, v1
	v_cmp_eq_u32_e32 vcc_lo, 1, v1
	s_xor_b32 s2, vcc_lo, -1
	s_delay_alu instid0(SALU_CYCLE_1)
	s_or_not1_b32 s17, s2, exec_lo
	s_branch .LBB274_4
.LBB274_3:
	s_mov_b32 s17, -1
.LBB274_4:
	s_clause 0x1
	s_load_b64 s[14:15], s[0:1], 0x40
	s_load_b128 s[8:11], s[0:1], 0x30
	v_and_b32_e32 v7, 3, v0
	s_delay_alu instid0(VALU_DEP_1) | instskip(SKIP_2) | instid1(VALU_DEP_1)
	v_dual_mov_b32 v41, 0 :: v_dual_lshlrev_b32 v10, 1, v7
	s_waitcnt lgkmcnt(0)
	v_mul_lo_u32 v1, v43, s15
	v_ashrrev_i32_e32 v2, 31, v1
	s_delay_alu instid0(VALU_DEP_1) | instskip(SKIP_1) | instid1(VALU_DEP_2)
	v_lshlrev_b64 v[0:1], 1, v[1:2]
	v_lshlrev_b32_e32 v2, 5, v7
	v_add_co_u32 v8, vcc_lo, s4, v0
	s_delay_alu instid0(VALU_DEP_3) | instskip(NEXT) | instid1(VALU_DEP_2)
	v_add_co_ci_u32_e32 v9, vcc_lo, s5, v1, vcc_lo
	v_add_co_u32 v4, vcc_lo, v8, v2
	s_delay_alu instid0(VALU_DEP_2)
	v_add_co_ci_u32_e32 v5, vcc_lo, 0, v9, vcc_lo
	v_add_co_u32 v8, vcc_lo, v8, v10
	v_add_co_ci_u32_e32 v9, vcc_lo, 0, v9, vcc_lo
	s_clause 0x2
	global_load_b128 v[0:3], v[4:5], off
	global_load_b128 v[34:37], v[4:5], off offset:16
	global_load_u16 v4, v[8:9], off offset:128
	v_lshlrev_b32_e32 v8, 4, v7
	s_delay_alu instid0(VALU_DEP_1)
	v_or_b32_e32 v11, 1, v8
	v_or_b32_e32 v13, 2, v8
	;; [unrolled: 1-line block ×3, first 2 shown]
	s_waitcnt vmcnt(2)
	v_lshrrev_b32_e32 v5, 16, v0
	v_and_b32_e32 v0, 0xffff, v0
	s_waitcnt vmcnt(1)
	v_and_b32_e32 v28, 0xffff, v35
	s_delay_alu instid0(VALU_DEP_3) | instskip(NEXT) | instid1(VALU_DEP_3)
	v_cvt_f32_u32_e32 v9, v5
	v_cvt_f32_u32_e32 v10, v0
	v_and_b32_e32 v0, 0xffff, v1
	v_lshrrev_b32_e32 v1, 16, v1
	v_cvt_f32_u32_e32 v28, v28
	s_delay_alu instid0(VALU_DEP_4) | instskip(NEXT) | instid1(VALU_DEP_4)
	v_cmp_lt_f32_e32 vcc_lo, v10, v9
	v_cvt_f32_u32_e32 v12, v0
	s_delay_alu instid0(VALU_DEP_4) | instskip(SKIP_1) | instid1(VALU_DEP_1)
	v_cvt_f32_u32_e32 v14, v1
	v_dual_cndmask_b32 v5, v10, v9 :: v_dual_cndmask_b32 v0, v8, v11
	v_cmp_lt_f32_e32 vcc_lo, v5, v12
	s_delay_alu instid0(VALU_DEP_2) | instskip(SKIP_2) | instid1(VALU_DEP_3)
	v_dual_cndmask_b32 v1, v5, v12 :: v_dual_cndmask_b32 v0, v0, v13
	v_and_b32_e32 v5, 0xffff, v2
	v_lshrrev_b32_e32 v2, 16, v2
	v_cmp_lt_f32_e32 vcc_lo, v1, v14
	s_delay_alu instid0(VALU_DEP_3) | instskip(NEXT) | instid1(VALU_DEP_3)
	v_cvt_f32_u32_e32 v16, v5
	v_cvt_f32_u32_e32 v18, v2
	v_dual_cndmask_b32 v1, v1, v14 :: v_dual_and_b32 v2, 0xffff, v3
	s_delay_alu instid0(VALU_DEP_1) | instskip(SKIP_1) | instid1(VALU_DEP_3)
	v_cvt_f32_u32_e32 v20, v2
	v_cndmask_b32_e32 v0, v0, v15, vcc_lo
	v_cmp_lt_f32_e32 vcc_lo, v1, v16
	v_lshrrev_b32_e32 v2, 16, v3
	s_waitcnt vmcnt(0)
	v_cvt_f32_u32_e32 v3, v4
	v_cndmask_b32_e32 v1, v1, v16, vcc_lo
	v_or_b32_e32 v17, 4, v8
	v_cvt_f32_u32_e32 v22, v2
	v_and_b32_e32 v2, 0xffff, v34
	v_or_b32_e32 v19, 5, v8
	v_mul_f32_e32 v4, 0xbfb8aa3b, v3
	v_cndmask_b32_e32 v0, v0, v17, vcc_lo
	v_cmp_lt_f32_e32 vcc_lo, v1, v18
	v_cvt_f32_u32_e32 v24, v2
	v_lshrrev_b32_e32 v2, 16, v34
	v_rndne_f32_e32 v5, v4
	v_or_b32_e32 v21, 6, v8
	v_cndmask_b32_e32 v1, v1, v18, vcc_lo
	v_or_b32_e32 v23, 7, v8
	v_cvt_f32_u32_e32 v26, v2
	v_cndmask_b32_e32 v0, v0, v19, vcc_lo
	v_fma_f32 v2, 0xbfb8aa3b, v3, -v4
	v_cmp_lt_f32_e32 vcc_lo, v1, v20
	v_sub_f32_e32 v4, v4, v5
	v_or_b32_e32 v25, 8, v8
	v_or_b32_e32 v27, 9, v8
	v_dual_fmamk_f32 v2, v3, 0xb2a5705f, v2 :: v_dual_cndmask_b32 v1, v1, v20
	v_cndmask_b32_e32 v0, v0, v21, vcc_lo
	v_or_b32_e32 v29, 10, v8
	v_or_b32_e32 v31, 11, v8
	s_delay_alu instid0(VALU_DEP_4)
	v_add_f32_e32 v2, v4, v2
	v_cmp_lt_f32_e32 vcc_lo, v1, v22
	v_lshrrev_b32_e32 v4, 16, v35
	v_cmp_nlt_f32_e64 s2, 0x42ce8ed0, v3
	v_or_b32_e32 v33, 12, v8
	v_exp_f32_e32 v2, v2
	v_dual_cndmask_b32 v1, v1, v22 :: v_dual_cndmask_b32 v0, v0, v23
	v_cvt_f32_u32_e32 v30, v4
	v_cvt_i32_f32_e32 v4, v5
	v_and_b32_e32 v5, 0xffff, v36
	s_delay_alu instid0(VALU_DEP_4) | instskip(SKIP_2) | instid1(TRANS32_DEP_1)
	v_cmp_lt_f32_e32 vcc_lo, v1, v24
	v_or_b32_e32 v35, 13, v8
	v_or_b32_e32 v39, 15, v8
	v_ldexp_f32 v2, v2, v4
	v_cndmask_b32_e32 v1, v1, v24, vcc_lo
	v_lshrrev_b32_e32 v4, 16, v36
	v_cvt_f32_u32_e32 v32, v5
	s_delay_alu instid0(VALU_DEP_4) | instskip(NEXT) | instid1(VALU_DEP_3)
	v_cndmask_b32_e64 v2, 0, v2, s2
	v_cvt_f32_u32_e32 v34, v4
	v_cndmask_b32_e32 v0, v0, v25, vcc_lo
	v_cmp_lt_f32_e32 vcc_lo, v1, v26
	s_delay_alu instid0(VALU_DEP_2) | instskip(NEXT) | instid1(VALU_DEP_1)
	v_dual_cndmask_b32 v1, v1, v26 :: v_dual_cndmask_b32 v0, v0, v27
	v_cmp_lt_f32_e32 vcc_lo, v1, v28
	s_delay_alu instid0(VALU_DEP_2) | instskip(NEXT) | instid1(VALU_DEP_1)
	v_dual_cndmask_b32 v1, v1, v28 :: v_dual_cndmask_b32 v0, v0, v29
	v_cmp_lt_f32_e32 vcc_lo, v1, v30
	s_delay_alu instid0(VALU_DEP_2) | instskip(SKIP_2) | instid1(VALU_DEP_3)
	v_dual_cndmask_b32 v0, v0, v31 :: v_dual_cndmask_b32 v1, v1, v30
	v_cmp_ngt_f32_e32 vcc_lo, 0xc2b17218, v3
	v_cndmask_b32_e32 v2, 0x7f800000, v2, vcc_lo
	v_cmp_lt_f32_e32 vcc_lo, v1, v32
	s_delay_alu instid0(VALU_DEP_2) | instskip(SKIP_2) | instid1(VALU_DEP_3)
	v_dual_add_f32 v42, 1.0, v2 :: v_dual_cndmask_b32 v1, v1, v32
	v_cndmask_b32_e32 v0, v0, v33, vcc_lo
	v_and_b32_e32 v2, 0xffff, v37
	v_div_scale_f32 v3, null, v42, v42, 1.0
	s_delay_alu instid0(VALU_DEP_4) | instskip(NEXT) | instid1(VALU_DEP_3)
	v_cmp_lt_f32_e32 vcc_lo, v1, v34
	v_cvt_f32_u32_e32 v36, v2
	v_lshrrev_b32_e32 v2, 16, v37
	s_delay_alu instid0(VALU_DEP_4) | instskip(SKIP_2) | instid1(VALU_DEP_3)
	v_rcp_f32_e32 v44, v3
	v_or_b32_e32 v37, 14, v8
	v_dual_cndmask_b32 v1, v1, v34 :: v_dual_cndmask_b32 v0, v0, v35
	v_cvt_f32_u32_e32 v40, v2
	s_delay_alu instid0(VALU_DEP_2) | instskip(SKIP_4) | instid1(VALU_DEP_3)
	v_cmp_lt_f32_e32 vcc_lo, v1, v36
	s_waitcnt_depctr 0xfff
	v_fma_f32 v2, -v3, v44, 1.0
	v_dual_cndmask_b32 v1, v1, v36 :: v_dual_cndmask_b32 v4, v0, v37
	v_div_scale_f32 v45, vcc_lo, 1.0, v42, 1.0
	v_fmac_f32_e32 v44, v2, v44
	v_mul_lo_u32 v0, v43, s11
	s_delay_alu instid0(VALU_DEP_4) | instskip(NEXT) | instid1(VALU_DEP_3)
	v_cmp_lt_f32_e64 s2, v1, v40
	v_mul_f32_e32 v46, v45, v44
	s_delay_alu instid0(VALU_DEP_2) | instskip(SKIP_2) | instid1(VALU_DEP_4)
	v_cndmask_b32_e64 v47, v4, v39, s2
	v_cndmask_b32_e64 v48, v1, v40, s2
	v_add3_u32 v1, v0, s8, v7
	v_fma_f32 v4, -v3, v46, v45
	s_delay_alu instid0(VALU_DEP_4) | instskip(NEXT) | instid1(VALU_DEP_4)
	v_mov_b32_dpp v49, v47 quad_perm:[1,0,3,2] row_mask:0xf bank_mask:0xf
	v_mov_b32_dpp v50, v48 quad_perm:[1,0,3,2] row_mask:0xf bank_mask:0xf
	s_delay_alu instid0(VALU_DEP_4) | instskip(NEXT) | instid1(VALU_DEP_4)
	v_ashrrev_i32_e32 v2, 31, v1
	v_fmac_f32_e32 v46, v4, v44
	s_delay_alu instid0(VALU_DEP_4) | instskip(NEXT) | instid1(VALU_DEP_4)
	v_cmp_lt_i32_e64 s2, v49, v47
	v_cmp_eq_f32_e64 s3, v48, v50
	s_delay_alu instid0(VALU_DEP_4) | instskip(NEXT) | instid1(VALU_DEP_4)
	v_lshlrev_b64 v[4:5], 2, v[1:2]
	v_fma_f32 v1, -v3, v46, v45
	v_cmp_lt_f32_e64 s4, v48, v50
	s_delay_alu instid0(VALU_DEP_4) | instskip(NEXT) | instid1(VALU_DEP_2)
	s_and_b32 s2, s3, s2
	v_div_fmas_f32 v2, v1, v44, v46
	s_delay_alu instid0(VALU_DEP_2)
	s_or_b32 vcc_lo, s4, s2
	s_cmp_gt_i32 s8, 0
	v_cndmask_b32_e32 v1, v48, v50, vcc_lo
	v_cndmask_b32_e32 v3, v47, v49, vcc_lo
	v_add_co_u32 v44, vcc_lo, s12, v4
	v_add_co_ci_u32_e32 v45, vcc_lo, s13, v5, vcc_lo
	v_div_fixup_f32 v2, v2, v42, 1.0
	v_mov_b32_dpp v5, v1 quad_perm:[2,3,0,1] row_mask:0xf bank_mask:0xf
	v_mov_b32_dpp v42, v3 quad_perm:[2,3,0,1] row_mask:0xf bank_mask:0xf
	v_cmp_eq_u32_e32 vcc_lo, 0, v7
	s_cselect_b32 s3, -1, 0
	s_cmp_lt_i32 s8, 1
	global_store_b32 v[44:45], v2, off
	s_cbranch_scc1 .LBB274_16
; %bb.5:
	s_load_b128 s[4:7], s[0:1], 0x20
	v_cmp_eq_f32_e64 s0, v1, v5
	v_cmp_lt_i32_e64 s1, v42, v3
	v_cmp_lt_f32_e64 s2, v1, v5
	v_mul_lo_u32 v2, v43, s14
	v_mul_lo_u32 v4, v43, s8
	v_mov_b32_e32 v41, 0
	s_and_b32 s0, s0, s1
	s_delay_alu instid0(SALU_CYCLE_1) | instskip(NEXT) | instid1(SALU_CYCLE_1)
	s_or_b32 s0, s2, s0
	v_cndmask_b32_e64 v44, v3, v42, s0
	v_cndmask_b32_e64 v42, v1, v5, s0
	s_and_saveexec_b32 s2, vcc_lo
	s_cbranch_execz .LBB274_7
; %bb.6:
	s_delay_alu instid0(VALU_DEP_1)
	v_sub_f32_e32 v41, v42, v42
	v_cmp_le_i32_e64 s0, s9, v44
	v_cmp_gt_i32_e64 s1, s10, v44
	v_subrev_nc_u32_e32 v51, s9, v44
	v_ashrrev_i32_e32 v5, 31, v4
	v_mul_f32_e32 v1, 0x3fb8aa3b, v41
	s_delay_alu instid0(VALU_DEP_4) | instskip(NEXT) | instid1(SALU_CYCLE_1)
	s_and_b32 s0, s0, s1
	s_and_b32 s0, s17, s0
	s_delay_alu instid0(VALU_DEP_1) | instskip(SKIP_2) | instid1(VALU_DEP_3)
	v_rndne_f32_e32 v47, v1
	v_fma_f32 v3, 0x3fb8aa3b, v41, -v1
	v_lshlrev_b64 v[49:50], 2, v[4:5]
	v_sub_f32_e32 v1, v1, v47
	s_delay_alu instid0(VALU_DEP_3) | instskip(NEXT) | instid1(VALU_DEP_1)
	v_fmamk_f32 v3, v41, 0x32a5705f, v3
	v_add_f32_e32 v3, v1, v3
	v_ashrrev_i32_e32 v1, 31, v0
	s_delay_alu instid0(VALU_DEP_2) | instskip(NEXT) | instid1(VALU_DEP_1)
	v_exp_f32_e32 v52, v3
	v_lshlrev_b64 v[45:46], 2, v[0:1]
	v_ashrrev_i32_e32 v3, 31, v2
	v_cvt_i32_f32_e32 v1, v47
	s_delay_alu instid0(VALU_DEP_2) | instskip(SKIP_2) | instid1(VALU_DEP_1)
	v_lshlrev_b64 v[47:48], 2, v[2:3]
	v_cndmask_b32_e64 v3, 64, v51, s0
	v_add_co_u32 v45, s0, s12, v45
	v_add_co_ci_u32_e64 v46, s0, s13, v46, s0
	s_delay_alu instid0(TRANS32_DEP_1) | instskip(SKIP_1) | instid1(VALU_DEP_1)
	v_ldexp_f32 v1, v52, v1
	v_cmp_ngt_f32_e64 s0, 0xc2ce8ed0, v41
	v_cndmask_b32_e64 v1, 0, v1, s0
	s_waitcnt lgkmcnt(0)
	v_add_co_u32 v47, s0, s4, v47
	s_delay_alu instid0(VALU_DEP_1) | instskip(SKIP_1) | instid1(VALU_DEP_1)
	v_add_co_ci_u32_e64 v48, s0, s5, v48, s0
	v_cmp_nlt_f32_e64 s0, 0x42b17218, v41
	v_cndmask_b32_e64 v41, 0x7f800000, v1, s0
	v_add_co_u32 v49, s0, s6, v49
	s_delay_alu instid0(VALU_DEP_1)
	v_add_co_ci_u32_e64 v50, s0, s7, v50, s0
	global_store_b32 v[47:48], v3, off
	global_store_b32 v[45:46], v41, off
	;; [unrolled: 1-line block ×3, first 2 shown]
.LBB274_7:
	s_or_b32 exec_lo, exec_lo, s2
	v_ashrrev_i32_e32 v3, 31, v44
	s_mov_b32 s1, exec_lo
	s_delay_alu instid0(VALU_DEP_1) | instskip(NEXT) | instid1(VALU_DEP_1)
	v_lshrrev_b32_e32 v1, 28, v3
	v_add_nc_u32_e32 v1, v44, v1
	s_delay_alu instid0(VALU_DEP_1) | instskip(NEXT) | instid1(VALU_DEP_1)
	v_ashrrev_i32_e32 v1, 4, v1
	v_lshrrev_b32_e32 v5, 30, v1
	s_delay_alu instid0(VALU_DEP_1) | instskip(NEXT) | instid1(VALU_DEP_1)
	v_add_nc_u32_e32 v5, v1, v5
	v_and_b32_e32 v5, -4, v5
	s_delay_alu instid0(VALU_DEP_1) | instskip(NEXT) | instid1(VALU_DEP_1)
	v_sub_nc_u32_e32 v5, v1, v5
	v_cmpx_eq_u32_e64 v7, v5
	s_cbranch_execz .LBB274_9
; %bb.8:
	v_lshrrev_b32_e32 v3, 26, v3
	v_lshlrev_b32_e32 v1, 4, v1
	s_delay_alu instid0(VALU_DEP_2) | instskip(NEXT) | instid1(VALU_DEP_2)
	v_add_nc_u32_e32 v3, v44, v3
	v_sub_nc_u32_e32 v1, v44, v1
	s_delay_alu instid0(VALU_DEP_2) | instskip(NEXT) | instid1(VALU_DEP_1)
	v_ashrrev_i32_e32 v3, 6, v3
	v_lshl_add_u32 v1, v3, 4, v1
	s_delay_alu instid0(VALU_DEP_1) | instskip(NEXT) | instid1(VALU_DEP_1)
	v_cmp_ne_u32_e64 s0, 15, v1
	v_cndmask_b32_e64 v40, 0xff800000, v40, s0
	v_cmp_ne_u32_e64 s0, 14, v1
	s_delay_alu instid0(VALU_DEP_1) | instskip(SKIP_1) | instid1(VALU_DEP_1)
	v_cndmask_b32_e64 v36, 0xff800000, v36, s0
	v_cmp_ne_u32_e64 s0, 13, v1
	v_cndmask_b32_e64 v34, 0xff800000, v34, s0
	v_cmp_ne_u32_e64 s0, 12, v1
	s_delay_alu instid0(VALU_DEP_1) | instskip(SKIP_1) | instid1(VALU_DEP_1)
	v_cndmask_b32_e64 v32, 0xff800000, v32, s0
	;; [unrolled: 5-line block ×7, first 2 shown]
	v_cmp_ne_u32_e64 s0, 1, v1
	v_cndmask_b32_e64 v9, 0xff800000, v9, s0
	v_cmp_ne_u32_e64 s0, 0, v1
	s_delay_alu instid0(VALU_DEP_1)
	v_cndmask_b32_e64 v10, 0xff800000, v10, s0
.LBB274_9:
	s_or_b32 exec_lo, exec_lo, s1
	s_cmp_eq_u32 s8, 1
	s_cbranch_scc1 .LBB274_16
; %bb.10:
	s_add_i32 s18, s18, s16
	v_add_nc_u32_e32 v1, 1, v4
	v_add3_u32 v38, s18, v38, v6
	v_add_nc_u32_e32 v3, 1, v2
	v_add_nc_u32_e32 v5, 1, v0
	s_add_i32 s11, s8, -1
	s_branch .LBB274_12
.LBB274_11:                             ;   in Loop: Header=BB274_12 Depth=1
	s_or_b32 exec_lo, exec_lo, s1
	v_add_nc_u32_e32 v38, s16, v38
	v_add_nc_u32_e32 v1, 1, v1
	;; [unrolled: 1-line block ×4, first 2 shown]
	s_add_i32 s11, s11, -1
	s_delay_alu instid0(SALU_CYCLE_1)
	s_cmp_eq_u32 s11, 0
	s_cbranch_scc1 .LBB274_16
.LBB274_12:                             ; =>This Inner Loop Header: Depth=1
	v_cmp_gt_f32_e64 s0, v9, v10
	s_delay_alu instid0(VALU_DEP_1) | instskip(SKIP_1) | instid1(VALU_DEP_2)
	v_cndmask_b32_e64 v4, v10, v9, s0
	v_cndmask_b32_e64 v2, v8, v11, s0
	v_cmp_gt_f32_e64 s0, v12, v4
	s_delay_alu instid0(VALU_DEP_1) | instskip(NEXT) | instid1(VALU_DEP_3)
	v_cndmask_b32_e64 v4, v4, v12, s0
	v_cndmask_b32_e64 v2, v2, v13, s0
	s_delay_alu instid0(VALU_DEP_2) | instskip(NEXT) | instid1(VALU_DEP_1)
	v_cmp_gt_f32_e64 s0, v14, v4
	v_cndmask_b32_e64 v4, v4, v14, s0
	s_delay_alu instid0(VALU_DEP_3) | instskip(NEXT) | instid1(VALU_DEP_2)
	v_cndmask_b32_e64 v2, v2, v15, s0
	v_cmp_gt_f32_e64 s0, v16, v4
	s_delay_alu instid0(VALU_DEP_1) | instskip(NEXT) | instid1(VALU_DEP_3)
	v_cndmask_b32_e64 v4, v4, v16, s0
	v_cndmask_b32_e64 v2, v2, v17, s0
	s_delay_alu instid0(VALU_DEP_2) | instskip(NEXT) | instid1(VALU_DEP_1)
	v_cmp_gt_f32_e64 s0, v18, v4
	v_cndmask_b32_e64 v4, v4, v18, s0
	s_delay_alu instid0(VALU_DEP_3) | instskip(NEXT) | instid1(VALU_DEP_2)
	;; [unrolled: 9-line block ×6, first 2 shown]
	v_cndmask_b32_e64 v2, v2, v35, s0
	v_cmp_gt_f32_e64 s0, v36, v4
	s_delay_alu instid0(VALU_DEP_1) | instskip(NEXT) | instid1(VALU_DEP_3)
	v_cndmask_b32_e64 v4, v4, v36, s0
	v_cndmask_b32_e64 v2, v2, v37, s0
	s_delay_alu instid0(VALU_DEP_2) | instskip(NEXT) | instid1(VALU_DEP_1)
	v_cmp_gt_f32_e64 s0, v40, v4
	v_cndmask_b32_e64 v6, v2, v39, s0
	v_cndmask_b32_e64 v2, v4, v40, s0
	s_delay_alu instid0(VALU_DEP_2) | instskip(NEXT) | instid1(VALU_DEP_2)
	v_mov_b32_dpp v4, v6 quad_perm:[1,0,3,2] row_mask:0xf bank_mask:0xf
	v_mov_b32_dpp v43, v2 quad_perm:[1,0,3,2] row_mask:0xf bank_mask:0xf
	s_delay_alu instid0(VALU_DEP_2) | instskip(NEXT) | instid1(VALU_DEP_2)
	v_cmp_lt_i32_e64 s0, v4, v6
	v_cmp_eq_f32_e64 s1, v2, v43
	v_cmp_lt_f32_e64 s2, v2, v43
	s_delay_alu instid0(VALU_DEP_2)
	s_and_b32 s0, s1, s0
	s_delay_alu instid0(VALU_DEP_1) | instid1(SALU_CYCLE_1)
	s_or_b32 s0, s2, s0
	s_delay_alu instid0(SALU_CYCLE_1) | instskip(SKIP_1) | instid1(VALU_DEP_2)
	v_cndmask_b32_e64 v2, v2, v43, s0
	v_cndmask_b32_e64 v6, v6, v4, s0
	v_mov_b32_dpp v4, v2 quad_perm:[2,3,0,1] row_mask:0xf bank_mask:0xf
	s_delay_alu instid0(VALU_DEP_2) | instskip(NEXT) | instid1(VALU_DEP_2)
	v_mov_b32_dpp v43, v6 quad_perm:[2,3,0,1] row_mask:0xf bank_mask:0xf
	v_cmp_eq_f32_e64 s0, v2, v4
	s_delay_alu instid0(VALU_DEP_2) | instskip(SKIP_1) | instid1(VALU_DEP_2)
	v_cmp_lt_i32_e64 s1, v43, v6
	v_cmp_lt_f32_e64 s2, v2, v4
	s_and_b32 s0, s0, s1
	s_delay_alu instid0(VALU_DEP_1) | instid1(SALU_CYCLE_1)
	s_or_b32 s0, s2, s0
	s_delay_alu instid0(SALU_CYCLE_1)
	v_cndmask_b32_e64 v43, v6, v43, s0
	s_and_saveexec_b32 s2, vcc_lo
	s_cbranch_execz .LBB274_14
; %bb.13:                               ;   in Loop: Header=BB274_12 Depth=1
	v_cndmask_b32_e64 v2, v2, v4, s0
	s_delay_alu instid0(VALU_DEP_2) | instskip(SKIP_4) | instid1(VALU_DEP_4)
	v_cmp_le_i32_e64 s0, s9, v43
	v_cmp_gt_i32_e64 s1, s10, v43
	v_ashrrev_i32_e32 v6, 31, v5
	v_subrev_nc_u32_e32 v51, s9, v43
	v_sub_f32_e32 v50, v2, v42
	s_and_b32 s0, s0, s1
	s_delay_alu instid0(SALU_CYCLE_1) | instskip(NEXT) | instid1(VALU_DEP_1)
	s_and_b32 s0, s17, s0
	v_mul_f32_e32 v2, 0x3fb8aa3b, v50
	s_delay_alu instid0(VALU_DEP_1) | instskip(SKIP_1) | instid1(VALU_DEP_2)
	v_fma_f32 v4, 0x3fb8aa3b, v50, -v2
	v_rndne_f32_e32 v44, v2
	v_fmac_f32_e32 v4, 0x32a5705f, v50
	s_delay_alu instid0(VALU_DEP_2) | instskip(SKIP_2) | instid1(VALU_DEP_3)
	v_sub_f32_e32 v2, v2, v44
	v_cvt_i32_f32_e32 v49, v44
	v_lshlrev_b64 v[44:45], 2, v[5:6]
	v_add_f32_e32 v2, v2, v4
	v_ashrrev_i32_e32 v4, 31, v3
	s_delay_alu instid0(VALU_DEP_2) | instskip(SKIP_1) | instid1(VALU_DEP_2)
	v_exp_f32_e32 v48, v2
	v_ashrrev_i32_e32 v2, 31, v1
	v_lshlrev_b64 v[46:47], 2, v[3:4]
	s_waitcnt_depctr 0xfff
	v_ldexp_f32 v4, v48, v49
	v_lshlrev_b64 v[48:49], 2, v[1:2]
	v_cndmask_b32_e64 v2, 64, v51, s0
	v_cmp_ngt_f32_e64 s0, 0xc2ce8ed0, v50
	s_delay_alu instid0(VALU_DEP_1) | instskip(SKIP_1) | instid1(VALU_DEP_1)
	v_cndmask_b32_e64 v4, 0, v4, s0
	v_add_co_u32 v44, s0, s12, v44
	v_add_co_ci_u32_e64 v45, s0, s13, v45, s0
	v_cmp_nlt_f32_e64 s0, 0x42b17218, v50
	s_delay_alu instid0(VALU_DEP_1) | instskip(SKIP_2) | instid1(VALU_DEP_1)
	v_cndmask_b32_e64 v4, 0x7f800000, v4, s0
	s_waitcnt lgkmcnt(0)
	v_add_co_u32 v46, s0, s4, v46
	v_add_co_ci_u32_e64 v47, s0, s5, v47, s0
	s_delay_alu instid0(VALU_DEP_3) | instskip(SKIP_1) | instid1(VALU_DEP_1)
	v_add_f32_e32 v41, v41, v4
	v_add_co_u32 v48, s0, s6, v48
	v_add_co_ci_u32_e64 v49, s0, s7, v49, s0
	global_store_b32 v[44:45], v4, off
	global_store_b32 v[46:47], v2, off
	global_store_b32 v[48:49], v38, off
.LBB274_14:                             ;   in Loop: Header=BB274_12 Depth=1
	s_or_b32 exec_lo, exec_lo, s2
	s_delay_alu instid0(VALU_DEP_1) | instskip(SKIP_1) | instid1(VALU_DEP_1)
	v_ashrrev_i32_e32 v4, 31, v43
	s_mov_b32 s1, exec_lo
	v_lshrrev_b32_e32 v2, 28, v4
	s_delay_alu instid0(VALU_DEP_1) | instskip(NEXT) | instid1(VALU_DEP_1)
	v_add_nc_u32_e32 v2, v43, v2
	v_ashrrev_i32_e32 v2, 4, v2
	s_delay_alu instid0(VALU_DEP_1) | instskip(NEXT) | instid1(VALU_DEP_1)
	v_lshrrev_b32_e32 v6, 30, v2
	v_add_nc_u32_e32 v6, v2, v6
	s_delay_alu instid0(VALU_DEP_1) | instskip(NEXT) | instid1(VALU_DEP_1)
	v_and_b32_e32 v6, -4, v6
	v_sub_nc_u32_e32 v6, v2, v6
	s_delay_alu instid0(VALU_DEP_1)
	v_cmpx_eq_u32_e64 v7, v6
	s_cbranch_execz .LBB274_11
; %bb.15:                               ;   in Loop: Header=BB274_12 Depth=1
	v_lshrrev_b32_e32 v4, 26, v4
	v_lshlrev_b32_e32 v2, 4, v2
	s_delay_alu instid0(VALU_DEP_2) | instskip(NEXT) | instid1(VALU_DEP_2)
	v_add_nc_u32_e32 v4, v43, v4
	v_sub_nc_u32_e32 v2, v43, v2
	s_delay_alu instid0(VALU_DEP_2) | instskip(NEXT) | instid1(VALU_DEP_1)
	v_ashrrev_i32_e32 v4, 6, v4
	v_lshl_add_u32 v2, v4, 4, v2
	s_delay_alu instid0(VALU_DEP_1) | instskip(NEXT) | instid1(VALU_DEP_1)
	v_cmp_ne_u32_e64 s0, 15, v2
	v_cndmask_b32_e64 v40, 0xff800000, v40, s0
	v_cmp_ne_u32_e64 s0, 14, v2
	s_delay_alu instid0(VALU_DEP_1) | instskip(SKIP_1) | instid1(VALU_DEP_1)
	v_cndmask_b32_e64 v36, 0xff800000, v36, s0
	v_cmp_ne_u32_e64 s0, 13, v2
	v_cndmask_b32_e64 v34, 0xff800000, v34, s0
	v_cmp_ne_u32_e64 s0, 12, v2
	s_delay_alu instid0(VALU_DEP_1) | instskip(SKIP_1) | instid1(VALU_DEP_1)
	v_cndmask_b32_e64 v32, 0xff800000, v32, s0
	;; [unrolled: 5-line block ×7, first 2 shown]
	v_cmp_ne_u32_e64 s0, 1, v2
	v_cndmask_b32_e64 v9, 0xff800000, v9, s0
	v_cmp_ne_u32_e64 s0, 0, v2
	s_delay_alu instid0(VALU_DEP_1)
	v_cndmask_b32_e64 v10, 0xff800000, v10, s0
	s_branch .LBB274_11
.LBB274_16:
	v_cmp_eq_u32_e32 vcc_lo, 0, v7
	v_cmp_neq_f32_e64 s0, 0, v41
	s_delay_alu instid0(VALU_DEP_1) | instskip(NEXT) | instid1(SALU_CYCLE_1)
	s_and_b32 s0, vcc_lo, s0
	s_and_b32 exec_lo, exec_lo, s0
	s_cbranch_execz .LBB274_20
; %bb.17:
	s_and_not1_b32 vcc_lo, exec_lo, s3
	s_cbranch_vccnz .LBB274_20
; %bb.18:
	v_div_scale_f32 v1, null, v41, v41, 1.0
	v_div_scale_f32 v4, vcc_lo, 1.0, v41, 1.0
	s_delay_alu instid0(VALU_DEP_2) | instskip(SKIP_2) | instid1(VALU_DEP_1)
	v_rcp_f32_e32 v2, v1
	s_waitcnt_depctr 0xfff
	v_fma_f32 v3, -v1, v2, 1.0
	v_fmac_f32_e32 v2, v3, v2
	s_delay_alu instid0(VALU_DEP_1) | instskip(NEXT) | instid1(VALU_DEP_1)
	v_mul_f32_e32 v3, v4, v2
	v_fma_f32 v5, -v1, v3, v4
	s_delay_alu instid0(VALU_DEP_1) | instskip(NEXT) | instid1(VALU_DEP_1)
	v_fmac_f32_e32 v3, v5, v2
	v_fma_f32 v4, -v1, v3, v4
	v_ashrrev_i32_e32 v1, 31, v0
	s_delay_alu instid0(VALU_DEP_2) | instskip(NEXT) | instid1(VALU_DEP_2)
	v_div_fmas_f32 v2, v4, v2, v3
	v_lshlrev_b64 v[0:1], 2, v[0:1]
	s_delay_alu instid0(VALU_DEP_2) | instskip(NEXT) | instid1(VALU_DEP_2)
	v_div_fixup_f32 v2, v2, v41, 1.0
	v_add_co_u32 v0, vcc_lo, s12, v0
	s_delay_alu instid0(VALU_DEP_3)
	v_add_co_ci_u32_e32 v1, vcc_lo, s13, v1, vcc_lo
.LBB274_19:                             ; =>This Inner Loop Header: Depth=1
	global_load_b32 v3, v[0:1], off
	s_add_i32 s8, s8, -1
	s_delay_alu instid0(SALU_CYCLE_1)
	s_cmp_lg_u32 s8, 0
	s_waitcnt vmcnt(0)
	v_mul_f32_e32 v3, v2, v3
	global_store_b32 v[0:1], v3, off
	v_add_co_u32 v0, vcc_lo, v0, 4
	v_add_co_ci_u32_e32 v1, vcc_lo, 0, v1, vcc_lo
	s_cbranch_scc1 .LBB274_19
.LBB274_20:
	s_nop 0
	s_sendmsg sendmsg(MSG_DEALLOC_VGPRS)
	s_endpgm
	.section	.rodata,"a",@progbits
	.p2align	6, 0x0
	.amdhsa_kernel _ZN4vllm3moe17topkGatingSoftmaxItLi16ELi64ELi8ELi32ELb1ELi4ELNS0_23SharedExpertScoringFuncE1EEEvPKT_PKbPfiPiS9_iiiiii
		.amdhsa_group_segment_fixed_size 0
		.amdhsa_private_segment_fixed_size 0
		.amdhsa_kernarg_size 72
		.amdhsa_user_sgpr_count 15
		.amdhsa_user_sgpr_dispatch_ptr 0
		.amdhsa_user_sgpr_queue_ptr 0
		.amdhsa_user_sgpr_kernarg_segment_ptr 1
		.amdhsa_user_sgpr_dispatch_id 0
		.amdhsa_user_sgpr_private_segment_size 0
		.amdhsa_wavefront_size32 1
		.amdhsa_uses_dynamic_stack 0
		.amdhsa_enable_private_segment 0
		.amdhsa_system_sgpr_workgroup_id_x 1
		.amdhsa_system_sgpr_workgroup_id_y 0
		.amdhsa_system_sgpr_workgroup_id_z 0
		.amdhsa_system_sgpr_workgroup_info 0
		.amdhsa_system_vgpr_workitem_id 1
		.amdhsa_next_free_vgpr 53
		.amdhsa_next_free_sgpr 19
		.amdhsa_reserve_vcc 1
		.amdhsa_float_round_mode_32 0
		.amdhsa_float_round_mode_16_64 0
		.amdhsa_float_denorm_mode_32 3
		.amdhsa_float_denorm_mode_16_64 3
		.amdhsa_dx10_clamp 1
		.amdhsa_ieee_mode 1
		.amdhsa_fp16_overflow 0
		.amdhsa_workgroup_processor_mode 1
		.amdhsa_memory_ordered 1
		.amdhsa_forward_progress 0
		.amdhsa_shared_vgpr_count 0
		.amdhsa_exception_fp_ieee_invalid_op 0
		.amdhsa_exception_fp_denorm_src 0
		.amdhsa_exception_fp_ieee_div_zero 0
		.amdhsa_exception_fp_ieee_overflow 0
		.amdhsa_exception_fp_ieee_underflow 0
		.amdhsa_exception_fp_ieee_inexact 0
		.amdhsa_exception_int_div_zero 0
	.end_amdhsa_kernel
	.section	.text._ZN4vllm3moe17topkGatingSoftmaxItLi16ELi64ELi8ELi32ELb1ELi4ELNS0_23SharedExpertScoringFuncE1EEEvPKT_PKbPfiPiS9_iiiiii,"axG",@progbits,_ZN4vllm3moe17topkGatingSoftmaxItLi16ELi64ELi8ELi32ELb1ELi4ELNS0_23SharedExpertScoringFuncE1EEEvPKT_PKbPfiPiS9_iiiiii,comdat
.Lfunc_end274:
	.size	_ZN4vllm3moe17topkGatingSoftmaxItLi16ELi64ELi8ELi32ELb1ELi4ELNS0_23SharedExpertScoringFuncE1EEEvPKT_PKbPfiPiS9_iiiiii, .Lfunc_end274-_ZN4vllm3moe17topkGatingSoftmaxItLi16ELi64ELi8ELi32ELb1ELi4ELNS0_23SharedExpertScoringFuncE1EEEvPKT_PKbPfiPiS9_iiiiii
                                        ; -- End function
	.section	.AMDGPU.csdata,"",@progbits
; Kernel info:
; codeLenInByte = 3664
; NumSgprs: 21
; NumVgprs: 53
; ScratchSize: 0
; MemoryBound: 0
; FloatMode: 240
; IeeeMode: 1
; LDSByteSize: 0 bytes/workgroup (compile time only)
; SGPRBlocks: 2
; VGPRBlocks: 6
; NumSGPRsForWavesPerEU: 21
; NumVGPRsForWavesPerEU: 53
; Occupancy: 16
; WaveLimiterHint : 0
; COMPUTE_PGM_RSRC2:SCRATCH_EN: 0
; COMPUTE_PGM_RSRC2:USER_SGPR: 15
; COMPUTE_PGM_RSRC2:TRAP_HANDLER: 0
; COMPUTE_PGM_RSRC2:TGID_X_EN: 1
; COMPUTE_PGM_RSRC2:TGID_Y_EN: 0
; COMPUTE_PGM_RSRC2:TGID_Z_EN: 0
; COMPUTE_PGM_RSRC2:TIDIG_COMP_CNT: 1
	.section	.text._ZN4vllm3moe17topkGatingSoftmaxItLi16ELi64ELi8ELi32ELb0ELi4ELNS0_23SharedExpertScoringFuncE1EEEvPKT_PKbPfiPiS9_iiiiii,"axG",@progbits,_ZN4vllm3moe17topkGatingSoftmaxItLi16ELi64ELi8ELi32ELb0ELi4ELNS0_23SharedExpertScoringFuncE1EEEvPKT_PKbPfiPiS9_iiiiii,comdat
	.protected	_ZN4vllm3moe17topkGatingSoftmaxItLi16ELi64ELi8ELi32ELb0ELi4ELNS0_23SharedExpertScoringFuncE1EEEvPKT_PKbPfiPiS9_iiiiii ; -- Begin function _ZN4vllm3moe17topkGatingSoftmaxItLi16ELi64ELi8ELi32ELb0ELi4ELNS0_23SharedExpertScoringFuncE1EEEvPKT_PKbPfiPiS9_iiiiii
	.globl	_ZN4vllm3moe17topkGatingSoftmaxItLi16ELi64ELi8ELi32ELb0ELi4ELNS0_23SharedExpertScoringFuncE1EEEvPKT_PKbPfiPiS9_iiiiii
	.p2align	8
	.type	_ZN4vllm3moe17topkGatingSoftmaxItLi16ELi64ELi8ELi32ELb0ELi4ELNS0_23SharedExpertScoringFuncE1EEEvPKT_PKbPfiPiS9_iiiiii,@function
_ZN4vllm3moe17topkGatingSoftmaxItLi16ELi64ELi8ELi32ELb0ELi4ELNS0_23SharedExpertScoringFuncE1EEEvPKT_PKbPfiPiS9_iiiiii: ; @_ZN4vllm3moe17topkGatingSoftmaxItLi16ELi64ELi8ELi32ELb0ELi4ELNS0_23SharedExpertScoringFuncE1EEEvPKT_PKbPfiPiS9_iiiiii
; %bb.0:
	s_load_b32 s16, s[0:1], 0x18
	v_bfe_u32 v1, v0, 10, 10
	v_and_b32_e32 v0, 0x3ff, v0
	s_lshl_b32 s18, s15, 6
	s_mov_b32 s2, exec_lo
	s_delay_alu instid0(VALU_DEP_2) | instskip(NEXT) | instid1(VALU_DEP_2)
	v_lshlrev_b32_e32 v6, 3, v1
	v_lshrrev_b32_e32 v39, 2, v0
	s_delay_alu instid0(VALU_DEP_1) | instskip(SKIP_1) | instid1(VALU_DEP_1)
	v_add3_u32 v43, s18, v6, v39
	s_waitcnt lgkmcnt(0)
	v_cmpx_gt_i32_e64 s16, v43
	s_cbranch_execz .LBB275_21
; %bb.1:
	s_clause 0x1
	s_load_b128 s[4:7], s[0:1], 0x0
	s_load_b64 s[12:13], s[0:1], 0x10
	s_waitcnt lgkmcnt(0)
	s_cmp_eq_u64 s[6:7], 0
	s_cbranch_scc1 .LBB275_3
; %bb.2:
	v_ashrrev_i32_e32 v2, 31, v43
	v_add_co_u32 v1, vcc_lo, s6, v43
	s_delay_alu instid0(VALU_DEP_2) | instskip(SKIP_3) | instid1(VALU_DEP_1)
	v_add_co_ci_u32_e32 v2, vcc_lo, s7, v2, vcc_lo
	global_load_u8 v1, v[1:2], off
	s_waitcnt vmcnt(0)
	v_and_b32_e32 v1, 1, v1
	v_cmp_eq_u32_e32 vcc_lo, 1, v1
	s_xor_b32 s2, vcc_lo, -1
	s_delay_alu instid0(SALU_CYCLE_1)
	s_or_not1_b32 s17, s2, exec_lo
	s_branch .LBB275_4
.LBB275_3:
	s_mov_b32 s17, -1
.LBB275_4:
	s_clause 0x1
	s_load_b64 s[14:15], s[0:1], 0x40
	s_load_b128 s[8:11], s[0:1], 0x30
	v_and_b32_e32 v7, 3, v0
	s_delay_alu instid0(VALU_DEP_1) | instskip(NEXT) | instid1(VALU_DEP_1)
	v_lshlrev_b32_e32 v25, 4, v7
	v_or_b32_e32 v27, 1, v25
	v_or_b32_e32 v28, 2, v25
	s_waitcnt lgkmcnt(0)
	v_mul_lo_u32 v1, v43, s15
	s_delay_alu instid0(VALU_DEP_1) | instskip(NEXT) | instid1(VALU_DEP_1)
	v_ashrrev_i32_e32 v2, 31, v1
	v_lshlrev_b64 v[0:1], 1, v[1:2]
	v_lshlrev_b32_e32 v2, 5, v7
	s_delay_alu instid0(VALU_DEP_2) | instskip(NEXT) | instid1(VALU_DEP_3)
	v_add_co_u32 v12, vcc_lo, s4, v0
	v_add_co_ci_u32_e32 v13, vcc_lo, s5, v1, vcc_lo
	s_delay_alu instid0(VALU_DEP_2) | instskip(NEXT) | instid1(VALU_DEP_2)
	v_add_co_u32 v4, vcc_lo, v12, v2
	v_add_co_ci_u32_e32 v5, vcc_lo, 0, v13, vcc_lo
	s_clause 0x1
	global_load_b128 v[0:3], v[4:5], off
	global_load_b128 v[8:11], v[4:5], off offset:16
	v_lshlrev_b32_e32 v4, 1, v7
	s_delay_alu instid0(VALU_DEP_1)
	v_add_co_u32 v4, vcc_lo, v12, v4
	v_add_co_ci_u32_e32 v5, vcc_lo, 0, v13, vcc_lo
	global_load_u16 v4, v[4:5], off offset:128
	s_waitcnt vmcnt(2)
	v_lshrrev_b32_e32 v5, 16, v0
	v_and_b32_e32 v0, 0xffff, v0
	s_delay_alu instid0(VALU_DEP_2) | instskip(NEXT) | instid1(VALU_DEP_2)
	v_cvt_f32_u32_e32 v21, v5
	v_cvt_f32_u32_e32 v22, v0
	v_and_b32_e32 v0, 0xffff, v1
	v_lshrrev_b32_e32 v1, 16, v1
	s_delay_alu instid0(VALU_DEP_3) | instskip(NEXT) | instid1(VALU_DEP_3)
	v_cmp_lt_f32_e32 vcc_lo, v22, v21
	v_cvt_f32_u32_e32 v26, v0
	s_delay_alu instid0(VALU_DEP_3) | instskip(SKIP_1) | instid1(VALU_DEP_1)
	v_cvt_f32_u32_e32 v24, v1
	v_dual_cndmask_b32 v5, v22, v21 :: v_dual_cndmask_b32 v0, v25, v27
	v_cmp_lt_f32_e32 vcc_lo, v5, v26
	s_delay_alu instid0(VALU_DEP_2) | instskip(SKIP_3) | instid1(VALU_DEP_4)
	v_dual_cndmask_b32 v1, v5, v26 :: v_dual_cndmask_b32 v0, v0, v28
	v_or_b32_e32 v29, 3, v25
	v_or_b32_e32 v30, 4, v25
	;; [unrolled: 1-line block ×3, first 2 shown]
	v_cmp_lt_f32_e32 vcc_lo, v1, v24
	v_and_b32_e32 v5, 0xffff, v2
	v_lshrrev_b32_e32 v2, 16, v2
	v_or_b32_e32 v32, 6, v25
	v_or_b32_e32 v33, 7, v25
	v_cndmask_b32_e32 v0, v0, v29, vcc_lo
	v_cvt_f32_u32_e32 v23, v5
	v_cndmask_b32_e32 v1, v1, v24, vcc_lo
	v_cvt_f32_u32_e32 v20, v2
	v_and_b32_e32 v2, 0xffff, v3
	v_or_b32_e32 v34, 8, v25
	v_or_b32_e32 v35, 9, v25
	v_cmp_lt_f32_e32 vcc_lo, v1, v23
	v_or_b32_e32 v36, 10, v25
	v_cvt_f32_u32_e32 v19, v2
	v_lshrrev_b32_e32 v2, 16, v3
	s_waitcnt vmcnt(0)
	v_cvt_f32_u32_e32 v3, v4
	v_dual_cndmask_b32 v1, v1, v23 :: v_dual_cndmask_b32 v0, v0, v30
	v_and_b32_e32 v4, 0xffff, v9
	v_cvt_f32_u32_e32 v18, v2
	v_or_b32_e32 v37, 11, v25
	s_delay_alu instid0(VALU_DEP_4)
	v_cmp_lt_f32_e32 vcc_lo, v1, v20
	v_or_b32_e32 v38, 12, v25
	v_cvt_f32_u32_e32 v15, v4
	v_and_b32_e32 v2, 0xffff, v8
	v_cmp_nlt_f32_e64 s2, 0x42ce8ed0, v3
	v_cndmask_b32_e32 v1, v1, v20, vcc_lo
	v_or_b32_e32 v40, 13, v25
	v_or_b32_e32 v41, 14, v25
	v_cvt_f32_u32_e32 v17, v2
	v_cndmask_b32_e32 v0, v0, v31, vcc_lo
	v_cmp_lt_f32_e32 vcc_lo, v1, v19
	v_lshrrev_b32_e32 v2, 16, v8
	v_or_b32_e32 v42, 15, v25
	s_delay_alu instid0(VALU_DEP_4) | instskip(NEXT) | instid1(VALU_DEP_3)
	v_dual_cndmask_b32 v0, v0, v32 :: v_dual_cndmask_b32 v1, v1, v19
	v_cvt_f32_u32_e32 v16, v2
	v_mul_f32_e32 v2, 0xbfb8aa3b, v3
	s_delay_alu instid0(VALU_DEP_3) | instskip(NEXT) | instid1(VALU_DEP_2)
	v_cmp_lt_f32_e32 vcc_lo, v1, v18
	v_fma_f32 v5, 0xbfb8aa3b, v3, -v2
	v_rndne_f32_e32 v8, v2
	v_dual_cndmask_b32 v1, v1, v18 :: v_dual_cndmask_b32 v0, v0, v33
	s_delay_alu instid0(VALU_DEP_3) | instskip(NEXT) | instid1(VALU_DEP_3)
	v_fmamk_f32 v4, v3, 0xb2a5705f, v5
	v_sub_f32_e32 v2, v2, v8
	v_lshrrev_b32_e32 v5, 16, v9
	s_delay_alu instid0(VALU_DEP_4) | instskip(NEXT) | instid1(VALU_DEP_3)
	v_cmp_lt_f32_e32 vcc_lo, v1, v17
	v_add_f32_e32 v2, v2, v4
	v_dual_cndmask_b32 v1, v1, v17 :: v_dual_and_b32 v4, 0xffff, v10
	s_delay_alu instid0(VALU_DEP_4) | instskip(SKIP_1) | instid1(VALU_DEP_4)
	v_cvt_f32_u32_e32 v14, v5
	v_cvt_i32_f32_e32 v5, v8
	v_exp_f32_e32 v2, v2
	s_delay_alu instid0(VALU_DEP_3) | instskip(SKIP_4) | instid1(VALU_DEP_2)
	v_cvt_f32_u32_e32 v12, v4
	v_cndmask_b32_e32 v0, v0, v34, vcc_lo
	v_cmp_lt_f32_e32 vcc_lo, v1, v16
	v_lshrrev_b32_e32 v4, 16, v10
	v_cndmask_b32_e32 v1, v1, v16, vcc_lo
	v_cvt_f32_u32_e32 v10, v4
	v_cndmask_b32_e32 v0, v0, v35, vcc_lo
	s_delay_alu instid0(TRANS32_DEP_1) | instskip(NEXT) | instid1(VALU_DEP_4)
	v_ldexp_f32 v2, v2, v5
	v_cmp_lt_f32_e32 vcc_lo, v1, v15
	s_delay_alu instid0(VALU_DEP_2) | instskip(NEXT) | instid1(VALU_DEP_4)
	v_cndmask_b32_e64 v2, 0, v2, s2
	v_dual_cndmask_b32 v1, v1, v15 :: v_dual_cndmask_b32 v0, v0, v36
	s_delay_alu instid0(VALU_DEP_1) | instskip(NEXT) | instid1(VALU_DEP_2)
	v_cmp_lt_f32_e32 vcc_lo, v1, v14
	v_dual_cndmask_b32 v1, v1, v14 :: v_dual_cndmask_b32 v0, v0, v37
	s_delay_alu instid0(VALU_DEP_1) | instskip(NEXT) | instid1(VALU_DEP_2)
	v_cmp_lt_f32_e32 vcc_lo, v1, v12
	v_dual_cndmask_b32 v0, v0, v38 :: v_dual_cndmask_b32 v1, v1, v12
	v_cmp_ngt_f32_e32 vcc_lo, 0xc2b17218, v3
	v_and_b32_e32 v3, 0xffff, v11
	v_cndmask_b32_e32 v2, 0x7f800000, v2, vcc_lo
	s_delay_alu instid0(VALU_DEP_4) | instskip(NEXT) | instid1(VALU_DEP_3)
	v_cmp_lt_f32_e32 vcc_lo, v1, v10
	v_cvt_f32_u32_e32 v9, v3
	s_delay_alu instid0(VALU_DEP_3) | instskip(SKIP_3) | instid1(VALU_DEP_4)
	v_add_f32_e32 v13, 1.0, v2
	v_dual_cndmask_b32 v1, v1, v10 :: v_dual_cndmask_b32 v0, v0, v40
	v_lshrrev_b32_e32 v2, 16, v11
	v_mov_b32_e32 v11, 0
	v_div_scale_f32 v44, null, v13, v13, 1.0
	s_delay_alu instid0(VALU_DEP_4) | instskip(NEXT) | instid1(VALU_DEP_4)
	v_cmp_lt_f32_e32 vcc_lo, v1, v9
	v_cvt_f32_u32_e32 v8, v2
	v_div_scale_f32 v46, s3, 1.0, v13, 1.0
	s_delay_alu instid0(VALU_DEP_4) | instskip(SKIP_3) | instid1(VALU_DEP_3)
	v_rcp_f32_e32 v45, v44
	v_cndmask_b32_e32 v1, v1, v9, vcc_lo
	v_cndmask_b32_e32 v2, v0, v41, vcc_lo
	v_mul_lo_u32 v0, v43, s11
	v_cmp_lt_f32_e32 vcc_lo, v1, v8
	s_waitcnt_depctr 0xfff
	v_fma_f32 v3, -v44, v45, 1.0
	v_dual_cndmask_b32 v4, v2, v42 :: v_dual_cndmask_b32 v1, v1, v8
	v_add3_u32 v2, v0, s8, v7
	s_delay_alu instid0(VALU_DEP_3) | instskip(NEXT) | instid1(VALU_DEP_3)
	v_fmac_f32_e32 v45, v3, v45
	v_mov_b32_dpp v5, v4 quad_perm:[1,0,3,2] row_mask:0xf bank_mask:0xf
	s_delay_alu instid0(VALU_DEP_4) | instskip(NEXT) | instid1(VALU_DEP_4)
	v_mov_b32_dpp v47, v1 quad_perm:[1,0,3,2] row_mask:0xf bank_mask:0xf
	v_ashrrev_i32_e32 v3, 31, v2
	s_delay_alu instid0(VALU_DEP_4) | instskip(NEXT) | instid1(VALU_DEP_4)
	v_mul_f32_e32 v48, v46, v45
	v_cmp_lt_i32_e32 vcc_lo, v5, v4
	s_delay_alu instid0(VALU_DEP_4) | instskip(SKIP_1) | instid1(VALU_DEP_4)
	v_cmp_eq_f32_e64 s2, v1, v47
	v_cmp_lt_f32_e64 s4, v1, v47
	v_fma_f32 v49, -v44, v48, v46
	s_delay_alu instid0(VALU_DEP_3)
	s_and_b32 s2, s2, vcc_lo
	s_delay_alu instid0(VALU_DEP_2) | instid1(SALU_CYCLE_1)
	s_or_b32 vcc_lo, s4, s2
	s_delay_alu instid0(VALU_DEP_1)
	v_fmac_f32_e32 v48, v49, v45
	v_cndmask_b32_e32 v47, v1, v47, vcc_lo
	v_cndmask_b32_e32 v1, v4, v5, vcc_lo
	v_lshlrev_b64 v[4:5], 2, v[2:3]
	s_mov_b32 vcc_lo, s3
	v_fma_f32 v2, -v44, v48, v46
	v_mov_b32_dpp v44, v47 quad_perm:[2,3,0,1] row_mask:0xf bank_mask:0xf
	v_mov_b32_dpp v3, v1 quad_perm:[2,3,0,1] row_mask:0xf bank_mask:0xf
	v_cmp_eq_u32_e64 s2, 0, v7
	v_add_co_u32 v4, s5, s12, v4
	s_delay_alu instid0(VALU_DEP_4) | instskip(NEXT) | instid1(VALU_DEP_4)
	v_cmp_eq_f32_e64 s3, v47, v44
	v_cmp_lt_i32_e64 s4, v3, v1
	v_div_fmas_f32 v2, v2, v45, v48
	v_cmp_lt_f32_e32 vcc_lo, v47, v44
	v_add_co_ci_u32_e64 v5, s5, s13, v5, s5
	s_delay_alu instid0(VALU_DEP_4) | instskip(NEXT) | instid1(VALU_DEP_3)
	s_and_b32 s3, s3, s4
	v_div_fixup_f32 v2, v2, v13, 1.0
	s_or_b32 vcc_lo, vcc_lo, s3
	s_cmp_gt_i32 s8, 0
	v_cndmask_b32_e32 v13, v47, v44, vcc_lo
	s_cselect_b32 s3, -1, 0
	s_cmp_lt_i32 s8, 1
	global_store_b32 v[4:5], v2, off
	s_cbranch_scc1 .LBB275_16
; %bb.5:
	s_load_b128 s[4:7], s[0:1], 0x20
	v_mul_lo_u32 v2, v43, s14
	v_mul_lo_u32 v4, v43, s8
	v_dual_cndmask_b32 v44, v1, v3 :: v_dual_mov_b32 v11, 0
	s_and_saveexec_b32 s1, s2
	s_cbranch_execz .LBB275_7
; %bb.6:
	v_sub_f32_e32 v11, v13, v13
	s_delay_alu instid0(VALU_DEP_2) | instskip(SKIP_4) | instid1(VALU_DEP_4)
	v_cmp_le_i32_e32 vcc_lo, s9, v44
	v_cmp_gt_i32_e64 s0, s10, v44
	v_subrev_nc_u32_e32 v51, s9, v44
	v_ashrrev_i32_e32 v5, 31, v4
	v_mul_f32_e32 v1, 0x3fb8aa3b, v11
	s_and_b32 s0, vcc_lo, s0
	s_delay_alu instid0(SALU_CYCLE_1) | instskip(NEXT) | instid1(VALU_DEP_1)
	s_and_b32 vcc_lo, s17, s0
	v_rndne_f32_e32 v47, v1
	v_fma_f32 v3, 0x3fb8aa3b, v11, -v1
	v_lshlrev_b64 v[49:50], 2, v[4:5]
	s_delay_alu instid0(VALU_DEP_3) | instskip(NEXT) | instid1(VALU_DEP_3)
	v_sub_f32_e32 v1, v1, v47
	v_fmamk_f32 v3, v11, 0x32a5705f, v3
	s_delay_alu instid0(VALU_DEP_1) | instskip(SKIP_1) | instid1(VALU_DEP_2)
	v_add_f32_e32 v3, v1, v3
	v_ashrrev_i32_e32 v1, 31, v0
	v_exp_f32_e32 v52, v3
	s_delay_alu instid0(VALU_DEP_1) | instskip(SKIP_2) | instid1(VALU_DEP_2)
	v_lshlrev_b64 v[45:46], 2, v[0:1]
	v_ashrrev_i32_e32 v3, 31, v2
	v_cvt_i32_f32_e32 v1, v47
	v_lshlrev_b64 v[47:48], 2, v[2:3]
	v_cndmask_b32_e32 v3, 64, v51, vcc_lo
	v_add_co_u32 v45, vcc_lo, s12, v45
	v_add_co_ci_u32_e32 v46, vcc_lo, s13, v46, vcc_lo
	s_delay_alu instid0(TRANS32_DEP_1) | instskip(SKIP_1) | instid1(VALU_DEP_2)
	v_ldexp_f32 v1, v52, v1
	v_cmp_ngt_f32_e32 vcc_lo, 0xc2ce8ed0, v11
	v_cndmask_b32_e32 v1, 0, v1, vcc_lo
	s_waitcnt lgkmcnt(0)
	v_add_co_u32 v47, vcc_lo, s4, v47
	v_add_co_ci_u32_e32 v48, vcc_lo, s5, v48, vcc_lo
	v_cmp_nlt_f32_e32 vcc_lo, 0x42b17218, v11
	v_cndmask_b32_e32 v11, 0x7f800000, v1, vcc_lo
	v_add_co_u32 v49, vcc_lo, s6, v49
	v_add_co_ci_u32_e32 v50, vcc_lo, s7, v50, vcc_lo
	global_store_b32 v[47:48], v3, off
	global_store_b32 v[45:46], v11, off
	;; [unrolled: 1-line block ×3, first 2 shown]
.LBB275_7:
	s_or_b32 exec_lo, exec_lo, s1
	s_delay_alu instid0(VALU_DEP_1) | instskip(SKIP_1) | instid1(VALU_DEP_1)
	v_ashrrev_i32_e32 v3, 31, v44
	s_mov_b32 s0, exec_lo
	v_lshrrev_b32_e32 v1, 28, v3
	s_delay_alu instid0(VALU_DEP_1) | instskip(NEXT) | instid1(VALU_DEP_1)
	v_add_nc_u32_e32 v1, v44, v1
	v_ashrrev_i32_e32 v1, 4, v1
	s_delay_alu instid0(VALU_DEP_1) | instskip(NEXT) | instid1(VALU_DEP_1)
	v_lshrrev_b32_e32 v5, 30, v1
	v_add_nc_u32_e32 v5, v1, v5
	s_delay_alu instid0(VALU_DEP_1) | instskip(NEXT) | instid1(VALU_DEP_1)
	v_and_b32_e32 v5, -4, v5
	v_sub_nc_u32_e32 v5, v1, v5
	s_delay_alu instid0(VALU_DEP_1)
	v_cmpx_eq_u32_e64 v7, v5
	s_cbranch_execz .LBB275_9
; %bb.8:
	v_lshrrev_b32_e32 v3, 26, v3
	v_lshlrev_b32_e32 v1, 4, v1
	s_delay_alu instid0(VALU_DEP_2) | instskip(NEXT) | instid1(VALU_DEP_2)
	v_add_nc_u32_e32 v3, v44, v3
	v_sub_nc_u32_e32 v1, v44, v1
	s_delay_alu instid0(VALU_DEP_2) | instskip(NEXT) | instid1(VALU_DEP_1)
	v_ashrrev_i32_e32 v3, 6, v3
	v_lshl_add_u32 v1, v3, 4, v1
	s_delay_alu instid0(VALU_DEP_1)
	v_cmp_ne_u32_e32 vcc_lo, 15, v1
	v_cndmask_b32_e32 v8, 0xff800000, v8, vcc_lo
	v_cmp_ne_u32_e32 vcc_lo, 14, v1
	v_cndmask_b32_e32 v9, 0xff800000, v9, vcc_lo
	v_cmp_ne_u32_e32 vcc_lo, 13, v1
	v_cndmask_b32_e32 v10, 0xff800000, v10, vcc_lo
	v_cmp_ne_u32_e32 vcc_lo, 12, v1
	v_cndmask_b32_e32 v12, 0xff800000, v12, vcc_lo
	v_cmp_ne_u32_e32 vcc_lo, 11, v1
	v_cndmask_b32_e32 v14, 0xff800000, v14, vcc_lo
	v_cmp_ne_u32_e32 vcc_lo, 10, v1
	v_cndmask_b32_e32 v15, 0xff800000, v15, vcc_lo
	v_cmp_ne_u32_e32 vcc_lo, 9, v1
	v_cndmask_b32_e32 v16, 0xff800000, v16, vcc_lo
	v_cmp_ne_u32_e32 vcc_lo, 8, v1
	v_cndmask_b32_e32 v17, 0xff800000, v17, vcc_lo
	v_cmp_ne_u32_e32 vcc_lo, 7, v1
	v_cndmask_b32_e32 v18, 0xff800000, v18, vcc_lo
	v_cmp_ne_u32_e32 vcc_lo, 6, v1
	v_cndmask_b32_e32 v19, 0xff800000, v19, vcc_lo
	v_cmp_ne_u32_e32 vcc_lo, 5, v1
	v_cndmask_b32_e32 v20, 0xff800000, v20, vcc_lo
	v_cmp_ne_u32_e32 vcc_lo, 4, v1
	v_cndmask_b32_e32 v23, 0xff800000, v23, vcc_lo
	v_cmp_ne_u32_e32 vcc_lo, 3, v1
	v_cndmask_b32_e32 v24, 0xff800000, v24, vcc_lo
	v_cmp_ne_u32_e32 vcc_lo, 2, v1
	v_cndmask_b32_e32 v26, 0xff800000, v26, vcc_lo
	v_cmp_ne_u32_e32 vcc_lo, 1, v1
	v_cndmask_b32_e32 v21, 0xff800000, v21, vcc_lo
	v_cmp_ne_u32_e32 vcc_lo, 0, v1
	v_cndmask_b32_e32 v22, 0xff800000, v22, vcc_lo
.LBB275_9:
	s_or_b32 exec_lo, exec_lo, s0
	s_cmp_eq_u32 s8, 1
	s_cbranch_scc1 .LBB275_16
; %bb.10:
	s_add_i32 s18, s18, s16
	v_add_nc_u32_e32 v1, 1, v4
	v_add3_u32 v39, s18, v39, v6
	v_add_nc_u32_e32 v3, 1, v2
	v_add_nc_u32_e32 v5, 1, v0
	s_add_i32 s11, s8, -1
	s_branch .LBB275_12
.LBB275_11:                             ;   in Loop: Header=BB275_12 Depth=1
	s_or_b32 exec_lo, exec_lo, s0
	v_add_nc_u32_e32 v39, s16, v39
	v_add_nc_u32_e32 v1, 1, v1
	v_add_nc_u32_e32 v3, 1, v3
	v_add_nc_u32_e32 v5, 1, v5
	s_add_i32 s11, s11, -1
	s_delay_alu instid0(SALU_CYCLE_1)
	s_cmp_eq_u32 s11, 0
	s_cbranch_scc1 .LBB275_16
.LBB275_12:                             ; =>This Inner Loop Header: Depth=1
	v_cmp_gt_f32_e32 vcc_lo, v21, v22
	v_cndmask_b32_e32 v4, v22, v21, vcc_lo
	v_cndmask_b32_e32 v2, v25, v27, vcc_lo
	s_delay_alu instid0(VALU_DEP_2) | instskip(SKIP_1) | instid1(VALU_DEP_3)
	v_cmp_gt_f32_e32 vcc_lo, v26, v4
	v_cndmask_b32_e32 v4, v4, v26, vcc_lo
	v_cndmask_b32_e32 v2, v2, v28, vcc_lo
	s_delay_alu instid0(VALU_DEP_2) | instskip(SKIP_1) | instid1(VALU_DEP_3)
	;; [unrolled: 4-line block ×13, first 2 shown]
	v_cmp_gt_f32_e32 vcc_lo, v9, v4
	v_cndmask_b32_e32 v4, v4, v9, vcc_lo
	v_cndmask_b32_e32 v2, v2, v41, vcc_lo
	s_delay_alu instid0(VALU_DEP_2) | instskip(NEXT) | instid1(VALU_DEP_2)
	v_cmp_gt_f32_e32 vcc_lo, v8, v4
	v_cndmask_b32_e32 v6, v2, v42, vcc_lo
	v_cndmask_b32_e32 v2, v4, v8, vcc_lo
	s_delay_alu instid0(VALU_DEP_2) | instskip(NEXT) | instid1(VALU_DEP_2)
	v_mov_b32_dpp v4, v6 quad_perm:[1,0,3,2] row_mask:0xf bank_mask:0xf
	v_mov_b32_dpp v43, v2 quad_perm:[1,0,3,2] row_mask:0xf bank_mask:0xf
	s_delay_alu instid0(VALU_DEP_2) | instskip(NEXT) | instid1(VALU_DEP_2)
	v_cmp_lt_i32_e32 vcc_lo, v4, v6
	v_cmp_eq_f32_e64 s0, v2, v43
	v_cmp_lt_f32_e64 s1, v2, v43
	s_delay_alu instid0(VALU_DEP_2)
	s_and_b32 s0, s0, vcc_lo
	s_delay_alu instid0(VALU_DEP_1) | instid1(SALU_CYCLE_1)
	s_or_b32 vcc_lo, s1, s0
	v_cndmask_b32_e32 v2, v2, v43, vcc_lo
	v_cndmask_b32_e32 v6, v6, v4, vcc_lo
	s_delay_alu instid0(VALU_DEP_2) | instskip(NEXT) | instid1(VALU_DEP_2)
	v_mov_b32_dpp v4, v2 quad_perm:[2,3,0,1] row_mask:0xf bank_mask:0xf
	v_mov_b32_dpp v43, v6 quad_perm:[2,3,0,1] row_mask:0xf bank_mask:0xf
	s_delay_alu instid0(VALU_DEP_2) | instskip(NEXT) | instid1(VALU_DEP_2)
	v_cmp_eq_f32_e32 vcc_lo, v2, v4
	v_cmp_lt_i32_e64 s0, v43, v6
	v_cmp_lt_f32_e64 s1, v2, v4
	s_delay_alu instid0(VALU_DEP_2)
	s_and_b32 s0, vcc_lo, s0
	s_delay_alu instid0(VALU_DEP_1) | instid1(SALU_CYCLE_1)
	s_or_b32 vcc_lo, s1, s0
	v_cndmask_b32_e32 v43, v6, v43, vcc_lo
	s_and_saveexec_b32 s1, s2
	s_cbranch_execz .LBB275_14
; %bb.13:                               ;   in Loop: Header=BB275_12 Depth=1
	v_cndmask_b32_e32 v2, v2, v4, vcc_lo
	s_delay_alu instid0(VALU_DEP_2) | instskip(SKIP_4) | instid1(VALU_DEP_4)
	v_cmp_le_i32_e32 vcc_lo, s9, v43
	v_cmp_gt_i32_e64 s0, s10, v43
	v_ashrrev_i32_e32 v6, 31, v5
	v_subrev_nc_u32_e32 v51, s9, v43
	v_sub_f32_e32 v50, v2, v13
	s_and_b32 s0, vcc_lo, s0
	s_delay_alu instid0(SALU_CYCLE_1) | instskip(NEXT) | instid1(VALU_DEP_1)
	s_and_b32 vcc_lo, s17, s0
	v_mul_f32_e32 v2, 0x3fb8aa3b, v50
	s_delay_alu instid0(VALU_DEP_1) | instskip(SKIP_1) | instid1(VALU_DEP_2)
	v_fma_f32 v4, 0x3fb8aa3b, v50, -v2
	v_rndne_f32_e32 v44, v2
	v_fmac_f32_e32 v4, 0x32a5705f, v50
	s_delay_alu instid0(VALU_DEP_2) | instskip(SKIP_2) | instid1(VALU_DEP_3)
	v_sub_f32_e32 v2, v2, v44
	v_cvt_i32_f32_e32 v49, v44
	v_lshlrev_b64 v[44:45], 2, v[5:6]
	v_add_f32_e32 v2, v2, v4
	v_ashrrev_i32_e32 v4, 31, v3
	s_delay_alu instid0(VALU_DEP_2) | instskip(SKIP_1) | instid1(VALU_DEP_2)
	v_exp_f32_e32 v48, v2
	v_ashrrev_i32_e32 v2, 31, v1
	v_lshlrev_b64 v[46:47], 2, v[3:4]
	s_waitcnt_depctr 0xfff
	v_ldexp_f32 v4, v48, v49
	v_lshlrev_b64 v[48:49], 2, v[1:2]
	v_cndmask_b32_e32 v2, 64, v51, vcc_lo
	v_cmp_ngt_f32_e32 vcc_lo, 0xc2ce8ed0, v50
	s_delay_alu instid0(VALU_DEP_4) | instskip(SKIP_3) | instid1(VALU_DEP_4)
	v_cndmask_b32_e32 v4, 0, v4, vcc_lo
	v_add_co_u32 v44, vcc_lo, s12, v44
	v_add_co_ci_u32_e32 v45, vcc_lo, s13, v45, vcc_lo
	v_cmp_nlt_f32_e32 vcc_lo, 0x42b17218, v50
	v_cndmask_b32_e32 v4, 0x7f800000, v4, vcc_lo
	s_waitcnt lgkmcnt(0)
	v_add_co_u32 v46, vcc_lo, s4, v46
	v_add_co_ci_u32_e32 v47, vcc_lo, s5, v47, vcc_lo
	s_delay_alu instid0(VALU_DEP_3)
	v_add_f32_e32 v11, v11, v4
	v_add_co_u32 v48, vcc_lo, s6, v48
	v_add_co_ci_u32_e32 v49, vcc_lo, s7, v49, vcc_lo
	global_store_b32 v[44:45], v4, off
	global_store_b32 v[46:47], v2, off
	;; [unrolled: 1-line block ×3, first 2 shown]
.LBB275_14:                             ;   in Loop: Header=BB275_12 Depth=1
	s_or_b32 exec_lo, exec_lo, s1
	s_delay_alu instid0(VALU_DEP_1) | instskip(SKIP_1) | instid1(VALU_DEP_1)
	v_ashrrev_i32_e32 v4, 31, v43
	s_mov_b32 s0, exec_lo
	v_lshrrev_b32_e32 v2, 28, v4
	s_delay_alu instid0(VALU_DEP_1) | instskip(NEXT) | instid1(VALU_DEP_1)
	v_add_nc_u32_e32 v2, v43, v2
	v_ashrrev_i32_e32 v2, 4, v2
	s_delay_alu instid0(VALU_DEP_1) | instskip(NEXT) | instid1(VALU_DEP_1)
	v_lshrrev_b32_e32 v6, 30, v2
	v_add_nc_u32_e32 v6, v2, v6
	s_delay_alu instid0(VALU_DEP_1) | instskip(NEXT) | instid1(VALU_DEP_1)
	v_and_b32_e32 v6, -4, v6
	v_sub_nc_u32_e32 v6, v2, v6
	s_delay_alu instid0(VALU_DEP_1)
	v_cmpx_eq_u32_e64 v7, v6
	s_cbranch_execz .LBB275_11
; %bb.15:                               ;   in Loop: Header=BB275_12 Depth=1
	v_lshrrev_b32_e32 v4, 26, v4
	v_lshlrev_b32_e32 v2, 4, v2
	s_delay_alu instid0(VALU_DEP_2) | instskip(NEXT) | instid1(VALU_DEP_2)
	v_add_nc_u32_e32 v4, v43, v4
	v_sub_nc_u32_e32 v2, v43, v2
	s_delay_alu instid0(VALU_DEP_2) | instskip(NEXT) | instid1(VALU_DEP_1)
	v_ashrrev_i32_e32 v4, 6, v4
	v_lshl_add_u32 v2, v4, 4, v2
	s_delay_alu instid0(VALU_DEP_1)
	v_cmp_ne_u32_e32 vcc_lo, 15, v2
	v_cndmask_b32_e32 v8, 0xff800000, v8, vcc_lo
	v_cmp_ne_u32_e32 vcc_lo, 14, v2
	v_cndmask_b32_e32 v9, 0xff800000, v9, vcc_lo
	;; [unrolled: 2-line block ×16, first 2 shown]
	s_branch .LBB275_11
.LBB275_16:
	v_sub_f32_e32 v4, v26, v13
	v_sub_f32_e32 v1, v22, v13
	;; [unrolled: 1-line block ×5, first 2 shown]
	s_delay_alu instid0(VALU_DEP_4)
	v_dual_mul_f32 v26, 0x3fb8aa3b, v4 :: v_dual_mul_f32 v3, 0x3fb8aa3b, v1
	v_sub_f32_e32 v2, v21, v13
	v_sub_f32_e32 v21, v23, v13
	v_cmp_ngt_f32_e32 vcc_lo, 0xc2ce8ed0, v1
	v_sub_f32_e32 v20, v20, v13
	v_rndne_f32_e32 v23, v3
	v_fma_f32 v22, 0x3fb8aa3b, v1, -v3
	v_sub_f32_e32 v18, v18, v13
	v_sub_f32_e32 v15, v15, v13
	v_sub_f32_e32 v9, v9, v13
	v_sub_f32_e32 v3, v3, v23
	v_mul_f32_e32 v5, 0x3fb8aa3b, v2
	v_fmac_f32_e32 v22, 0x32a5705f, v1
	v_sub_f32_e32 v6, v24, v13
	v_cvt_i32_f32_e32 v23, v23
	s_delay_alu instid0(VALU_DEP_4) | instskip(SKIP_1) | instid1(VALU_DEP_1)
	v_fma_f32 v24, 0x3fb8aa3b, v2, -v5
	v_rndne_f32_e32 v25, v5
	v_dual_fmac_f32 v24, 0x32a5705f, v2 :: v_dual_sub_f32 v5, v5, v25
	v_cvt_i32_f32_e32 v25, v25
	s_delay_alu instid0(VALU_DEP_2)
	v_dual_mul_f32 v28, 0x3fb8aa3b, v21 :: v_dual_add_f32 v5, v5, v24
	v_add_f32_e32 v3, v3, v22
	v_fma_f32 v22, 0x3fb8aa3b, v4, -v26
	v_rndne_f32_e32 v24, v26
	v_mul_f32_e32 v27, 0x3fb8aa3b, v6
	v_exp_f32_e32 v5, v5
	v_exp_f32_e32 v3, v3
	v_fmac_f32_e32 v22, 0x32a5705f, v4
	v_sub_f32_e32 v26, v26, v24
	v_fma_f32 v29, 0x3fb8aa3b, v6, -v27
	v_rndne_f32_e32 v30, v27
	v_cvt_i32_f32_e32 v24, v24
	s_delay_alu instid0(TRANS32_DEP_2) | instskip(NEXT) | instid1(TRANS32_DEP_1)
	v_ldexp_f32 v5, v5, v25
	v_ldexp_f32 v3, v3, v23
	s_delay_alu instid0(VALU_DEP_1) | instskip(SKIP_1) | instid1(VALU_DEP_2)
	v_dual_add_f32 v22, v26, v22 :: v_dual_cndmask_b32 v3, 0, v3
	v_cmp_ngt_f32_e32 vcc_lo, 0xc2ce8ed0, v2
	v_exp_f32_e32 v22, v22
	v_cndmask_b32_e32 v5, 0, v5, vcc_lo
	v_cmp_nlt_f32_e32 vcc_lo, 0x42b17218, v1
	v_cndmask_b32_e32 v1, 0x7f800000, v3, vcc_lo
	v_cmp_nlt_f32_e32 vcc_lo, 0x42b17218, v2
	v_sub_f32_e32 v23, v27, v30
	v_fma_f32 v3, 0x3fb8aa3b, v21, -v28
	v_cndmask_b32_e32 v2, 0x7f800000, v5, vcc_lo
	s_delay_alu instid0(TRANS32_DEP_1) | instskip(SKIP_3) | instid1(VALU_DEP_4)
	v_ldexp_f32 v5, v22, v24
	v_cmp_ngt_f32_e32 vcc_lo, 0xc2ce8ed0, v4
	v_fmac_f32_e32 v29, 0x32a5705f, v6
	v_rndne_f32_e32 v22, v28
	v_dual_add_f32 v1, v1, v2 :: v_dual_cndmask_b32 v2, 0, v5
	v_cmp_nlt_f32_e32 vcc_lo, 0x42b17218, v4
	s_delay_alu instid0(VALU_DEP_4) | instskip(SKIP_3) | instid1(VALU_DEP_4)
	v_add_f32_e32 v23, v23, v29
	v_cvt_i32_f32_e32 v5, v30
	v_sub_f32_e32 v24, v28, v22
	v_cndmask_b32_e32 v2, 0x7f800000, v2, vcc_lo
	v_exp_f32_e32 v23, v23
	v_cmp_ngt_f32_e32 vcc_lo, 0xc2ce8ed0, v6
	s_delay_alu instid0(VALU_DEP_2) | instskip(SKIP_3) | instid1(VALU_DEP_2)
	v_add_f32_e32 v1, v1, v2
	s_waitcnt_depctr 0xfff
	v_ldexp_f32 v4, v23, v5
	v_mul_f32_e32 v5, 0x3fb8aa3b, v20
	v_cndmask_b32_e32 v2, 0, v4, vcc_lo
	v_cmp_nlt_f32_e32 vcc_lo, 0x42b17218, v6
	v_cvt_i32_f32_e32 v6, v22
	v_mul_f32_e32 v22, 0x3fb8aa3b, v19
	v_fma_f32 v4, 0x3fb8aa3b, v20, -v5
	v_fmac_f32_e32 v3, 0x32a5705f, v21
	v_cndmask_b32_e32 v2, 0x7f800000, v2, vcc_lo
	v_rndne_f32_e32 v23, v5
	v_cmp_ngt_f32_e32 vcc_lo, 0xc2ce8ed0, v21
	s_delay_alu instid0(VALU_DEP_4) | instskip(NEXT) | instid1(VALU_DEP_4)
	v_dual_fmac_f32 v4, 0x32a5705f, v20 :: v_dual_add_f32 v3, v24, v3
	v_add_f32_e32 v1, v1, v2
	s_delay_alu instid0(VALU_DEP_4) | instskip(NEXT) | instid1(VALU_DEP_3)
	v_sub_f32_e32 v5, v5, v23
	v_exp_f32_e32 v3, v3
	s_waitcnt_depctr 0xfff
	v_ldexp_f32 v2, v3, v6
	s_delay_alu instid0(VALU_DEP_1)
	v_cndmask_b32_e32 v2, 0, v2, vcc_lo
	v_cmp_nlt_f32_e32 vcc_lo, 0x42b17218, v21
	v_add_f32_e32 v3, v5, v4
	v_fma_f32 v4, 0x3fb8aa3b, v19, -v22
	v_rndne_f32_e32 v5, v22
	v_cvt_i32_f32_e32 v21, v23
	v_cndmask_b32_e32 v2, 0x7f800000, v2, vcc_lo
	v_exp_f32_e32 v3, v3
	v_fmac_f32_e32 v4, 0x32a5705f, v19
	v_sub_f32_e32 v6, v22, v5
	v_cmp_ngt_f32_e32 vcc_lo, 0xc2ce8ed0, v20
	v_add_f32_e32 v1, v1, v2
	v_cvt_i32_f32_e32 v5, v5
	s_delay_alu instid0(VALU_DEP_4) | instskip(SKIP_1) | instid1(TRANS32_DEP_1)
	v_add_f32_e32 v4, v6, v4
	v_mul_f32_e32 v6, 0x3fb8aa3b, v18
	v_ldexp_f32 v2, v3, v21
	s_delay_alu instid0(VALU_DEP_3)
	v_exp_f32_e32 v3, v4
	s_waitcnt_depctr 0xfff
	v_ldexp_f32 v3, v3, v5
	v_dual_sub_f32 v5, v17, v13 :: v_dual_cndmask_b32 v2, 0, v2
	v_cmp_nlt_f32_e32 vcc_lo, 0x42b17218, v20
	v_fma_f32 v4, 0x3fb8aa3b, v18, -v6
	v_rndne_f32_e32 v21, v6
	s_delay_alu instid0(VALU_DEP_4) | instskip(SKIP_1) | instid1(VALU_DEP_4)
	v_cndmask_b32_e32 v2, 0x7f800000, v2, vcc_lo
	v_cmp_ngt_f32_e32 vcc_lo, 0xc2ce8ed0, v19
	v_fmac_f32_e32 v4, 0x32a5705f, v18
	s_delay_alu instid0(VALU_DEP_3) | instskip(SKIP_2) | instid1(VALU_DEP_2)
	v_dual_sub_f32 v6, v6, v21 :: v_dual_add_f32 v1, v1, v2
	v_cndmask_b32_e32 v2, 0, v3, vcc_lo
	v_cmp_nlt_f32_e32 vcc_lo, 0x42b17218, v19
	v_cndmask_b32_e32 v2, 0x7f800000, v2, vcc_lo
	s_delay_alu instid0(VALU_DEP_4)
	v_add_f32_e32 v4, v6, v4
	v_sub_f32_e32 v6, v16, v13
	v_cvt_i32_f32_e32 v16, v21
	v_cmp_ngt_f32_e32 vcc_lo, 0xc2ce8ed0, v18
	v_add_f32_e32 v1, v1, v2
	v_exp_f32_e32 v3, v4
	v_mul_f32_e32 v20, 0x3fb8aa3b, v6
	s_waitcnt_depctr 0xfff
	v_ldexp_f32 v2, v3, v16
	v_rndne_f32_e32 v16, v20
	v_mul_f32_e32 v4, 0x3fb8aa3b, v5
	s_delay_alu instid0(VALU_DEP_3) | instskip(SKIP_1) | instid1(VALU_DEP_3)
	v_cndmask_b32_e32 v2, 0, v2, vcc_lo
	v_cmp_nlt_f32_e32 vcc_lo, 0x42b17218, v18
	v_fma_f32 v17, 0x3fb8aa3b, v5, -v4
	v_rndne_f32_e32 v19, v4
	s_delay_alu instid0(VALU_DEP_4) | instskip(NEXT) | instid1(VALU_DEP_3)
	v_cndmask_b32_e32 v2, 0x7f800000, v2, vcc_lo
	v_fmac_f32_e32 v17, 0x32a5705f, v5
	s_delay_alu instid0(VALU_DEP_3) | instskip(SKIP_1) | instid1(VALU_DEP_4)
	v_sub_f32_e32 v3, v4, v19
	v_fma_f32 v4, 0x3fb8aa3b, v6, -v20
	v_dual_sub_f32 v14, v14, v13 :: v_dual_add_f32 v1, v1, v2
	v_cvt_i32_f32_e32 v19, v19
	s_delay_alu instid0(VALU_DEP_3) | instskip(SKIP_1) | instid1(VALU_DEP_4)
	v_dual_add_f32 v3, v3, v17 :: v_dual_fmac_f32 v4, 0x32a5705f, v6
	v_dual_sub_f32 v17, v20, v16 :: v_dual_mul_f32 v20, 0x3fb8aa3b, v15
	v_mul_f32_e32 v21, 0x3fb8aa3b, v14
	s_delay_alu instid0(VALU_DEP_3) | instskip(SKIP_1) | instid1(VALU_DEP_3)
	v_exp_f32_e32 v3, v3
	v_cmp_ngt_f32_e32 vcc_lo, 0xc2ce8ed0, v5
	v_add_f32_e32 v4, v17, v4
	v_fma_f32 v17, 0x3fb8aa3b, v15, -v20
	v_rndne_f32_e32 v18, v20
	s_delay_alu instid0(VALU_DEP_1) | instskip(SKIP_4) | instid1(VALU_DEP_3)
	v_dual_fmac_f32 v17, 0x32a5705f, v15 :: v_dual_sub_f32 v20, v20, v18
	s_waitcnt_depctr 0xfff
	v_ldexp_f32 v2, v3, v19
	v_cvt_i32_f32_e32 v3, v16
	v_rndne_f32_e32 v19, v21
	v_cndmask_b32_e32 v2, 0, v2, vcc_lo
	v_cmp_nlt_f32_e32 vcc_lo, 0x42b17218, v5
	v_cvt_i32_f32_e32 v5, v18
	s_delay_alu instid0(VALU_DEP_3) | instskip(SKIP_3) | instid1(VALU_DEP_4)
	v_cndmask_b32_e32 v2, 0x7f800000, v2, vcc_lo
	v_add_f32_e32 v16, v20, v17
	v_fma_f32 v17, 0x3fb8aa3b, v14, -v21
	v_cmp_ngt_f32_e32 vcc_lo, 0xc2ce8ed0, v6
	v_add_f32_e32 v1, v1, v2
	s_delay_alu instid0(VALU_DEP_3)
	v_fmac_f32_e32 v17, 0x32a5705f, v14
	v_exp_f32_e32 v4, v4
	s_waitcnt_depctr 0xfff
	v_ldexp_f32 v3, v4, v3
	v_exp_f32_e32 v4, v16
	v_sub_f32_e32 v16, v21, v19
	s_delay_alu instid0(VALU_DEP_2)
	v_cndmask_b32_e32 v3, 0, v3, vcc_lo
	v_cmp_nlt_f32_e32 vcc_lo, 0x42b17218, v6
	s_waitcnt_depctr 0xfff
	v_ldexp_f32 v2, v4, v5
	v_cndmask_b32_e32 v3, 0x7f800000, v3, vcc_lo
	v_cmp_ngt_f32_e32 vcc_lo, 0xc2ce8ed0, v15
	v_sub_f32_e32 v5, v12, v13
	s_delay_alu instid0(VALU_DEP_3) | instskip(SKIP_2) | instid1(VALU_DEP_4)
	v_dual_add_f32 v1, v1, v3 :: v_dual_cndmask_b32 v2, 0, v2
	v_cmp_nlt_f32_e32 vcc_lo, 0x42b17218, v15
	v_cvt_i32_f32_e32 v3, v19
	v_mul_f32_e32 v6, 0x3fb8aa3b, v5
	s_delay_alu instid0(VALU_DEP_4) | instskip(SKIP_2) | instid1(VALU_DEP_3)
	v_cndmask_b32_e32 v2, 0x7f800000, v2, vcc_lo
	v_add_f32_e32 v16, v16, v17
	v_cmp_ngt_f32_e32 vcc_lo, 0xc2ce8ed0, v14
	v_add_f32_e32 v1, v1, v2
	s_delay_alu instid0(VALU_DEP_3) | instskip(SKIP_2) | instid1(VALU_DEP_2)
	v_exp_f32_e32 v4, v16
	v_fma_f32 v2, 0x3fb8aa3b, v5, -v6
	v_mul_f32_e32 v16, 0x3fb8aa3b, v8
	v_fmac_f32_e32 v2, 0x32a5705f, v5
	s_delay_alu instid0(VALU_DEP_2) | instskip(SKIP_3) | instid1(VALU_DEP_2)
	v_rndne_f32_e32 v17, v16
	s_waitcnt_depctr 0xfff
	v_ldexp_f32 v3, v4, v3
	v_rndne_f32_e32 v4, v6
	v_cndmask_b32_e32 v3, 0, v3, vcc_lo
	v_cmp_nlt_f32_e32 vcc_lo, 0x42b17218, v14
	s_delay_alu instid0(VALU_DEP_2) | instskip(SKIP_2) | instid1(VALU_DEP_3)
	v_cndmask_b32_e32 v3, 0x7f800000, v3, vcc_lo
	v_mul_f32_e32 v12, 0x3fb8aa3b, v10
	v_cmp_ngt_f32_e32 vcc_lo, 0xc2ce8ed0, v5
	v_dual_add_f32 v1, v1, v3 :: v_dual_sub_f32 v6, v6, v4
	s_delay_alu instid0(VALU_DEP_3) | instskip(SKIP_1) | instid1(VALU_DEP_3)
	v_fma_f32 v3, 0x3fb8aa3b, v10, -v12
	v_cvt_i32_f32_e32 v4, v4
	v_add_f32_e32 v2, v6, v2
	v_rndne_f32_e32 v6, v12
	s_delay_alu instid0(VALU_DEP_4) | instskip(NEXT) | instid1(VALU_DEP_3)
	v_fmac_f32_e32 v3, 0x32a5705f, v10
	v_exp_f32_e32 v2, v2
	s_delay_alu instid0(VALU_DEP_2) | instskip(SKIP_1) | instid1(VALU_DEP_2)
	v_sub_f32_e32 v12, v12, v6
	v_cvt_i32_f32_e32 v6, v6
	v_add_f32_e32 v3, v12, v3
	s_waitcnt_depctr 0xfff
	v_ldexp_f32 v2, v2, v4
	v_exp_f32_e32 v3, v3
	s_delay_alu instid0(VALU_DEP_1)
	v_cndmask_b32_e32 v2, 0, v2, vcc_lo
	v_cmp_nlt_f32_e32 vcc_lo, 0x42b17218, v5
	s_waitcnt_depctr 0xfff
	v_ldexp_f32 v3, v3, v6
	v_cndmask_b32_e32 v2, 0x7f800000, v2, vcc_lo
	v_cmp_ngt_f32_e32 vcc_lo, 0xc2ce8ed0, v10
	s_delay_alu instid0(VALU_DEP_2) | instskip(NEXT) | instid1(VALU_DEP_4)
	v_add_f32_e32 v1, v1, v2
	v_cndmask_b32_e32 v3, 0, v3, vcc_lo
	v_cmp_nlt_f32_e32 vcc_lo, 0x42b17218, v10
	s_delay_alu instid0(VALU_DEP_2) | instskip(SKIP_1) | instid1(VALU_DEP_2)
	v_cndmask_b32_e32 v3, 0x7f800000, v3, vcc_lo
	v_cmp_ngt_f32_e32 vcc_lo, 0xc2ce8ed0, v9
	v_dual_add_f32 v1, v1, v3 :: v_dual_mul_f32 v14, 0x3fb8aa3b, v9
	s_delay_alu instid0(VALU_DEP_1) | instskip(SKIP_1) | instid1(VALU_DEP_1)
	v_fma_f32 v13, 0x3fb8aa3b, v9, -v14
	v_rndne_f32_e32 v15, v14
	v_dual_fmac_f32 v13, 0x32a5705f, v9 :: v_dual_sub_f32 v12, v14, v15
	v_fma_f32 v14, 0x3fb8aa3b, v8, -v16
	v_cvt_i32_f32_e32 v5, v15
	s_delay_alu instid0(VALU_DEP_3) | instskip(NEXT) | instid1(VALU_DEP_3)
	v_add_f32_e32 v4, v12, v13
	v_fmac_f32_e32 v14, 0x32a5705f, v8
	v_sub_f32_e32 v12, v16, v17
	s_delay_alu instid0(VALU_DEP_3) | instskip(NEXT) | instid1(VALU_DEP_1)
	v_exp_f32_e32 v4, v4
	v_add_f32_e32 v12, v12, v14
	s_delay_alu instid0(VALU_DEP_1) | instskip(SKIP_3) | instid1(VALU_DEP_2)
	v_exp_f32_e32 v6, v12
	s_waitcnt_depctr 0xfff
	v_ldexp_f32 v2, v4, v5
	v_cvt_i32_f32_e32 v4, v17
	v_cndmask_b32_e32 v2, 0, v2, vcc_lo
	v_cmp_nlt_f32_e32 vcc_lo, 0x42b17218, v9
	s_delay_alu instid0(VALU_DEP_3) | instskip(NEXT) | instid1(VALU_DEP_3)
	v_ldexp_f32 v4, v6, v4
	v_cndmask_b32_e32 v2, 0x7f800000, v2, vcc_lo
	v_cmp_ngt_f32_e32 vcc_lo, 0xc2ce8ed0, v8
	s_delay_alu instid0(VALU_DEP_2) | instskip(NEXT) | instid1(VALU_DEP_4)
	v_add_f32_e32 v1, v1, v2
	v_cndmask_b32_e32 v3, 0, v4, vcc_lo
	v_cmp_nlt_f32_e32 vcc_lo, 0x42b17218, v8
	s_delay_alu instid0(VALU_DEP_2) | instskip(SKIP_1) | instid1(VALU_DEP_2)
	v_cndmask_b32_e32 v2, 0x7f800000, v3, vcc_lo
	v_cmp_eq_u32_e32 vcc_lo, 0, v7
	v_add_f32_e32 v1, v1, v2
	s_delay_alu instid0(VALU_DEP_1) | instskip(NEXT) | instid1(VALU_DEP_1)
	v_mov_b32_dpp v2, v1 quad_perm:[1,0,3,2] row_mask:0xf bank_mask:0xf
	v_add_f32_e32 v1, v1, v2
	s_delay_alu instid0(VALU_DEP_1)
	v_mov_b32_dpp v2, v1 quad_perm:[2,3,0,1] row_mask:0xf bank_mask:0xf
	s_and_b32 exec_lo, exec_lo, vcc_lo
	s_cbranch_execz .LBB275_21
; %bb.17:
	s_delay_alu instid0(VALU_DEP_1) | instskip(NEXT) | instid1(VALU_DEP_1)
	v_add_f32_e32 v1, v1, v2
	v_add_f32_e32 v2, v11, v1
	s_delay_alu instid0(VALU_DEP_1)
	v_cmp_neq_f32_e32 vcc_lo, 0, v2
	s_and_b32 exec_lo, exec_lo, vcc_lo
	s_cbranch_execz .LBB275_21
; %bb.18:
	s_and_not1_b32 vcc_lo, exec_lo, s3
	s_cbranch_vccnz .LBB275_21
; %bb.19:
	v_div_scale_f32 v1, null, v2, v2, 1.0
	v_div_scale_f32 v5, vcc_lo, 1.0, v2, 1.0
	s_delay_alu instid0(VALU_DEP_2) | instskip(SKIP_2) | instid1(VALU_DEP_1)
	v_rcp_f32_e32 v3, v1
	s_waitcnt_depctr 0xfff
	v_fma_f32 v4, -v1, v3, 1.0
	v_fmac_f32_e32 v3, v4, v3
	s_delay_alu instid0(VALU_DEP_1) | instskip(NEXT) | instid1(VALU_DEP_1)
	v_mul_f32_e32 v4, v5, v3
	v_fma_f32 v6, -v1, v4, v5
	s_delay_alu instid0(VALU_DEP_1) | instskip(NEXT) | instid1(VALU_DEP_1)
	v_fmac_f32_e32 v4, v6, v3
	v_fma_f32 v5, -v1, v4, v5
	v_ashrrev_i32_e32 v1, 31, v0
	s_delay_alu instid0(VALU_DEP_2) | instskip(NEXT) | instid1(VALU_DEP_2)
	v_div_fmas_f32 v3, v5, v3, v4
	v_lshlrev_b64 v[0:1], 2, v[0:1]
	s_delay_alu instid0(VALU_DEP_2) | instskip(NEXT) | instid1(VALU_DEP_2)
	v_div_fixup_f32 v2, v3, v2, 1.0
	v_add_co_u32 v0, vcc_lo, s12, v0
	s_delay_alu instid0(VALU_DEP_3)
	v_add_co_ci_u32_e32 v1, vcc_lo, s13, v1, vcc_lo
.LBB275_20:                             ; =>This Inner Loop Header: Depth=1
	global_load_b32 v3, v[0:1], off
	s_add_i32 s8, s8, -1
	s_delay_alu instid0(SALU_CYCLE_1)
	s_cmp_lg_u32 s8, 0
	s_waitcnt vmcnt(0)
	v_mul_f32_e32 v3, v2, v3
	global_store_b32 v[0:1], v3, off
	v_add_co_u32 v0, vcc_lo, v0, 4
	v_add_co_ci_u32_e32 v1, vcc_lo, 0, v1, vcc_lo
	s_cbranch_scc1 .LBB275_20
.LBB275_21:
	s_nop 0
	s_sendmsg sendmsg(MSG_DEALLOC_VGPRS)
	s_endpgm
	.section	.rodata,"a",@progbits
	.p2align	6, 0x0
	.amdhsa_kernel _ZN4vllm3moe17topkGatingSoftmaxItLi16ELi64ELi8ELi32ELb0ELi4ELNS0_23SharedExpertScoringFuncE1EEEvPKT_PKbPfiPiS9_iiiiii
		.amdhsa_group_segment_fixed_size 0
		.amdhsa_private_segment_fixed_size 0
		.amdhsa_kernarg_size 72
		.amdhsa_user_sgpr_count 15
		.amdhsa_user_sgpr_dispatch_ptr 0
		.amdhsa_user_sgpr_queue_ptr 0
		.amdhsa_user_sgpr_kernarg_segment_ptr 1
		.amdhsa_user_sgpr_dispatch_id 0
		.amdhsa_user_sgpr_private_segment_size 0
		.amdhsa_wavefront_size32 1
		.amdhsa_uses_dynamic_stack 0
		.amdhsa_enable_private_segment 0
		.amdhsa_system_sgpr_workgroup_id_x 1
		.amdhsa_system_sgpr_workgroup_id_y 0
		.amdhsa_system_sgpr_workgroup_id_z 0
		.amdhsa_system_sgpr_workgroup_info 0
		.amdhsa_system_vgpr_workitem_id 1
		.amdhsa_next_free_vgpr 53
		.amdhsa_next_free_sgpr 19
		.amdhsa_reserve_vcc 1
		.amdhsa_float_round_mode_32 0
		.amdhsa_float_round_mode_16_64 0
		.amdhsa_float_denorm_mode_32 3
		.amdhsa_float_denorm_mode_16_64 3
		.amdhsa_dx10_clamp 1
		.amdhsa_ieee_mode 1
		.amdhsa_fp16_overflow 0
		.amdhsa_workgroup_processor_mode 1
		.amdhsa_memory_ordered 1
		.amdhsa_forward_progress 0
		.amdhsa_shared_vgpr_count 0
		.amdhsa_exception_fp_ieee_invalid_op 0
		.amdhsa_exception_fp_denorm_src 0
		.amdhsa_exception_fp_ieee_div_zero 0
		.amdhsa_exception_fp_ieee_overflow 0
		.amdhsa_exception_fp_ieee_underflow 0
		.amdhsa_exception_fp_ieee_inexact 0
		.amdhsa_exception_int_div_zero 0
	.end_amdhsa_kernel
	.section	.text._ZN4vllm3moe17topkGatingSoftmaxItLi16ELi64ELi8ELi32ELb0ELi4ELNS0_23SharedExpertScoringFuncE1EEEvPKT_PKbPfiPiS9_iiiiii,"axG",@progbits,_ZN4vllm3moe17topkGatingSoftmaxItLi16ELi64ELi8ELi32ELb0ELi4ELNS0_23SharedExpertScoringFuncE1EEEvPKT_PKbPfiPiS9_iiiiii,comdat
.Lfunc_end275:
	.size	_ZN4vllm3moe17topkGatingSoftmaxItLi16ELi64ELi8ELi32ELb0ELi4ELNS0_23SharedExpertScoringFuncE1EEEvPKT_PKbPfiPiS9_iiiiii, .Lfunc_end275-_ZN4vllm3moe17topkGatingSoftmaxItLi16ELi64ELi8ELi32ELb0ELi4ELNS0_23SharedExpertScoringFuncE1EEEvPKT_PKbPfiPiS9_iiiiii
                                        ; -- End function
	.section	.AMDGPU.csdata,"",@progbits
; Kernel info:
; codeLenInByte = 4736
; NumSgprs: 21
; NumVgprs: 53
; ScratchSize: 0
; MemoryBound: 0
; FloatMode: 240
; IeeeMode: 1
; LDSByteSize: 0 bytes/workgroup (compile time only)
; SGPRBlocks: 2
; VGPRBlocks: 6
; NumSGPRsForWavesPerEU: 21
; NumVGPRsForWavesPerEU: 53
; Occupancy: 16
; WaveLimiterHint : 0
; COMPUTE_PGM_RSRC2:SCRATCH_EN: 0
; COMPUTE_PGM_RSRC2:USER_SGPR: 15
; COMPUTE_PGM_RSRC2:TRAP_HANDLER: 0
; COMPUTE_PGM_RSRC2:TGID_X_EN: 1
; COMPUTE_PGM_RSRC2:TGID_Y_EN: 0
; COMPUTE_PGM_RSRC2:TGID_Z_EN: 0
; COMPUTE_PGM_RSRC2:TIDIG_COMP_CNT: 1
	.section	.text._ZN4vllm3moe17topkGatingSoftmaxItLi16ELi64ELi8ELi32ELb1ELi8ELNS0_23SharedExpertScoringFuncE1EEEvPKT_PKbPfiPiS9_iiiiii,"axG",@progbits,_ZN4vllm3moe17topkGatingSoftmaxItLi16ELi64ELi8ELi32ELb1ELi8ELNS0_23SharedExpertScoringFuncE1EEEvPKT_PKbPfiPiS9_iiiiii,comdat
	.protected	_ZN4vllm3moe17topkGatingSoftmaxItLi16ELi64ELi8ELi32ELb1ELi8ELNS0_23SharedExpertScoringFuncE1EEEvPKT_PKbPfiPiS9_iiiiii ; -- Begin function _ZN4vllm3moe17topkGatingSoftmaxItLi16ELi64ELi8ELi32ELb1ELi8ELNS0_23SharedExpertScoringFuncE1EEEvPKT_PKbPfiPiS9_iiiiii
	.globl	_ZN4vllm3moe17topkGatingSoftmaxItLi16ELi64ELi8ELi32ELb1ELi8ELNS0_23SharedExpertScoringFuncE1EEEvPKT_PKbPfiPiS9_iiiiii
	.p2align	8
	.type	_ZN4vllm3moe17topkGatingSoftmaxItLi16ELi64ELi8ELi32ELb1ELi8ELNS0_23SharedExpertScoringFuncE1EEEvPKT_PKbPfiPiS9_iiiiii,@function
_ZN4vllm3moe17topkGatingSoftmaxItLi16ELi64ELi8ELi32ELb1ELi8ELNS0_23SharedExpertScoringFuncE1EEEvPKT_PKbPfiPiS9_iiiiii: ; @_ZN4vllm3moe17topkGatingSoftmaxItLi16ELi64ELi8ELi32ELb1ELi8ELNS0_23SharedExpertScoringFuncE1EEEvPKT_PKbPfiPiS9_iiiiii
; %bb.0:
	s_load_b32 s16, s[0:1], 0x18
	v_bfe_u32 v1, v0, 10, 10
	v_and_b32_e32 v0, 0x3ff, v0
	s_lshl_b32 s18, s15, 6
	s_mov_b32 s2, exec_lo
	s_delay_alu instid0(VALU_DEP_2) | instskip(NEXT) | instid1(VALU_DEP_2)
	v_lshlrev_b32_e32 v26, 3, v1
	v_lshrrev_b32_e32 v27, 2, v0
	s_delay_alu instid0(VALU_DEP_1) | instskip(SKIP_1) | instid1(VALU_DEP_1)
	v_add3_u32 v45, s18, v26, v27
	s_waitcnt lgkmcnt(0)
	v_cmpx_gt_i32_e64 s16, v45
	s_cbranch_execz .LBB276_23
; %bb.1:
	s_clause 0x1
	s_load_b128 s[8:11], s[0:1], 0x0
	s_load_b64 s[12:13], s[0:1], 0x10
	s_waitcnt lgkmcnt(0)
	s_cmp_eq_u64 s[10:11], 0
	s_cbranch_scc1 .LBB276_3
; %bb.2:
	v_ashrrev_i32_e32 v2, 31, v45
	v_add_co_u32 v1, vcc_lo, s10, v45
	s_delay_alu instid0(VALU_DEP_2) | instskip(SKIP_3) | instid1(VALU_DEP_1)
	v_add_co_ci_u32_e32 v2, vcc_lo, s11, v2, vcc_lo
	global_load_u8 v1, v[1:2], off
	s_waitcnt vmcnt(0)
	v_and_b32_e32 v1, 1, v1
	v_cmp_eq_u32_e32 vcc_lo, 1, v1
	s_xor_b32 s2, vcc_lo, -1
	s_delay_alu instid0(SALU_CYCLE_1)
	s_or_not1_b32 s17, s2, exec_lo
	s_branch .LBB276_4
.LBB276_3:
	s_mov_b32 s17, -1
.LBB276_4:
	s_clause 0x1
	s_load_b64 s[14:15], s[0:1], 0x40
	s_load_b128 s[4:7], s[0:1], 0x30
	v_and_b32_e32 v11, 3, v0
	s_mov_b32 s3, 0
	s_delay_alu instid0(VALU_DEP_1)
	v_lshlrev_b32_e32 v0, 5, v11
	v_lshlrev_b32_e32 v12, 1, v11
	v_mov_b32_e32 v14, v11
	s_waitcnt lgkmcnt(0)
	v_mul_lo_u32 v1, v45, s15
	v_mul_lo_u32 v8, v45, s7
	s_delay_alu instid0(VALU_DEP_2) | instskip(NEXT) | instid1(VALU_DEP_2)
	v_ashrrev_i32_e32 v2, 31, v1
	v_add_nc_u32_e32 v13, s4, v8
	s_delay_alu instid0(VALU_DEP_2) | instskip(NEXT) | instid1(VALU_DEP_1)
	v_lshlrev_b64 v[9:10], 1, v[1:2]
	v_add_co_u32 v1, vcc_lo, s8, v9
	s_delay_alu instid0(VALU_DEP_2) | instskip(NEXT) | instid1(VALU_DEP_2)
	v_add_co_ci_u32_e32 v2, vcc_lo, s9, v10, vcc_lo
	v_add_co_u32 v4, vcc_lo, v1, v0
	s_delay_alu instid0(VALU_DEP_2)
	v_add_co_ci_u32_e32 v5, vcc_lo, 0, v2, vcc_lo
	v_add_co_u32 v9, vcc_lo, v9, v12
	v_add_co_ci_u32_e32 v10, vcc_lo, 0, v10, vcc_lo
	s_clause 0x1
	global_load_b128 v[0:3], v[4:5], off offset:16
	global_load_b128 v[4:7], v[4:5], off
	v_add_co_u32 v9, vcc_lo, v9, s8
	v_add_co_ci_u32_e32 v10, vcc_lo, s9, v10, vcc_lo
	v_lshlrev_b32_e32 v12, 4, v11
	s_delay_alu instid0(VALU_DEP_3) | instskip(NEXT) | instid1(VALU_DEP_3)
	v_add_co_u32 v9, vcc_lo, 0x80, v9
	v_add_co_ci_u32_e32 v10, vcc_lo, 0, v10, vcc_lo
.LBB276_5:                              ; =>This Inner Loop Header: Depth=1
	global_load_u16 v15, v[9:10], off
	v_add_co_u32 v9, s2, v9, 8
	s_delay_alu instid0(VALU_DEP_1) | instskip(SKIP_2) | instid1(VALU_DEP_2)
	v_add_co_ci_u32_e64 v10, s2, 0, v10, s2
	v_cmp_lt_u32_e64 s2, 3, v14
	v_add_nc_u32_e32 v22, 4, v14
	s_or_b32 s3, s2, s3
	s_waitcnt vmcnt(0)
	v_cvt_f32_u32_e32 v15, v15
	s_delay_alu instid0(VALU_DEP_1) | instskip(SKIP_1) | instid1(VALU_DEP_2)
	v_mul_f32_e32 v16, 0xbfb8aa3b, v15
	v_cmp_nlt_f32_e32 vcc_lo, 0x42ce8ed0, v15
	v_rndne_f32_e32 v17, v16
	v_fma_f32 v18, 0xbfb8aa3b, v15, -v16
	s_delay_alu instid0(VALU_DEP_2) | instskip(NEXT) | instid1(VALU_DEP_2)
	v_sub_f32_e32 v16, v16, v17
	v_fmac_f32_e32 v18, 0xb2a5705f, v15
	v_cvt_i32_f32_e32 v17, v17
	s_delay_alu instid0(VALU_DEP_2) | instskip(NEXT) | instid1(VALU_DEP_1)
	v_add_f32_e32 v16, v16, v18
	v_exp_f32_e32 v16, v16
	s_waitcnt_depctr 0xfff
	v_ldexp_f32 v16, v16, v17
	s_delay_alu instid0(VALU_DEP_1) | instskip(SKIP_1) | instid1(VALU_DEP_2)
	v_cndmask_b32_e32 v16, 0, v16, vcc_lo
	v_cmp_ngt_f32_e32 vcc_lo, 0xc2b17218, v15
	v_cndmask_b32_e32 v15, 0x7f800000, v16, vcc_lo
	s_delay_alu instid0(VALU_DEP_1) | instskip(NEXT) | instid1(VALU_DEP_1)
	v_add_f32_e32 v18, 1.0, v15
	v_div_scale_f32 v17, null, v18, v18, 1.0
	v_div_scale_f32 v20, vcc_lo, 1.0, v18, 1.0
	s_delay_alu instid0(VALU_DEP_2) | instskip(SKIP_2) | instid1(VALU_DEP_1)
	v_rcp_f32_e32 v19, v17
	s_waitcnt_depctr 0xfff
	v_fma_f32 v15, -v17, v19, 1.0
	v_fmac_f32_e32 v19, v15, v19
	v_add_nc_u32_e32 v15, v13, v14
	s_delay_alu instid0(VALU_DEP_2) | instskip(NEXT) | instid1(VALU_DEP_1)
	v_mul_f32_e32 v21, v20, v19
	v_fma_f32 v16, -v17, v21, v20
	s_delay_alu instid0(VALU_DEP_1) | instskip(NEXT) | instid1(VALU_DEP_4)
	v_fmac_f32_e32 v21, v16, v19
	v_ashrrev_i32_e32 v16, 31, v15
	s_delay_alu instid0(VALU_DEP_2) | instskip(NEXT) | instid1(VALU_DEP_2)
	v_fma_f32 v17, -v17, v21, v20
	v_lshlrev_b64 v[14:15], 2, v[15:16]
	s_delay_alu instid0(VALU_DEP_2) | instskip(NEXT) | instid1(VALU_DEP_2)
	v_div_fmas_f32 v19, v17, v19, v21
	v_add_co_u32 v16, vcc_lo, s12, v14
	v_mov_b32_e32 v14, v22
	s_delay_alu instid0(VALU_DEP_4) | instskip(NEXT) | instid1(VALU_DEP_4)
	v_add_co_ci_u32_e32 v17, vcc_lo, s13, v15, vcc_lo
	v_div_fixup_f32 v15, v19, v18, 1.0
	global_store_b32 v[16:17], v15, off
	s_and_not1_b32 exec_lo, exec_lo, s3
	s_cbranch_execnz .LBB276_5
; %bb.6:
	s_or_b32 exec_lo, exec_lo, s3
	v_lshrrev_b32_e32 v9, 16, v4
	v_or_b32_e32 v14, 1, v12
	v_or_b32_e32 v16, 2, v12
	;; [unrolled: 1-line block ×4, first 2 shown]
	v_cvt_f32_u32_e32 v10, v9
	v_and_b32_e32 v4, 0xffff, v4
	v_or_b32_e32 v24, 7, v12
	v_or_b32_e32 v28, 8, v12
	;; [unrolled: 1-line block ×4, first 2 shown]
	v_cvt_f32_u32_e32 v13, v4
	v_or_b32_e32 v34, 11, v12
	v_or_b32_e32 v36, 12, v12
	;; [unrolled: 1-line block ×4, first 2 shown]
	v_cmp_lt_f32_e32 vcc_lo, v13, v10
	v_or_b32_e32 v42, 15, v12
	v_dual_cndmask_b32 v9, v13, v10 :: v_dual_and_b32 v4, 0xffff, v5
	v_lshrrev_b32_e32 v5, 16, v5
	s_delay_alu instid0(VALU_DEP_2) | instskip(NEXT) | instid1(VALU_DEP_2)
	v_cvt_f32_u32_e32 v15, v4
	v_cvt_f32_u32_e32 v17, v5
	v_cndmask_b32_e32 v4, v12, v14, vcc_lo
	s_delay_alu instid0(VALU_DEP_3) | instskip(NEXT) | instid1(VALU_DEP_2)
	v_cmp_lt_f32_e32 vcc_lo, v9, v15
	v_dual_cndmask_b32 v5, v9, v15 :: v_dual_cndmask_b32 v4, v4, v16
	v_and_b32_e32 v9, 0xffff, v6
	s_delay_alu instid0(VALU_DEP_2) | instskip(NEXT) | instid1(VALU_DEP_2)
	v_cmp_lt_f32_e32 vcc_lo, v5, v17
	v_cvt_f32_u32_e32 v19, v9
	v_lshrrev_b32_e32 v9, 16, v6
	v_or_b32_e32 v6, 4, v12
	v_dual_cndmask_b32 v5, v5, v17 :: v_dual_cndmask_b32 v4, v4, v18
	s_delay_alu instid0(VALU_DEP_3) | instskip(SKIP_1) | instid1(VALU_DEP_3)
	v_cvt_f32_u32_e32 v20, v9
	v_and_b32_e32 v9, 0xffff, v7
	v_cmp_lt_f32_e32 vcc_lo, v5, v19
	s_delay_alu instid0(VALU_DEP_2) | instskip(SKIP_3) | instid1(VALU_DEP_3)
	v_cvt_f32_u32_e32 v22, v9
	v_dual_cndmask_b32 v5, v5, v19 :: v_dual_cndmask_b32 v4, v4, v6
	v_lshrrev_b32_e32 v9, 16, v7
	v_or_b32_e32 v7, 6, v12
	v_cmp_lt_f32_e32 vcc_lo, v5, v20
	s_delay_alu instid0(VALU_DEP_3) | instskip(SKIP_1) | instid1(VALU_DEP_1)
	v_cvt_f32_u32_e32 v23, v9
	v_dual_cndmask_b32 v4, v4, v21 :: v_dual_cndmask_b32 v5, v5, v20
	v_cmp_lt_f32_e32 vcc_lo, v5, v22
	s_delay_alu instid0(VALU_DEP_2) | instskip(NEXT) | instid1(VALU_DEP_1)
	v_dual_cndmask_b32 v4, v4, v7 :: v_dual_cndmask_b32 v5, v5, v22
	v_cmp_lt_f32_e32 vcc_lo, v5, v23
	s_delay_alu instid0(VALU_DEP_2) | instskip(SKIP_2) | instid1(VALU_DEP_2)
	v_dual_cndmask_b32 v4, v4, v24 :: v_dual_cndmask_b32 v5, v5, v23
	v_and_b32_e32 v9, 0xffff, v0
	v_lshrrev_b32_e32 v0, 16, v0
	v_cvt_f32_u32_e32 v25, v9
	s_delay_alu instid0(VALU_DEP_2) | instskip(NEXT) | instid1(VALU_DEP_2)
	v_cvt_f32_u32_e32 v29, v0
	v_cmp_lt_f32_e32 vcc_lo, v5, v25
	v_cndmask_b32_e32 v0, v4, v28, vcc_lo
	v_cndmask_b32_e32 v4, v5, v25, vcc_lo
	v_and_b32_e32 v5, 0xffff, v1
	v_lshrrev_b32_e32 v1, 16, v1
	s_delay_alu instid0(VALU_DEP_3) | instskip(NEXT) | instid1(VALU_DEP_3)
	v_cmp_lt_f32_e32 vcc_lo, v4, v29
	v_cvt_f32_u32_e32 v31, v5
	s_delay_alu instid0(VALU_DEP_3) | instskip(SKIP_2) | instid1(VALU_DEP_2)
	v_cvt_f32_u32_e32 v33, v1
	v_cndmask_b32_e32 v4, v4, v29, vcc_lo
	v_cndmask_b32_e32 v0, v0, v30, vcc_lo
	v_cmp_lt_f32_e32 vcc_lo, v4, v31
	v_dual_cndmask_b32 v1, v4, v31 :: v_dual_and_b32 v4, 0xffff, v2
	v_lshrrev_b32_e32 v2, 16, v2
	s_delay_alu instid0(VALU_DEP_2) | instskip(NEXT) | instid1(VALU_DEP_2)
	v_cvt_f32_u32_e32 v35, v4
	v_cvt_f32_u32_e32 v37, v2
	v_cndmask_b32_e32 v0, v0, v32, vcc_lo
	v_cmp_lt_f32_e32 vcc_lo, v1, v33
	v_dual_cndmask_b32 v1, v1, v33 :: v_dual_and_b32 v2, 0xffff, v3
	s_delay_alu instid0(VALU_DEP_1) | instskip(NEXT) | instid1(VALU_DEP_4)
	v_cvt_f32_u32_e32 v39, v2
	v_cndmask_b32_e32 v0, v0, v34, vcc_lo
	v_lshrrev_b32_e32 v2, 16, v3
	s_delay_alu instid0(VALU_DEP_4) | instskip(NEXT) | instid1(VALU_DEP_2)
	v_cmp_lt_f32_e32 vcc_lo, v1, v35
	v_cvt_f32_u32_e32 v41, v2
	s_delay_alu instid0(VALU_DEP_4) | instskip(NEXT) | instid1(VALU_DEP_1)
	v_dual_cndmask_b32 v1, v1, v35 :: v_dual_cndmask_b32 v0, v0, v36
	v_cmp_lt_f32_e32 vcc_lo, v1, v37
	s_delay_alu instid0(VALU_DEP_2) | instskip(NEXT) | instid1(VALU_DEP_1)
	v_dual_cndmask_b32 v1, v1, v37 :: v_dual_cndmask_b32 v0, v0, v38
	v_cmp_lt_f32_e32 vcc_lo, v1, v39
	s_delay_alu instid0(VALU_DEP_2) | instskip(NEXT) | instid1(VALU_DEP_1)
	;; [unrolled: 3-line block ×3, first 2 shown]
	v_dual_cndmask_b32 v1, v1, v41 :: v_dual_cndmask_b32 v0, v0, v42
	v_mov_b32_dpp v2, v1 quad_perm:[1,0,3,2] row_mask:0xf bank_mask:0xf
	s_delay_alu instid0(VALU_DEP_2) | instskip(NEXT) | instid1(VALU_DEP_2)
	v_mov_b32_dpp v3, v0 quad_perm:[1,0,3,2] row_mask:0xf bank_mask:0xf
	v_cmp_eq_f32_e64 s2, v1, v2
	s_delay_alu instid0(VALU_DEP_2) | instskip(SKIP_1) | instid1(VALU_DEP_3)
	v_cmp_lt_i32_e32 vcc_lo, v3, v0
	v_cmp_lt_f32_e64 s3, v1, v2
	s_and_b32 s2, s2, vcc_lo
	s_delay_alu instid0(VALU_DEP_1) | instid1(SALU_CYCLE_1)
	s_or_b32 vcc_lo, s3, s2
	s_cmp_gt_i32 s4, 0
	v_cndmask_b32_e32 v2, v1, v2, vcc_lo
	v_cndmask_b32_e32 v0, v0, v3, vcc_lo
	v_cmp_eq_u32_e64 s2, 0, v11
	s_cselect_b32 s3, -1, 0
	s_delay_alu instid0(VALU_DEP_3) | instskip(NEXT) | instid1(VALU_DEP_3)
	v_mov_b32_dpp v4, v2 quad_perm:[2,3,0,1] row_mask:0xf bank_mask:0xf
	v_mov_b32_dpp v5, v0 quad_perm:[2,3,0,1] row_mask:0xf bank_mask:0xf
	s_and_b32 vcc_lo, exec_lo, s3
	s_cbranch_vccz .LBB276_18
; %bb.7:
	s_load_b128 s[8:11], s[0:1], 0x20
	v_cmp_eq_f32_e32 vcc_lo, v2, v4
	v_cmp_lt_i32_e64 s0, v5, v0
	v_cmp_lt_f32_e64 s1, v2, v4
	v_mul_lo_u32 v1, v45, s14
	v_mul_lo_u32 v3, v45, s4
	v_mov_b32_e32 v44, 0
	s_and_b32 s0, vcc_lo, s0
	s_delay_alu instid0(SALU_CYCLE_1)
	s_or_b32 vcc_lo, s1, s0
	v_dual_cndmask_b32 v0, v0, v5 :: v_dual_cndmask_b32 v43, v2, v4
	s_and_saveexec_b32 s1, s2
	s_cbranch_execz .LBB276_9
; %bb.8:
	s_delay_alu instid0(VALU_DEP_1)
	v_sub_f32_e32 v44, v43, v43
	v_ashrrev_i32_e32 v9, 31, v8
	v_cmp_le_i32_e32 vcc_lo, s5, v0
	v_cmp_gt_i32_e64 s0, s6, v0
	v_subrev_nc_u32_e32 v50, s5, v0
	v_mul_f32_e32 v2, 0x3fb8aa3b, v44
	v_lshlrev_b64 v[46:47], 2, v[8:9]
	s_delay_alu instid0(VALU_DEP_4) | instskip(NEXT) | instid1(SALU_CYCLE_1)
	s_and_b32 s0, vcc_lo, s0
	s_and_b32 vcc_lo, s17, s0
	s_delay_alu instid0(VALU_DEP_2) | instskip(SKIP_1) | instid1(VALU_DEP_2)
	v_rndne_f32_e32 v5, v2
	v_fma_f32 v4, 0x3fb8aa3b, v44, -v2
	v_sub_f32_e32 v2, v2, v5
	s_delay_alu instid0(VALU_DEP_2) | instskip(SKIP_1) | instid1(VALU_DEP_2)
	v_fmamk_f32 v4, v44, 0x32a5705f, v4
	v_cvt_i32_f32_e32 v9, v5
	v_add_f32_e32 v2, v2, v4
	v_ashrrev_i32_e32 v4, 31, v3
	s_delay_alu instid0(VALU_DEP_2) | instskip(SKIP_1) | instid1(VALU_DEP_2)
	v_exp_f32_e32 v51, v2
	v_ashrrev_i32_e32 v2, 31, v1
	v_lshlrev_b64 v[4:5], 2, v[3:4]
	s_delay_alu instid0(VALU_DEP_2) | instskip(SKIP_3) | instid1(TRANS32_DEP_1)
	v_lshlrev_b64 v[48:49], 2, v[1:2]
	v_cndmask_b32_e32 v2, 64, v50, vcc_lo
	v_add_co_u32 v46, vcc_lo, s12, v46
	v_add_co_ci_u32_e32 v47, vcc_lo, s13, v47, vcc_lo
	v_ldexp_f32 v9, v51, v9
	v_cmp_ngt_f32_e32 vcc_lo, 0xc2ce8ed0, v44
	s_delay_alu instid0(VALU_DEP_2)
	v_cndmask_b32_e32 v9, 0, v9, vcc_lo
	s_waitcnt lgkmcnt(0)
	v_add_co_u32 v48, vcc_lo, s8, v48
	v_add_co_ci_u32_e32 v49, vcc_lo, s9, v49, vcc_lo
	v_cmp_nlt_f32_e32 vcc_lo, 0x42b17218, v44
	v_cndmask_b32_e32 v44, 0x7f800000, v9, vcc_lo
	v_add_co_u32 v4, vcc_lo, s10, v4
	v_add_co_ci_u32_e32 v5, vcc_lo, s11, v5, vcc_lo
	global_store_b32 v[48:49], v2, off
	global_store_b32 v[46:47], v44, off
	;; [unrolled: 1-line block ×3, first 2 shown]
.LBB276_9:
	s_or_b32 exec_lo, exec_lo, s1
	s_delay_alu instid0(VALU_DEP_1) | instskip(SKIP_1) | instid1(VALU_DEP_1)
	v_ashrrev_i32_e32 v4, 31, v0
	s_mov_b32 s0, exec_lo
	v_lshrrev_b32_e32 v2, 28, v4
	s_delay_alu instid0(VALU_DEP_1) | instskip(NEXT) | instid1(VALU_DEP_1)
	v_add_nc_u32_e32 v2, v0, v2
	v_ashrrev_i32_e32 v2, 4, v2
	s_delay_alu instid0(VALU_DEP_1) | instskip(NEXT) | instid1(VALU_DEP_1)
	v_lshrrev_b32_e32 v5, 30, v2
	v_add_nc_u32_e32 v5, v2, v5
	s_delay_alu instid0(VALU_DEP_1) | instskip(NEXT) | instid1(VALU_DEP_1)
	v_and_b32_e32 v5, -4, v5
	v_sub_nc_u32_e32 v5, v2, v5
	s_delay_alu instid0(VALU_DEP_1)
	v_cmpx_eq_u32_e64 v11, v5
	s_cbranch_execz .LBB276_11
; %bb.10:
	v_lshrrev_b32_e32 v4, 26, v4
	v_lshlrev_b32_e32 v2, 4, v2
	s_delay_alu instid0(VALU_DEP_2) | instskip(NEXT) | instid1(VALU_DEP_2)
	v_add_nc_u32_e32 v4, v0, v4
	v_sub_nc_u32_e32 v0, v0, v2
	s_delay_alu instid0(VALU_DEP_2) | instskip(NEXT) | instid1(VALU_DEP_1)
	v_ashrrev_i32_e32 v2, 6, v4
	v_lshl_add_u32 v0, v2, 4, v0
	s_delay_alu instid0(VALU_DEP_1)
	v_cmp_ne_u32_e32 vcc_lo, 15, v0
	v_cndmask_b32_e32 v41, 0xff800000, v41, vcc_lo
	v_cmp_ne_u32_e32 vcc_lo, 14, v0
	v_cndmask_b32_e32 v39, 0xff800000, v39, vcc_lo
	;; [unrolled: 2-line block ×16, first 2 shown]
.LBB276_11:
	s_or_b32 exec_lo, exec_lo, s0
	s_cmp_eq_u32 s4, 1
	s_cbranch_scc1 .LBB276_19
; %bb.12:
	s_add_i32 s18, s18, s16
	v_add_nc_u32_e32 v0, 1, v3
	v_add3_u32 v9, s18, v27, v26
	v_add_nc_u32_e32 v2, 1, v1
	v_add_nc_u32_e32 v4, 1, v8
	s_add_i32 s7, s4, -1
	s_branch .LBB276_14
.LBB276_13:                             ;   in Loop: Header=BB276_14 Depth=1
	s_or_b32 exec_lo, exec_lo, s0
	v_add_nc_u32_e32 v9, s16, v9
	v_add_nc_u32_e32 v0, 1, v0
	;; [unrolled: 1-line block ×4, first 2 shown]
	s_add_i32 s7, s7, -1
	s_delay_alu instid0(SALU_CYCLE_1)
	s_cmp_eq_u32 s7, 0
	s_cbranch_scc1 .LBB276_19
.LBB276_14:                             ; =>This Inner Loop Header: Depth=1
	v_cmp_gt_f32_e32 vcc_lo, v10, v13
	v_cndmask_b32_e32 v3, v13, v10, vcc_lo
	v_cndmask_b32_e32 v1, v12, v14, vcc_lo
	s_delay_alu instid0(VALU_DEP_2) | instskip(SKIP_1) | instid1(VALU_DEP_3)
	v_cmp_gt_f32_e32 vcc_lo, v15, v3
	v_cndmask_b32_e32 v3, v3, v15, vcc_lo
	v_cndmask_b32_e32 v1, v1, v16, vcc_lo
	s_delay_alu instid0(VALU_DEP_2) | instskip(SKIP_1) | instid1(VALU_DEP_3)
	;; [unrolled: 4-line block ×13, first 2 shown]
	v_cmp_gt_f32_e32 vcc_lo, v39, v3
	v_cndmask_b32_e32 v3, v3, v39, vcc_lo
	v_cndmask_b32_e32 v1, v1, v40, vcc_lo
	s_delay_alu instid0(VALU_DEP_2) | instskip(NEXT) | instid1(VALU_DEP_2)
	v_cmp_gt_f32_e32 vcc_lo, v41, v3
	v_cndmask_b32_e32 v5, v1, v42, vcc_lo
	v_cndmask_b32_e32 v1, v3, v41, vcc_lo
	s_delay_alu instid0(VALU_DEP_2) | instskip(NEXT) | instid1(VALU_DEP_2)
	v_mov_b32_dpp v3, v5 quad_perm:[1,0,3,2] row_mask:0xf bank_mask:0xf
	v_mov_b32_dpp v26, v1 quad_perm:[1,0,3,2] row_mask:0xf bank_mask:0xf
	s_delay_alu instid0(VALU_DEP_2) | instskip(NEXT) | instid1(VALU_DEP_2)
	v_cmp_lt_i32_e32 vcc_lo, v3, v5
	v_cmp_eq_f32_e64 s0, v1, v26
	v_cmp_lt_f32_e64 s1, v1, v26
	s_delay_alu instid0(VALU_DEP_2)
	s_and_b32 s0, s0, vcc_lo
	s_delay_alu instid0(VALU_DEP_1) | instid1(SALU_CYCLE_1)
	s_or_b32 vcc_lo, s1, s0
	v_cndmask_b32_e32 v1, v1, v26, vcc_lo
	v_cndmask_b32_e32 v5, v5, v3, vcc_lo
	s_delay_alu instid0(VALU_DEP_2) | instskip(NEXT) | instid1(VALU_DEP_2)
	v_mov_b32_dpp v3, v1 quad_perm:[2,3,0,1] row_mask:0xf bank_mask:0xf
	v_mov_b32_dpp v26, v5 quad_perm:[2,3,0,1] row_mask:0xf bank_mask:0xf
	s_delay_alu instid0(VALU_DEP_2) | instskip(NEXT) | instid1(VALU_DEP_2)
	v_cmp_eq_f32_e32 vcc_lo, v1, v3
	v_cmp_lt_i32_e64 s0, v26, v5
	v_cmp_lt_f32_e64 s1, v1, v3
	s_delay_alu instid0(VALU_DEP_2)
	s_and_b32 s0, vcc_lo, s0
	s_delay_alu instid0(VALU_DEP_1) | instid1(SALU_CYCLE_1)
	s_or_b32 vcc_lo, s1, s0
	v_cndmask_b32_e32 v26, v5, v26, vcc_lo
	s_and_saveexec_b32 s1, s2
	s_cbranch_execz .LBB276_16
; %bb.15:                               ;   in Loop: Header=BB276_14 Depth=1
	v_cndmask_b32_e32 v1, v1, v3, vcc_lo
	s_delay_alu instid0(VALU_DEP_2) | instskip(SKIP_4) | instid1(VALU_DEP_4)
	v_cmp_le_i32_e32 vcc_lo, s5, v26
	v_cmp_gt_i32_e64 s0, s6, v26
	v_ashrrev_i32_e32 v5, 31, v4
	v_subrev_nc_u32_e32 v51, s5, v26
	v_sub_f32_e32 v27, v1, v43
	s_and_b32 s0, vcc_lo, s0
	s_delay_alu instid0(SALU_CYCLE_1) | instskip(NEXT) | instid1(VALU_DEP_1)
	s_and_b32 vcc_lo, s17, s0
	v_mul_f32_e32 v1, 0x3fb8aa3b, v27
	s_delay_alu instid0(VALU_DEP_1) | instskip(SKIP_1) | instid1(VALU_DEP_2)
	v_fma_f32 v3, 0x3fb8aa3b, v27, -v1
	v_rndne_f32_e32 v45, v1
	v_fmac_f32_e32 v3, 0x32a5705f, v27
	s_delay_alu instid0(VALU_DEP_2) | instskip(SKIP_2) | instid1(VALU_DEP_3)
	v_sub_f32_e32 v1, v1, v45
	v_cvt_i32_f32_e32 v50, v45
	v_lshlrev_b64 v[45:46], 2, v[4:5]
	v_add_f32_e32 v1, v1, v3
	v_ashrrev_i32_e32 v3, 31, v2
	s_delay_alu instid0(VALU_DEP_2) | instskip(SKIP_1) | instid1(VALU_DEP_2)
	v_exp_f32_e32 v49, v1
	v_ashrrev_i32_e32 v1, 31, v0
	v_lshlrev_b64 v[47:48], 2, v[2:3]
	s_waitcnt_depctr 0xfff
	v_ldexp_f32 v3, v49, v50
	v_lshlrev_b64 v[49:50], 2, v[0:1]
	v_cndmask_b32_e32 v1, 64, v51, vcc_lo
	v_cmp_ngt_f32_e32 vcc_lo, 0xc2ce8ed0, v27
	s_delay_alu instid0(VALU_DEP_4) | instskip(SKIP_3) | instid1(VALU_DEP_4)
	v_cndmask_b32_e32 v3, 0, v3, vcc_lo
	v_add_co_u32 v45, vcc_lo, s12, v45
	v_add_co_ci_u32_e32 v46, vcc_lo, s13, v46, vcc_lo
	v_cmp_nlt_f32_e32 vcc_lo, 0x42b17218, v27
	v_cndmask_b32_e32 v3, 0x7f800000, v3, vcc_lo
	s_waitcnt lgkmcnt(0)
	v_add_co_u32 v47, vcc_lo, s8, v47
	v_add_co_ci_u32_e32 v48, vcc_lo, s9, v48, vcc_lo
	s_delay_alu instid0(VALU_DEP_3)
	v_add_f32_e32 v44, v44, v3
	v_add_co_u32 v49, vcc_lo, s10, v49
	v_add_co_ci_u32_e32 v50, vcc_lo, s11, v50, vcc_lo
	global_store_b32 v[45:46], v3, off
	global_store_b32 v[47:48], v1, off
	;; [unrolled: 1-line block ×3, first 2 shown]
.LBB276_16:                             ;   in Loop: Header=BB276_14 Depth=1
	s_or_b32 exec_lo, exec_lo, s1
	s_delay_alu instid0(VALU_DEP_1) | instskip(SKIP_1) | instid1(VALU_DEP_1)
	v_ashrrev_i32_e32 v3, 31, v26
	s_mov_b32 s0, exec_lo
	v_lshrrev_b32_e32 v1, 28, v3
	s_delay_alu instid0(VALU_DEP_1) | instskip(NEXT) | instid1(VALU_DEP_1)
	v_add_nc_u32_e32 v1, v26, v1
	v_ashrrev_i32_e32 v1, 4, v1
	s_delay_alu instid0(VALU_DEP_1) | instskip(NEXT) | instid1(VALU_DEP_1)
	v_lshrrev_b32_e32 v5, 30, v1
	v_add_nc_u32_e32 v5, v1, v5
	s_delay_alu instid0(VALU_DEP_1) | instskip(NEXT) | instid1(VALU_DEP_1)
	v_and_b32_e32 v5, -4, v5
	v_sub_nc_u32_e32 v5, v1, v5
	s_delay_alu instid0(VALU_DEP_1)
	v_cmpx_eq_u32_e64 v11, v5
	s_cbranch_execz .LBB276_13
; %bb.17:                               ;   in Loop: Header=BB276_14 Depth=1
	v_lshrrev_b32_e32 v3, 26, v3
	v_lshlrev_b32_e32 v1, 4, v1
	s_delay_alu instid0(VALU_DEP_2) | instskip(NEXT) | instid1(VALU_DEP_2)
	v_add_nc_u32_e32 v3, v26, v3
	v_sub_nc_u32_e32 v1, v26, v1
	s_delay_alu instid0(VALU_DEP_2) | instskip(NEXT) | instid1(VALU_DEP_1)
	v_ashrrev_i32_e32 v3, 6, v3
	v_lshl_add_u32 v1, v3, 4, v1
	s_delay_alu instid0(VALU_DEP_1)
	v_cmp_ne_u32_e32 vcc_lo, 15, v1
	v_cndmask_b32_e32 v41, 0xff800000, v41, vcc_lo
	v_cmp_ne_u32_e32 vcc_lo, 14, v1
	v_cndmask_b32_e32 v39, 0xff800000, v39, vcc_lo
	;; [unrolled: 2-line block ×16, first 2 shown]
	s_branch .LBB276_13
.LBB276_18:
	v_mov_b32_e32 v44, 0
.LBB276_19:
	v_cmp_eq_u32_e32 vcc_lo, 0, v11
	s_delay_alu instid0(VALU_DEP_2) | instskip(NEXT) | instid1(VALU_DEP_1)
	v_cmp_neq_f32_e64 s0, 0, v44
	s_and_b32 s0, vcc_lo, s0
	s_delay_alu instid0(SALU_CYCLE_1)
	s_and_b32 exec_lo, exec_lo, s0
	s_cbranch_execz .LBB276_23
; %bb.20:
	s_and_not1_b32 vcc_lo, exec_lo, s3
	s_cbranch_vccnz .LBB276_23
; %bb.21:
	v_div_scale_f32 v0, null, v44, v44, 1.0
	v_div_scale_f32 v3, vcc_lo, 1.0, v44, 1.0
	v_ashrrev_i32_e32 v9, 31, v8
	s_delay_alu instid0(VALU_DEP_3) | instskip(SKIP_2) | instid1(VALU_DEP_1)
	v_rcp_f32_e32 v1, v0
	s_waitcnt_depctr 0xfff
	v_fma_f32 v2, -v0, v1, 1.0
	v_fmac_f32_e32 v1, v2, v1
	s_delay_alu instid0(VALU_DEP_1) | instskip(NEXT) | instid1(VALU_DEP_1)
	v_mul_f32_e32 v2, v3, v1
	v_fma_f32 v4, -v0, v2, v3
	s_delay_alu instid0(VALU_DEP_1) | instskip(NEXT) | instid1(VALU_DEP_1)
	v_fmac_f32_e32 v2, v4, v1
	v_fma_f32 v0, -v0, v2, v3
	s_delay_alu instid0(VALU_DEP_1) | instskip(SKIP_1) | instid1(VALU_DEP_2)
	v_div_fmas_f32 v2, v0, v1, v2
	v_lshlrev_b64 v[0:1], 2, v[8:9]
	v_div_fixup_f32 v2, v2, v44, 1.0
	s_delay_alu instid0(VALU_DEP_2) | instskip(NEXT) | instid1(VALU_DEP_3)
	v_add_co_u32 v0, vcc_lo, s12, v0
	v_add_co_ci_u32_e32 v1, vcc_lo, s13, v1, vcc_lo
.LBB276_22:                             ; =>This Inner Loop Header: Depth=1
	global_load_b32 v3, v[0:1], off
	s_add_i32 s4, s4, -1
	s_delay_alu instid0(SALU_CYCLE_1)
	s_cmp_lg_u32 s4, 0
	s_waitcnt vmcnt(0)
	v_mul_f32_e32 v3, v2, v3
	global_store_b32 v[0:1], v3, off
	v_add_co_u32 v0, vcc_lo, v0, 4
	v_add_co_ci_u32_e32 v1, vcc_lo, 0, v1, vcc_lo
	s_cbranch_scc1 .LBB276_22
.LBB276_23:
	s_nop 0
	s_sendmsg sendmsg(MSG_DEALLOC_VGPRS)
	s_endpgm
	.section	.rodata,"a",@progbits
	.p2align	6, 0x0
	.amdhsa_kernel _ZN4vllm3moe17topkGatingSoftmaxItLi16ELi64ELi8ELi32ELb1ELi8ELNS0_23SharedExpertScoringFuncE1EEEvPKT_PKbPfiPiS9_iiiiii
		.amdhsa_group_segment_fixed_size 0
		.amdhsa_private_segment_fixed_size 0
		.amdhsa_kernarg_size 72
		.amdhsa_user_sgpr_count 15
		.amdhsa_user_sgpr_dispatch_ptr 0
		.amdhsa_user_sgpr_queue_ptr 0
		.amdhsa_user_sgpr_kernarg_segment_ptr 1
		.amdhsa_user_sgpr_dispatch_id 0
		.amdhsa_user_sgpr_private_segment_size 0
		.amdhsa_wavefront_size32 1
		.amdhsa_uses_dynamic_stack 0
		.amdhsa_enable_private_segment 0
		.amdhsa_system_sgpr_workgroup_id_x 1
		.amdhsa_system_sgpr_workgroup_id_y 0
		.amdhsa_system_sgpr_workgroup_id_z 0
		.amdhsa_system_sgpr_workgroup_info 0
		.amdhsa_system_vgpr_workitem_id 1
		.amdhsa_next_free_vgpr 52
		.amdhsa_next_free_sgpr 19
		.amdhsa_reserve_vcc 1
		.amdhsa_float_round_mode_32 0
		.amdhsa_float_round_mode_16_64 0
		.amdhsa_float_denorm_mode_32 3
		.amdhsa_float_denorm_mode_16_64 3
		.amdhsa_dx10_clamp 1
		.amdhsa_ieee_mode 1
		.amdhsa_fp16_overflow 0
		.amdhsa_workgroup_processor_mode 1
		.amdhsa_memory_ordered 1
		.amdhsa_forward_progress 0
		.amdhsa_shared_vgpr_count 0
		.amdhsa_exception_fp_ieee_invalid_op 0
		.amdhsa_exception_fp_denorm_src 0
		.amdhsa_exception_fp_ieee_div_zero 0
		.amdhsa_exception_fp_ieee_overflow 0
		.amdhsa_exception_fp_ieee_underflow 0
		.amdhsa_exception_fp_ieee_inexact 0
		.amdhsa_exception_int_div_zero 0
	.end_amdhsa_kernel
	.section	.text._ZN4vllm3moe17topkGatingSoftmaxItLi16ELi64ELi8ELi32ELb1ELi8ELNS0_23SharedExpertScoringFuncE1EEEvPKT_PKbPfiPiS9_iiiiii,"axG",@progbits,_ZN4vllm3moe17topkGatingSoftmaxItLi16ELi64ELi8ELi32ELb1ELi8ELNS0_23SharedExpertScoringFuncE1EEEvPKT_PKbPfiPiS9_iiiiii,comdat
.Lfunc_end276:
	.size	_ZN4vllm3moe17topkGatingSoftmaxItLi16ELi64ELi8ELi32ELb1ELi8ELNS0_23SharedExpertScoringFuncE1EEEvPKT_PKbPfiPiS9_iiiiii, .Lfunc_end276-_ZN4vllm3moe17topkGatingSoftmaxItLi16ELi64ELi8ELi32ELb1ELi8ELNS0_23SharedExpertScoringFuncE1EEEvPKT_PKbPfiPiS9_iiiiii
                                        ; -- End function
	.section	.AMDGPU.csdata,"",@progbits
; Kernel info:
; codeLenInByte = 3120
; NumSgprs: 21
; NumVgprs: 52
; ScratchSize: 0
; MemoryBound: 0
; FloatMode: 240
; IeeeMode: 1
; LDSByteSize: 0 bytes/workgroup (compile time only)
; SGPRBlocks: 2
; VGPRBlocks: 6
; NumSGPRsForWavesPerEU: 21
; NumVGPRsForWavesPerEU: 52
; Occupancy: 16
; WaveLimiterHint : 0
; COMPUTE_PGM_RSRC2:SCRATCH_EN: 0
; COMPUTE_PGM_RSRC2:USER_SGPR: 15
; COMPUTE_PGM_RSRC2:TRAP_HANDLER: 0
; COMPUTE_PGM_RSRC2:TGID_X_EN: 1
; COMPUTE_PGM_RSRC2:TGID_Y_EN: 0
; COMPUTE_PGM_RSRC2:TGID_Z_EN: 0
; COMPUTE_PGM_RSRC2:TIDIG_COMP_CNT: 1
	.section	.text._ZN4vllm3moe17topkGatingSoftmaxItLi16ELi64ELi8ELi32ELb0ELi8ELNS0_23SharedExpertScoringFuncE1EEEvPKT_PKbPfiPiS9_iiiiii,"axG",@progbits,_ZN4vllm3moe17topkGatingSoftmaxItLi16ELi64ELi8ELi32ELb0ELi8ELNS0_23SharedExpertScoringFuncE1EEEvPKT_PKbPfiPiS9_iiiiii,comdat
	.protected	_ZN4vllm3moe17topkGatingSoftmaxItLi16ELi64ELi8ELi32ELb0ELi8ELNS0_23SharedExpertScoringFuncE1EEEvPKT_PKbPfiPiS9_iiiiii ; -- Begin function _ZN4vllm3moe17topkGatingSoftmaxItLi16ELi64ELi8ELi32ELb0ELi8ELNS0_23SharedExpertScoringFuncE1EEEvPKT_PKbPfiPiS9_iiiiii
	.globl	_ZN4vllm3moe17topkGatingSoftmaxItLi16ELi64ELi8ELi32ELb0ELi8ELNS0_23SharedExpertScoringFuncE1EEEvPKT_PKbPfiPiS9_iiiiii
	.p2align	8
	.type	_ZN4vllm3moe17topkGatingSoftmaxItLi16ELi64ELi8ELi32ELb0ELi8ELNS0_23SharedExpertScoringFuncE1EEEvPKT_PKbPfiPiS9_iiiiii,@function
_ZN4vllm3moe17topkGatingSoftmaxItLi16ELi64ELi8ELi32ELb0ELi8ELNS0_23SharedExpertScoringFuncE1EEEvPKT_PKbPfiPiS9_iiiiii: ; @_ZN4vllm3moe17topkGatingSoftmaxItLi16ELi64ELi8ELi32ELb0ELi8ELNS0_23SharedExpertScoringFuncE1EEEvPKT_PKbPfiPiS9_iiiiii
; %bb.0:
	s_load_b32 s16, s[0:1], 0x18
	v_bfe_u32 v1, v0, 10, 10
	v_and_b32_e32 v0, 0x3ff, v0
	s_lshl_b32 s18, s15, 6
	s_mov_b32 s2, exec_lo
	s_delay_alu instid0(VALU_DEP_2) | instskip(NEXT) | instid1(VALU_DEP_2)
	v_lshlrev_b32_e32 v32, 3, v1
	v_lshrrev_b32_e32 v33, 2, v0
	s_delay_alu instid0(VALU_DEP_1) | instskip(SKIP_1) | instid1(VALU_DEP_1)
	v_add3_u32 v44, s18, v32, v33
	s_waitcnt lgkmcnt(0)
	v_cmpx_gt_i32_e64 s16, v44
	s_cbranch_execz .LBB277_24
; %bb.1:
	s_clause 0x1
	s_load_b128 s[8:11], s[0:1], 0x0
	s_load_b64 s[12:13], s[0:1], 0x10
	s_waitcnt lgkmcnt(0)
	s_cmp_eq_u64 s[10:11], 0
	s_cbranch_scc1 .LBB277_3
; %bb.2:
	v_ashrrev_i32_e32 v2, 31, v44
	v_add_co_u32 v1, vcc_lo, s10, v44
	s_delay_alu instid0(VALU_DEP_2) | instskip(SKIP_3) | instid1(VALU_DEP_1)
	v_add_co_ci_u32_e32 v2, vcc_lo, s11, v2, vcc_lo
	global_load_u8 v1, v[1:2], off
	s_waitcnt vmcnt(0)
	v_and_b32_e32 v1, 1, v1
	v_cmp_eq_u32_e32 vcc_lo, 1, v1
	s_xor_b32 s2, vcc_lo, -1
	s_delay_alu instid0(SALU_CYCLE_1)
	s_or_not1_b32 s17, s2, exec_lo
	s_branch .LBB277_4
.LBB277_3:
	s_mov_b32 s17, -1
.LBB277_4:
	s_clause 0x1
	s_load_b64 s[14:15], s[0:1], 0x40
	s_load_b128 s[4:7], s[0:1], 0x30
	v_and_b32_e32 v11, 3, v0
	s_mov_b32 s3, 0
	s_delay_alu instid0(VALU_DEP_1)
	v_dual_mov_b32 v13, v11 :: v_dual_lshlrev_b32 v0, 5, v11
	v_lshlrev_b32_e32 v12, 1, v11
	v_lshlrev_b32_e32 v20, 4, v11
	s_waitcnt lgkmcnt(0)
	v_mul_lo_u32 v1, v44, s15
	v_mul_lo_u32 v8, v44, s7
	s_delay_alu instid0(VALU_DEP_2) | instskip(NEXT) | instid1(VALU_DEP_1)
	v_ashrrev_i32_e32 v2, 31, v1
	v_lshlrev_b64 v[9:10], 1, v[1:2]
	s_delay_alu instid0(VALU_DEP_1) | instskip(NEXT) | instid1(VALU_DEP_2)
	v_add_co_u32 v1, vcc_lo, s8, v9
	v_add_co_ci_u32_e32 v2, vcc_lo, s9, v10, vcc_lo
	s_delay_alu instid0(VALU_DEP_2) | instskip(NEXT) | instid1(VALU_DEP_2)
	v_add_co_u32 v4, vcc_lo, v1, v0
	v_add_co_ci_u32_e32 v5, vcc_lo, 0, v2, vcc_lo
	v_add_co_u32 v9, vcc_lo, v9, v12
	v_add_co_ci_u32_e32 v10, vcc_lo, 0, v10, vcc_lo
	s_clause 0x1
	global_load_b128 v[0:3], v[4:5], off offset:16
	global_load_b128 v[4:7], v[4:5], off
	v_add_co_u32 v9, vcc_lo, v9, s8
	v_add_co_ci_u32_e32 v10, vcc_lo, s9, v10, vcc_lo
	v_add_nc_u32_e32 v12, s4, v8
	s_delay_alu instid0(VALU_DEP_3) | instskip(NEXT) | instid1(VALU_DEP_3)
	v_add_co_u32 v9, vcc_lo, 0x80, v9
	v_add_co_ci_u32_e32 v10, vcc_lo, 0, v10, vcc_lo
.LBB277_5:                              ; =>This Inner Loop Header: Depth=1
	global_load_u16 v14, v[9:10], off
	v_add_co_u32 v9, s2, v9, 8
	s_delay_alu instid0(VALU_DEP_1) | instskip(SKIP_2) | instid1(VALU_DEP_2)
	v_add_co_ci_u32_e64 v10, s2, 0, v10, s2
	v_cmp_lt_u32_e64 s2, 3, v13
	v_add_nc_u32_e32 v22, 4, v13
	s_or_b32 s3, s2, s3
	s_waitcnt vmcnt(0)
	v_cvt_f32_u32_e32 v14, v14
	s_delay_alu instid0(VALU_DEP_1) | instskip(SKIP_1) | instid1(VALU_DEP_2)
	v_mul_f32_e32 v15, 0xbfb8aa3b, v14
	v_cmp_nlt_f32_e32 vcc_lo, 0x42ce8ed0, v14
	v_rndne_f32_e32 v16, v15
	v_fma_f32 v17, 0xbfb8aa3b, v14, -v15
	s_delay_alu instid0(VALU_DEP_2) | instskip(NEXT) | instid1(VALU_DEP_2)
	v_sub_f32_e32 v15, v15, v16
	v_fmac_f32_e32 v17, 0xb2a5705f, v14
	v_cvt_i32_f32_e32 v16, v16
	s_delay_alu instid0(VALU_DEP_2) | instskip(NEXT) | instid1(VALU_DEP_1)
	v_add_f32_e32 v15, v15, v17
	v_exp_f32_e32 v15, v15
	s_waitcnt_depctr 0xfff
	v_ldexp_f32 v15, v15, v16
	s_delay_alu instid0(VALU_DEP_1) | instskip(SKIP_1) | instid1(VALU_DEP_2)
	v_cndmask_b32_e32 v15, 0, v15, vcc_lo
	v_cmp_ngt_f32_e32 vcc_lo, 0xc2b17218, v14
	v_cndmask_b32_e32 v14, 0x7f800000, v15, vcc_lo
	s_delay_alu instid0(VALU_DEP_1) | instskip(NEXT) | instid1(VALU_DEP_1)
	v_add_f32_e32 v17, 1.0, v14
	v_div_scale_f32 v16, null, v17, v17, 1.0
	v_div_scale_f32 v19, vcc_lo, 1.0, v17, 1.0
	s_delay_alu instid0(VALU_DEP_2) | instskip(SKIP_2) | instid1(VALU_DEP_1)
	v_rcp_f32_e32 v18, v16
	s_waitcnt_depctr 0xfff
	v_fma_f32 v14, -v16, v18, 1.0
	v_fmac_f32_e32 v18, v14, v18
	s_delay_alu instid0(VALU_DEP_1) | instskip(NEXT) | instid1(VALU_DEP_1)
	v_dual_mul_f32 v21, v19, v18 :: v_dual_add_nc_u32 v14, v12, v13
	v_fma_f32 v15, -v16, v21, v19
	s_delay_alu instid0(VALU_DEP_1) | instskip(NEXT) | instid1(VALU_DEP_3)
	v_fmac_f32_e32 v21, v15, v18
	v_ashrrev_i32_e32 v15, 31, v14
	s_delay_alu instid0(VALU_DEP_2) | instskip(NEXT) | instid1(VALU_DEP_2)
	v_fma_f32 v16, -v16, v21, v19
	v_lshlrev_b64 v[13:14], 2, v[14:15]
	s_delay_alu instid0(VALU_DEP_2) | instskip(NEXT) | instid1(VALU_DEP_2)
	v_div_fmas_f32 v18, v16, v18, v21
	v_add_co_u32 v15, vcc_lo, s12, v13
	s_delay_alu instid0(VALU_DEP_3) | instskip(NEXT) | instid1(VALU_DEP_3)
	v_add_co_ci_u32_e32 v16, vcc_lo, s13, v14, vcc_lo
	v_div_fixup_f32 v14, v18, v17, 1.0
	v_mov_b32_e32 v13, v22
	global_store_b32 v[15:16], v14, off
	s_and_not1_b32 exec_lo, exec_lo, s3
	s_cbranch_execnz .LBB277_5
; %bb.6:
	s_or_b32 exec_lo, exec_lo, s3
	v_lshrrev_b32_e32 v9, 16, v4
	v_or_b32_e32 v27, 1, v20
	v_or_b32_e32 v28, 2, v20
	;; [unrolled: 1-line block ×4, first 2 shown]
	v_cvt_f32_u32_e32 v22, v9
	v_and_b32_e32 v4, 0xffff, v4
	v_or_b32_e32 v31, 5, v20
	v_or_b32_e32 v34, 6, v20
	v_or_b32_e32 v35, 7, v20
	v_or_b32_e32 v36, 8, v20
	v_cvt_f32_u32_e32 v24, v4
	v_or_b32_e32 v37, 9, v20
	v_or_b32_e32 v38, 10, v20
	;; [unrolled: 1-line block ×4, first 2 shown]
	v_cmp_lt_f32_e32 vcc_lo, v24, v22
	v_or_b32_e32 v41, 13, v20
	v_or_b32_e32 v42, 14, v20
	;; [unrolled: 1-line block ×3, first 2 shown]
	v_dual_cndmask_b32 v9, v24, v22 :: v_dual_and_b32 v4, 0xffff, v5
	v_lshrrev_b32_e32 v5, 16, v5
	s_delay_alu instid0(VALU_DEP_2) | instskip(SKIP_1) | instid1(VALU_DEP_3)
	v_cvt_f32_u32_e32 v26, v4
	v_cndmask_b32_e32 v4, v20, v27, vcc_lo
	v_cvt_f32_u32_e32 v25, v5
	s_delay_alu instid0(VALU_DEP_3) | instskip(SKIP_1) | instid1(VALU_DEP_4)
	v_cmp_lt_f32_e32 vcc_lo, v9, v26
	v_cndmask_b32_e32 v5, v9, v26, vcc_lo
	v_dual_cndmask_b32 v4, v4, v28 :: v_dual_and_b32 v9, 0xffff, v6
	v_lshrrev_b32_e32 v6, 16, v6
	s_delay_alu instid0(VALU_DEP_3) | instskip(NEXT) | instid1(VALU_DEP_3)
	v_cmp_lt_f32_e32 vcc_lo, v5, v25
	v_cvt_f32_u32_e32 v23, v9
	s_delay_alu instid0(VALU_DEP_3) | instskip(SKIP_2) | instid1(VALU_DEP_2)
	v_cvt_f32_u32_e32 v21, v6
	v_dual_cndmask_b32 v5, v5, v25 :: v_dual_and_b32 v6, 0xffff, v7
	v_cndmask_b32_e32 v4, v4, v29, vcc_lo
	v_cvt_f32_u32_e32 v19, v6
	s_delay_alu instid0(VALU_DEP_3) | instskip(SKIP_1) | instid1(VALU_DEP_4)
	v_cmp_lt_f32_e32 vcc_lo, v5, v23
	v_lshrrev_b32_e32 v6, 16, v7
	v_dual_cndmask_b32 v5, v5, v23 :: v_dual_cndmask_b32 v4, v4, v30
	s_delay_alu instid0(VALU_DEP_2) | instskip(SKIP_2) | instid1(VALU_DEP_4)
	v_cvt_f32_u32_e32 v18, v6
	v_and_b32_e32 v6, 0xffff, v0
	v_lshrrev_b32_e32 v0, 16, v0
	v_cmp_lt_f32_e32 vcc_lo, v5, v21
	s_delay_alu instid0(VALU_DEP_3) | instskip(NEXT) | instid1(VALU_DEP_3)
	v_cvt_f32_u32_e32 v17, v6
	v_cvt_f32_u32_e32 v16, v0
	v_dual_cndmask_b32 v5, v5, v21 :: v_dual_cndmask_b32 v4, v4, v31
	s_delay_alu instid0(VALU_DEP_1) | instskip(NEXT) | instid1(VALU_DEP_2)
	v_cmp_lt_f32_e32 vcc_lo, v5, v19
	v_dual_cndmask_b32 v4, v4, v34 :: v_dual_cndmask_b32 v5, v5, v19
	s_delay_alu instid0(VALU_DEP_1) | instskip(NEXT) | instid1(VALU_DEP_2)
	v_cmp_lt_f32_e32 vcc_lo, v5, v18
	;; [unrolled: 3-line block ×3, first 2 shown]
	v_cndmask_b32_e32 v0, v4, v36, vcc_lo
	v_cndmask_b32_e32 v4, v5, v17, vcc_lo
	v_and_b32_e32 v5, 0xffff, v1
	v_lshrrev_b32_e32 v1, 16, v1
	s_delay_alu instid0(VALU_DEP_3) | instskip(NEXT) | instid1(VALU_DEP_3)
	v_cmp_lt_f32_e32 vcc_lo, v4, v16
	v_cvt_f32_u32_e32 v15, v5
	s_delay_alu instid0(VALU_DEP_3) | instskip(SKIP_2) | instid1(VALU_DEP_2)
	v_cvt_f32_u32_e32 v14, v1
	v_cndmask_b32_e32 v4, v4, v16, vcc_lo
	v_cndmask_b32_e32 v0, v0, v37, vcc_lo
	v_cmp_lt_f32_e32 vcc_lo, v4, v15
	v_dual_cndmask_b32 v1, v4, v15 :: v_dual_and_b32 v4, 0xffff, v2
	v_lshrrev_b32_e32 v2, 16, v2
	s_delay_alu instid0(VALU_DEP_4) | instskip(NEXT) | instid1(VALU_DEP_3)
	v_cndmask_b32_e32 v0, v0, v38, vcc_lo
	v_cmp_lt_f32_e32 vcc_lo, v1, v14
	s_delay_alu instid0(VALU_DEP_4) | instskip(NEXT) | instid1(VALU_DEP_4)
	v_cvt_f32_u32_e32 v13, v4
	v_cvt_f32_u32_e32 v10, v2
	v_dual_cndmask_b32 v1, v1, v14 :: v_dual_and_b32 v2, 0xffff, v3
	s_delay_alu instid0(VALU_DEP_1) | instskip(SKIP_1) | instid1(VALU_DEP_1)
	v_cvt_f32_u32_e32 v7, v2
	v_lshrrev_b32_e32 v2, 16, v3
	v_cvt_f32_u32_e32 v6, v2
	v_cndmask_b32_e32 v0, v0, v39, vcc_lo
	v_cmp_lt_f32_e32 vcc_lo, v1, v13
	s_delay_alu instid0(VALU_DEP_2) | instskip(NEXT) | instid1(VALU_DEP_1)
	v_dual_cndmask_b32 v1, v1, v13 :: v_dual_cndmask_b32 v0, v0, v40
	v_cmp_lt_f32_e32 vcc_lo, v1, v10
	s_delay_alu instid0(VALU_DEP_2) | instskip(NEXT) | instid1(VALU_DEP_1)
	v_dual_cndmask_b32 v1, v1, v10 :: v_dual_cndmask_b32 v0, v0, v41
	v_cmp_lt_f32_e32 vcc_lo, v1, v7
	s_delay_alu instid0(VALU_DEP_2) | instskip(NEXT) | instid1(VALU_DEP_1)
	v_dual_cndmask_b32 v1, v1, v7 :: v_dual_cndmask_b32 v0, v0, v42
	v_cmp_lt_f32_e32 vcc_lo, v1, v6
	s_delay_alu instid0(VALU_DEP_2) | instskip(NEXT) | instid1(VALU_DEP_1)
	v_dual_cndmask_b32 v1, v1, v6 :: v_dual_cndmask_b32 v0, v0, v43
	v_mov_b32_dpp v3, v1 quad_perm:[1,0,3,2] row_mask:0xf bank_mask:0xf
	s_delay_alu instid0(VALU_DEP_2) | instskip(NEXT) | instid1(VALU_DEP_2)
	v_mov_b32_dpp v2, v0 quad_perm:[1,0,3,2] row_mask:0xf bank_mask:0xf
	v_cmp_eq_f32_e64 s2, v1, v3
	s_delay_alu instid0(VALU_DEP_2) | instskip(SKIP_1) | instid1(VALU_DEP_3)
	v_cmp_lt_i32_e32 vcc_lo, v2, v0
	v_cmp_lt_f32_e64 s3, v1, v3
	s_and_b32 s2, s2, vcc_lo
	s_delay_alu instid0(VALU_DEP_1) | instid1(SALU_CYCLE_1)
	s_or_b32 vcc_lo, s3, s2
	v_dual_cndmask_b32 v1, v1, v3 :: v_dual_cndmask_b32 v0, v0, v2
	s_delay_alu instid0(VALU_DEP_1) | instskip(NEXT) | instid1(VALU_DEP_2)
	v_mov_b32_dpp v3, v1 quad_perm:[2,3,0,1] row_mask:0xf bank_mask:0xf
	v_mov_b32_dpp v2, v0 quad_perm:[2,3,0,1] row_mask:0xf bank_mask:0xf
	s_delay_alu instid0(VALU_DEP_2) | instskip(NEXT) | instid1(VALU_DEP_2)
	v_cmp_eq_f32_e32 vcc_lo, v1, v3
	v_cmp_lt_i32_e64 s2, v2, v0
	v_cmp_lt_f32_e64 s3, v1, v3
	s_delay_alu instid0(VALU_DEP_2)
	s_and_b32 s2, vcc_lo, s2
	s_delay_alu instid0(VALU_DEP_1) | instid1(SALU_CYCLE_1)
	s_or_b32 s3, s3, s2
	s_cmp_gt_i32 s4, 0
	v_cndmask_b32_e64 v12, v1, v3, s3
	v_cmp_eq_u32_e64 s2, 0, v11
	s_cselect_b32 s7, -1, 0
	s_delay_alu instid0(SALU_CYCLE_1)
	s_and_b32 vcc_lo, exec_lo, s7
	s_cbranch_vccz .LBB277_18
; %bb.7:
	s_load_b128 s[8:11], s[0:1], 0x20
	v_mul_lo_u32 v1, v44, s14
	v_mul_lo_u32 v3, v44, s4
	v_cndmask_b32_e64 v0, v0, v2, s3
	v_mov_b32_e32 v9, 0
	s_and_saveexec_b32 s1, s2
	s_cbranch_execz .LBB277_9
; %bb.8:
	v_sub_f32_e32 v49, v12, v12
	v_ashrrev_i32_e32 v9, 31, v8
	v_cmp_le_i32_e32 vcc_lo, s5, v0
	v_cmp_gt_i32_e64 s0, s6, v0
	v_subrev_nc_u32_e32 v50, s5, v0
	v_mul_f32_e32 v2, 0x3fb8aa3b, v49
	v_lshlrev_b64 v[45:46], 2, v[8:9]
	s_delay_alu instid0(VALU_DEP_4) | instskip(NEXT) | instid1(SALU_CYCLE_1)
	s_and_b32 s0, vcc_lo, s0
	s_and_b32 vcc_lo, s17, s0
	s_delay_alu instid0(VALU_DEP_2) | instskip(SKIP_1) | instid1(VALU_DEP_2)
	v_rndne_f32_e32 v5, v2
	v_fma_f32 v4, 0x3fb8aa3b, v49, -v2
	v_sub_f32_e32 v2, v2, v5
	s_delay_alu instid0(VALU_DEP_2) | instskip(SKIP_1) | instid1(VALU_DEP_2)
	v_fmamk_f32 v4, v49, 0x32a5705f, v4
	v_cvt_i32_f32_e32 v9, v5
	v_add_f32_e32 v2, v2, v4
	v_ashrrev_i32_e32 v4, 31, v3
	s_delay_alu instid0(VALU_DEP_2) | instskip(SKIP_1) | instid1(VALU_DEP_2)
	v_exp_f32_e32 v51, v2
	v_ashrrev_i32_e32 v2, 31, v1
	v_lshlrev_b64 v[4:5], 2, v[3:4]
	s_delay_alu instid0(VALU_DEP_2) | instskip(SKIP_3) | instid1(TRANS32_DEP_1)
	v_lshlrev_b64 v[47:48], 2, v[1:2]
	v_cndmask_b32_e32 v2, 64, v50, vcc_lo
	v_add_co_u32 v45, vcc_lo, s12, v45
	v_add_co_ci_u32_e32 v46, vcc_lo, s13, v46, vcc_lo
	v_ldexp_f32 v9, v51, v9
	v_cmp_ngt_f32_e32 vcc_lo, 0xc2ce8ed0, v49
	s_delay_alu instid0(VALU_DEP_2)
	v_cndmask_b32_e32 v9, 0, v9, vcc_lo
	s_waitcnt lgkmcnt(0)
	v_add_co_u32 v47, vcc_lo, s8, v47
	v_add_co_ci_u32_e32 v48, vcc_lo, s9, v48, vcc_lo
	v_cmp_nlt_f32_e32 vcc_lo, 0x42b17218, v49
	v_cndmask_b32_e32 v9, 0x7f800000, v9, vcc_lo
	v_add_co_u32 v4, vcc_lo, s10, v4
	v_add_co_ci_u32_e32 v5, vcc_lo, s11, v5, vcc_lo
	global_store_b32 v[47:48], v2, off
	global_store_b32 v[45:46], v9, off
	;; [unrolled: 1-line block ×3, first 2 shown]
.LBB277_9:
	s_or_b32 exec_lo, exec_lo, s1
	v_ashrrev_i32_e32 v4, 31, v0
	s_mov_b32 s0, exec_lo
	s_delay_alu instid0(VALU_DEP_1) | instskip(NEXT) | instid1(VALU_DEP_1)
	v_lshrrev_b32_e32 v2, 28, v4
	v_add_nc_u32_e32 v2, v0, v2
	s_delay_alu instid0(VALU_DEP_1) | instskip(NEXT) | instid1(VALU_DEP_1)
	v_ashrrev_i32_e32 v2, 4, v2
	v_lshrrev_b32_e32 v5, 30, v2
	s_delay_alu instid0(VALU_DEP_1) | instskip(NEXT) | instid1(VALU_DEP_1)
	v_add_nc_u32_e32 v5, v2, v5
	v_and_b32_e32 v5, -4, v5
	s_delay_alu instid0(VALU_DEP_1) | instskip(NEXT) | instid1(VALU_DEP_1)
	v_sub_nc_u32_e32 v5, v2, v5
	v_cmpx_eq_u32_e64 v11, v5
	s_cbranch_execz .LBB277_11
; %bb.10:
	v_lshrrev_b32_e32 v4, 26, v4
	v_lshlrev_b32_e32 v2, 4, v2
	s_delay_alu instid0(VALU_DEP_2) | instskip(NEXT) | instid1(VALU_DEP_2)
	v_add_nc_u32_e32 v4, v0, v4
	v_sub_nc_u32_e32 v0, v0, v2
	s_delay_alu instid0(VALU_DEP_2) | instskip(NEXT) | instid1(VALU_DEP_1)
	v_ashrrev_i32_e32 v2, 6, v4
	v_lshl_add_u32 v0, v2, 4, v0
	s_delay_alu instid0(VALU_DEP_1)
	v_cmp_ne_u32_e32 vcc_lo, 15, v0
	v_cndmask_b32_e32 v6, 0xff800000, v6, vcc_lo
	v_cmp_ne_u32_e32 vcc_lo, 14, v0
	v_cndmask_b32_e32 v7, 0xff800000, v7, vcc_lo
	;; [unrolled: 2-line block ×16, first 2 shown]
.LBB277_11:
	s_or_b32 exec_lo, exec_lo, s0
	s_cmp_eq_u32 s4, 1
	s_cbranch_scc1 .LBB277_19
; %bb.12:
	s_add_i32 s18, s18, s16
	v_add_nc_u32_e32 v0, 1, v3
	v_add3_u32 v32, s18, v33, v32
	v_add_nc_u32_e32 v2, 1, v1
	v_add_nc_u32_e32 v4, 1, v8
	s_add_i32 s3, s4, -1
	s_branch .LBB277_14
.LBB277_13:                             ;   in Loop: Header=BB277_14 Depth=1
	s_or_b32 exec_lo, exec_lo, s0
	v_add_nc_u32_e32 v32, s16, v32
	v_add_nc_u32_e32 v0, 1, v0
	;; [unrolled: 1-line block ×4, first 2 shown]
	s_add_i32 s3, s3, -1
	s_delay_alu instid0(SALU_CYCLE_1)
	s_cmp_eq_u32 s3, 0
	s_cbranch_scc1 .LBB277_19
.LBB277_14:                             ; =>This Inner Loop Header: Depth=1
	v_cmp_gt_f32_e32 vcc_lo, v22, v24
	v_cndmask_b32_e32 v3, v24, v22, vcc_lo
	v_cndmask_b32_e32 v1, v20, v27, vcc_lo
	s_delay_alu instid0(VALU_DEP_2) | instskip(SKIP_1) | instid1(VALU_DEP_3)
	v_cmp_gt_f32_e32 vcc_lo, v26, v3
	v_cndmask_b32_e32 v3, v3, v26, vcc_lo
	v_cndmask_b32_e32 v1, v1, v28, vcc_lo
	s_delay_alu instid0(VALU_DEP_2) | instskip(SKIP_1) | instid1(VALU_DEP_3)
	;; [unrolled: 4-line block ×13, first 2 shown]
	v_cmp_gt_f32_e32 vcc_lo, v7, v3
	v_cndmask_b32_e32 v3, v3, v7, vcc_lo
	v_cndmask_b32_e32 v1, v1, v42, vcc_lo
	s_delay_alu instid0(VALU_DEP_2) | instskip(NEXT) | instid1(VALU_DEP_2)
	v_cmp_gt_f32_e32 vcc_lo, v6, v3
	v_cndmask_b32_e32 v5, v1, v43, vcc_lo
	v_cndmask_b32_e32 v1, v3, v6, vcc_lo
	s_delay_alu instid0(VALU_DEP_2) | instskip(NEXT) | instid1(VALU_DEP_2)
	v_mov_b32_dpp v3, v5 quad_perm:[1,0,3,2] row_mask:0xf bank_mask:0xf
	v_mov_b32_dpp v33, v1 quad_perm:[1,0,3,2] row_mask:0xf bank_mask:0xf
	s_delay_alu instid0(VALU_DEP_2) | instskip(NEXT) | instid1(VALU_DEP_2)
	v_cmp_lt_i32_e32 vcc_lo, v3, v5
	v_cmp_eq_f32_e64 s0, v1, v33
	v_cmp_lt_f32_e64 s1, v1, v33
	s_delay_alu instid0(VALU_DEP_2)
	s_and_b32 s0, s0, vcc_lo
	s_delay_alu instid0(VALU_DEP_1) | instid1(SALU_CYCLE_1)
	s_or_b32 vcc_lo, s1, s0
	v_cndmask_b32_e32 v1, v1, v33, vcc_lo
	v_cndmask_b32_e32 v5, v5, v3, vcc_lo
	s_delay_alu instid0(VALU_DEP_2) | instskip(NEXT) | instid1(VALU_DEP_2)
	v_mov_b32_dpp v3, v1 quad_perm:[2,3,0,1] row_mask:0xf bank_mask:0xf
	v_mov_b32_dpp v33, v5 quad_perm:[2,3,0,1] row_mask:0xf bank_mask:0xf
	s_delay_alu instid0(VALU_DEP_2) | instskip(NEXT) | instid1(VALU_DEP_2)
	v_cmp_eq_f32_e32 vcc_lo, v1, v3
	v_cmp_lt_i32_e64 s0, v33, v5
	v_cmp_lt_f32_e64 s1, v1, v3
	s_delay_alu instid0(VALU_DEP_2)
	s_and_b32 s0, vcc_lo, s0
	s_delay_alu instid0(VALU_DEP_1) | instid1(SALU_CYCLE_1)
	s_or_b32 vcc_lo, s1, s0
	v_cndmask_b32_e32 v33, v5, v33, vcc_lo
	s_and_saveexec_b32 s1, s2
	s_cbranch_execz .LBB277_16
; %bb.15:                               ;   in Loop: Header=BB277_14 Depth=1
	v_cndmask_b32_e32 v1, v1, v3, vcc_lo
	s_delay_alu instid0(VALU_DEP_2) | instskip(SKIP_3) | instid1(VALU_DEP_3)
	v_cmp_le_i32_e32 vcc_lo, s5, v33
	v_cmp_gt_i32_e64 s0, s6, v33
	v_subrev_nc_u32_e32 v51, s5, v33
	v_ashrrev_i32_e32 v5, 31, v4
	s_and_b32 s0, vcc_lo, s0
	s_delay_alu instid0(SALU_CYCLE_1) | instskip(SKIP_1) | instid1(VALU_DEP_1)
	s_and_b32 vcc_lo, s17, s0
	v_sub_f32_e32 v50, v1, v12
	v_mul_f32_e32 v1, 0x3fb8aa3b, v50
	s_delay_alu instid0(VALU_DEP_1) | instskip(SKIP_1) | instid1(VALU_DEP_2)
	v_fma_f32 v3, 0x3fb8aa3b, v50, -v1
	v_rndne_f32_e32 v44, v1
	v_fmac_f32_e32 v3, 0x32a5705f, v50
	s_delay_alu instid0(VALU_DEP_2) | instskip(SKIP_2) | instid1(VALU_DEP_3)
	v_sub_f32_e32 v1, v1, v44
	v_cvt_i32_f32_e32 v49, v44
	v_lshlrev_b64 v[44:45], 2, v[4:5]
	v_add_f32_e32 v1, v1, v3
	v_ashrrev_i32_e32 v3, 31, v2
	s_delay_alu instid0(VALU_DEP_2) | instskip(SKIP_1) | instid1(VALU_DEP_2)
	v_exp_f32_e32 v48, v1
	v_ashrrev_i32_e32 v1, 31, v0
	v_lshlrev_b64 v[46:47], 2, v[2:3]
	s_waitcnt_depctr 0xfff
	v_ldexp_f32 v3, v48, v49
	v_lshlrev_b64 v[48:49], 2, v[0:1]
	v_cndmask_b32_e32 v1, 64, v51, vcc_lo
	v_cmp_ngt_f32_e32 vcc_lo, 0xc2ce8ed0, v50
	s_delay_alu instid0(VALU_DEP_4) | instskip(SKIP_3) | instid1(VALU_DEP_4)
	v_cndmask_b32_e32 v3, 0, v3, vcc_lo
	v_add_co_u32 v44, vcc_lo, s12, v44
	v_add_co_ci_u32_e32 v45, vcc_lo, s13, v45, vcc_lo
	v_cmp_nlt_f32_e32 vcc_lo, 0x42b17218, v50
	v_cndmask_b32_e32 v3, 0x7f800000, v3, vcc_lo
	s_waitcnt lgkmcnt(0)
	v_add_co_u32 v46, vcc_lo, s8, v46
	v_add_co_ci_u32_e32 v47, vcc_lo, s9, v47, vcc_lo
	v_add_co_u32 v48, vcc_lo, s10, v48
	v_add_f32_e32 v9, v9, v3
	v_add_co_ci_u32_e32 v49, vcc_lo, s11, v49, vcc_lo
	global_store_b32 v[44:45], v3, off
	global_store_b32 v[46:47], v1, off
	;; [unrolled: 1-line block ×3, first 2 shown]
.LBB277_16:                             ;   in Loop: Header=BB277_14 Depth=1
	s_or_b32 exec_lo, exec_lo, s1
	s_delay_alu instid0(VALU_DEP_1) | instskip(SKIP_1) | instid1(VALU_DEP_1)
	v_ashrrev_i32_e32 v3, 31, v33
	s_mov_b32 s0, exec_lo
	v_lshrrev_b32_e32 v1, 28, v3
	s_delay_alu instid0(VALU_DEP_1) | instskip(NEXT) | instid1(VALU_DEP_1)
	v_add_nc_u32_e32 v1, v33, v1
	v_ashrrev_i32_e32 v1, 4, v1
	s_delay_alu instid0(VALU_DEP_1) | instskip(NEXT) | instid1(VALU_DEP_1)
	v_lshrrev_b32_e32 v5, 30, v1
	v_add_nc_u32_e32 v5, v1, v5
	s_delay_alu instid0(VALU_DEP_1) | instskip(NEXT) | instid1(VALU_DEP_1)
	v_and_b32_e32 v5, -4, v5
	v_sub_nc_u32_e32 v5, v1, v5
	s_delay_alu instid0(VALU_DEP_1)
	v_cmpx_eq_u32_e64 v11, v5
	s_cbranch_execz .LBB277_13
; %bb.17:                               ;   in Loop: Header=BB277_14 Depth=1
	v_lshrrev_b32_e32 v3, 26, v3
	v_lshlrev_b32_e32 v1, 4, v1
	s_delay_alu instid0(VALU_DEP_2) | instskip(NEXT) | instid1(VALU_DEP_2)
	v_add_nc_u32_e32 v3, v33, v3
	v_sub_nc_u32_e32 v1, v33, v1
	s_delay_alu instid0(VALU_DEP_2) | instskip(NEXT) | instid1(VALU_DEP_1)
	v_ashrrev_i32_e32 v3, 6, v3
	v_lshl_add_u32 v1, v3, 4, v1
	s_delay_alu instid0(VALU_DEP_1)
	v_cmp_ne_u32_e32 vcc_lo, 15, v1
	v_cndmask_b32_e32 v6, 0xff800000, v6, vcc_lo
	v_cmp_ne_u32_e32 vcc_lo, 14, v1
	v_cndmask_b32_e32 v7, 0xff800000, v7, vcc_lo
	;; [unrolled: 2-line block ×16, first 2 shown]
	s_branch .LBB277_13
.LBB277_18:
	v_mov_b32_e32 v9, 0
.LBB277_19:
	v_sub_f32_e32 v5, v25, v12
	v_sub_f32_e32 v0, v24, v12
	;; [unrolled: 1-line block ×4, first 2 shown]
	s_delay_alu instid0(VALU_DEP_4) | instskip(NEXT) | instid1(VALU_DEP_4)
	v_dual_sub_f32 v20, v23, v12 :: v_dual_mul_f32 v27, 0x3fb8aa3b, v5
	v_cmp_ngt_f32_e32 vcc_lo, 0xc2ce8ed0, v0
	s_delay_alu instid0(VALU_DEP_4) | instskip(NEXT) | instid1(VALU_DEP_4)
	v_mul_f32_e32 v26, 0x3fb8aa3b, v3
	v_mul_f32_e32 v4, 0x3fb8aa3b, v1
	v_sub_f32_e32 v18, v18, v12
	v_rndne_f32_e32 v30, v27
	v_mul_f32_e32 v2, 0x3fb8aa3b, v0
	v_sub_f32_e32 v21, v21, v12
	v_fma_f32 v24, 0x3fb8aa3b, v1, -v4
	v_rndne_f32_e32 v25, v4
	v_sub_f32_e32 v19, v19, v12
	v_rndne_f32_e32 v23, v2
	v_fma_f32 v22, 0x3fb8aa3b, v0, -v2
	v_fmac_f32_e32 v24, 0x32a5705f, v1
	v_sub_f32_e32 v4, v4, v25
	v_cvt_i32_f32_e32 v25, v25
	v_sub_f32_e32 v2, v2, v23
	v_fma_f32 v29, 0x3fb8aa3b, v5, -v27
	v_cvt_i32_f32_e32 v23, v23
	v_add_f32_e32 v4, v4, v24
	v_rndne_f32_e32 v24, v26
	v_sub_f32_e32 v15, v15, v12
	v_dual_fmac_f32 v29, 0x32a5705f, v5 :: v_dual_fmac_f32 v22, 0x32a5705f, v0
	s_delay_alu instid0(VALU_DEP_4)
	v_exp_f32_e32 v4, v4
	v_sub_f32_e32 v14, v14, v12
	v_sub_f32_e32 v7, v7, v12
	;; [unrolled: 1-line block ×3, first 2 shown]
	v_add_f32_e32 v2, v2, v22
	v_fma_f32 v22, 0x3fb8aa3b, v3, -v26
	v_sub_f32_e32 v26, v26, v24
	v_cvt_i32_f32_e32 v24, v24
	s_delay_alu instid0(VALU_DEP_4) | instskip(NEXT) | instid1(VALU_DEP_3)
	v_exp_f32_e32 v2, v2
	v_fmac_f32_e32 v22, 0x32a5705f, v3
	v_ldexp_f32 v4, v4, v25
	s_delay_alu instid0(VALU_DEP_2) | instskip(SKIP_4) | instid1(VALU_DEP_2)
	v_add_f32_e32 v22, v26, v22
	s_waitcnt_depctr 0xfff
	v_ldexp_f32 v2, v2, v23
	v_sub_f32_e32 v23, v27, v30
	v_exp_f32_e32 v22, v22
	v_cndmask_b32_e32 v2, 0, v2, vcc_lo
	v_cmp_ngt_f32_e32 vcc_lo, 0xc2ce8ed0, v1
	s_delay_alu instid0(VALU_DEP_3) | instskip(SKIP_1) | instid1(VALU_DEP_2)
	v_dual_add_f32 v23, v23, v29 :: v_dual_cndmask_b32 v4, 0, v4
	v_cmp_nlt_f32_e32 vcc_lo, 0x42b17218, v0
	v_exp_f32_e32 v23, v23
	v_cndmask_b32_e32 v0, 0x7f800000, v2, vcc_lo
	v_cmp_nlt_f32_e32 vcc_lo, 0x42b17218, v1
	v_cndmask_b32_e32 v1, 0x7f800000, v4, vcc_lo
	s_delay_alu instid0(TRANS32_DEP_2) | instskip(SKIP_1) | instid1(VALU_DEP_2)
	v_ldexp_f32 v4, v22, v24
	v_cmp_ngt_f32_e32 vcc_lo, 0xc2ce8ed0, v3
	v_dual_add_f32 v0, v0, v1 :: v_dual_cndmask_b32 v1, 0, v4
	v_cvt_i32_f32_e32 v4, v30
	v_cmp_nlt_f32_e32 vcc_lo, 0x42b17218, v3
	s_delay_alu instid0(TRANS32_DEP_1) | instid1(VALU_DEP_2)
	v_ldexp_f32 v3, v23, v4
	s_delay_alu instid0(VALU_DEP_4) | instskip(SKIP_3) | instid1(VALU_DEP_4)
	v_cndmask_b32_e32 v1, 0x7f800000, v1, vcc_lo
	v_cmp_ngt_f32_e32 vcc_lo, 0xc2ce8ed0, v5
	v_mul_f32_e32 v28, 0x3fb8aa3b, v20
	v_mul_f32_e32 v4, 0x3fb8aa3b, v21
	v_dual_add_f32 v0, v0, v1 :: v_dual_cndmask_b32 v1, 0, v3
	s_delay_alu instid0(VALU_DEP_3) | instskip(SKIP_1) | instid1(VALU_DEP_4)
	v_fma_f32 v2, 0x3fb8aa3b, v20, -v28
	v_rndne_f32_e32 v22, v28
	v_fma_f32 v3, 0x3fb8aa3b, v21, -v4
	v_rndne_f32_e32 v23, v4
	v_cmp_nlt_f32_e32 vcc_lo, 0x42b17218, v5
	v_fmac_f32_e32 v2, 0x32a5705f, v20
	v_sub_f32_e32 v24, v28, v22
	v_cvt_i32_f32_e32 v5, v22
	v_fmac_f32_e32 v3, 0x32a5705f, v21
	v_dual_cndmask_b32 v1, 0x7f800000, v1 :: v_dual_sub_f32 v4, v4, v23
	s_delay_alu instid0(VALU_DEP_4) | instskip(SKIP_1) | instid1(VALU_DEP_3)
	v_add_f32_e32 v2, v24, v2
	v_cmp_ngt_f32_e32 vcc_lo, 0xc2ce8ed0, v20
	v_add_f32_e32 v0, v0, v1
	s_delay_alu instid0(VALU_DEP_3) | instskip(SKIP_2) | instid1(VALU_DEP_1)
	v_exp_f32_e32 v2, v2
	s_waitcnt_depctr 0xfff
	v_ldexp_f32 v1, v2, v5
	v_dual_add_f32 v2, v4, v3 :: v_dual_cndmask_b32 v1, 0, v1
	s_delay_alu instid0(VALU_DEP_1) | instskip(SKIP_2) | instid1(VALU_DEP_3)
	v_exp_f32_e32 v2, v2
	v_cmp_nlt_f32_e32 vcc_lo, 0x42b17218, v20
	v_cvt_i32_f32_e32 v20, v23
	v_cndmask_b32_e32 v1, 0x7f800000, v1, vcc_lo
	v_cmp_ngt_f32_e32 vcc_lo, 0xc2ce8ed0, v21
	s_delay_alu instid0(VALU_DEP_2) | instskip(SKIP_2) | instid1(VALU_DEP_1)
	v_add_f32_e32 v0, v0, v1
	s_waitcnt_depctr 0xfff
	v_ldexp_f32 v1, v2, v20
	v_cndmask_b32_e32 v1, 0, v1, vcc_lo
	v_cmp_nlt_f32_e32 vcc_lo, 0x42b17218, v21
	v_mul_f32_e32 v21, 0x3fb8aa3b, v14
	s_delay_alu instid0(VALU_DEP_3) | instskip(SKIP_2) | instid1(VALU_DEP_3)
	v_cndmask_b32_e32 v1, 0x7f800000, v1, vcc_lo
	v_cmp_ngt_f32_e32 vcc_lo, 0xc2ce8ed0, v19
	v_mul_f32_e32 v22, 0x3fb8aa3b, v19
	v_add_f32_e32 v0, v0, v1
	s_delay_alu instid0(VALU_DEP_2) | instskip(SKIP_1) | instid1(VALU_DEP_2)
	v_fma_f32 v3, 0x3fb8aa3b, v19, -v22
	v_rndne_f32_e32 v4, v22
	v_fmac_f32_e32 v3, 0x32a5705f, v19
	s_delay_alu instid0(VALU_DEP_2) | instskip(SKIP_1) | instid1(VALU_DEP_2)
	v_sub_f32_e32 v5, v22, v4
	v_cvt_i32_f32_e32 v4, v4
	v_add_f32_e32 v3, v5, v3
	s_delay_alu instid0(VALU_DEP_1) | instskip(SKIP_2) | instid1(VALU_DEP_1)
	v_exp_f32_e32 v2, v3
	s_waitcnt_depctr 0xfff
	v_ldexp_f32 v2, v2, v4
	v_cndmask_b32_e32 v1, 0, v2, vcc_lo
	v_cmp_nlt_f32_e32 vcc_lo, 0x42b17218, v19
	s_delay_alu instid0(VALU_DEP_2) | instskip(SKIP_2) | instid1(VALU_DEP_3)
	v_cndmask_b32_e32 v1, 0x7f800000, v1, vcc_lo
	v_mul_f32_e32 v5, 0x3fb8aa3b, v18
	v_cmp_ngt_f32_e32 vcc_lo, 0xc2ce8ed0, v18
	v_add_f32_e32 v0, v0, v1
	s_delay_alu instid0(VALU_DEP_3) | instskip(SKIP_1) | instid1(VALU_DEP_2)
	v_fma_f32 v3, 0x3fb8aa3b, v18, -v5
	v_rndne_f32_e32 v20, v5
	v_fmac_f32_e32 v3, 0x32a5705f, v18
	s_delay_alu instid0(VALU_DEP_2) | instskip(NEXT) | instid1(VALU_DEP_1)
	v_sub_f32_e32 v5, v5, v20
	v_add_f32_e32 v3, v5, v3
	v_sub_f32_e32 v5, v16, v12
	v_cvt_i32_f32_e32 v16, v20
	s_delay_alu instid0(VALU_DEP_3) | instskip(SKIP_2) | instid1(VALU_DEP_1)
	v_exp_f32_e32 v2, v3
	s_waitcnt_depctr 0xfff
	v_ldexp_f32 v1, v2, v16
	v_dual_sub_f32 v4, v17, v12 :: v_dual_cndmask_b32 v1, 0, v1
	s_delay_alu instid0(VALU_DEP_1) | instskip(SKIP_1) | instid1(VALU_DEP_2)
	v_mul_f32_e32 v3, 0x3fb8aa3b, v4
	v_cmp_nlt_f32_e32 vcc_lo, 0x42b17218, v18
	v_rndne_f32_e32 v19, v3
	v_fma_f32 v17, 0x3fb8aa3b, v4, -v3
	s_delay_alu instid0(VALU_DEP_2) | instskip(SKIP_1) | instid1(VALU_DEP_3)
	v_sub_f32_e32 v2, v3, v19
	v_mul_f32_e32 v20, 0x3fb8aa3b, v5
	v_fmac_f32_e32 v17, 0x32a5705f, v4
	v_cvt_i32_f32_e32 v19, v19
	s_delay_alu instid0(VALU_DEP_3) | instskip(SKIP_1) | instid1(VALU_DEP_4)
	v_fma_f32 v3, 0x3fb8aa3b, v5, -v20
	v_rndne_f32_e32 v16, v20
	v_add_f32_e32 v2, v2, v17
	s_delay_alu instid0(VALU_DEP_3) | instskip(NEXT) | instid1(VALU_DEP_3)
	v_fmac_f32_e32 v3, 0x32a5705f, v5
	v_dual_sub_f32 v17, v20, v16 :: v_dual_mul_f32 v20, 0x3fb8aa3b, v15
	s_delay_alu instid0(VALU_DEP_3) | instskip(NEXT) | instid1(VALU_DEP_1)
	v_exp_f32_e32 v2, v2
	v_add_f32_e32 v3, v17, v3
	s_delay_alu instid0(VALU_DEP_2) | instskip(SKIP_4) | instid1(VALU_DEP_3)
	v_fma_f32 v17, 0x3fb8aa3b, v15, -v20
	v_rndne_f32_e32 v18, v20
	v_cndmask_b32_e32 v1, 0x7f800000, v1, vcc_lo
	v_cmp_ngt_f32_e32 vcc_lo, 0xc2ce8ed0, v4
	v_exp_f32_e32 v3, v3
	v_dual_fmac_f32 v17, 0x32a5705f, v15 :: v_dual_sub_f32 v20, v20, v18
	s_delay_alu instid0(VALU_DEP_3) | instskip(NEXT) | instid1(TRANS32_DEP_2)
	v_add_f32_e32 v0, v0, v1
	v_ldexp_f32 v1, v2, v19
	v_cvt_i32_f32_e32 v2, v16
	v_rndne_f32_e32 v19, v21
	v_add_f32_e32 v16, v20, v17
	v_fma_f32 v17, 0x3fb8aa3b, v14, -v21
	v_cndmask_b32_e32 v1, 0, v1, vcc_lo
	s_delay_alu instid0(TRANS32_DEP_1)
	v_ldexp_f32 v2, v3, v2
	v_cmp_nlt_f32_e32 vcc_lo, 0x42b17218, v4
	v_exp_f32_e32 v3, v16
	v_sub_f32_e32 v16, v21, v19
	v_cvt_i32_f32_e32 v4, v18
	v_fmac_f32_e32 v17, 0x32a5705f, v14
	v_cndmask_b32_e32 v1, 0x7f800000, v1, vcc_lo
	v_cmp_ngt_f32_e32 vcc_lo, 0xc2ce8ed0, v5
	s_delay_alu instid0(VALU_DEP_2) | instskip(NEXT) | instid1(TRANS32_DEP_1)
	v_add_f32_e32 v0, v0, v1
	v_ldexp_f32 v1, v3, v4
	v_cndmask_b32_e32 v2, 0, v2, vcc_lo
	v_cmp_nlt_f32_e32 vcc_lo, 0x42b17218, v5
	v_dual_sub_f32 v4, v13, v12 :: v_dual_mul_f32 v13, 0x3fb8aa3b, v10
	s_delay_alu instid0(VALU_DEP_3) | instskip(SKIP_1) | instid1(VALU_DEP_3)
	v_cndmask_b32_e32 v2, 0x7f800000, v2, vcc_lo
	v_cmp_ngt_f32_e32 vcc_lo, 0xc2ce8ed0, v15
	v_mul_f32_e32 v5, 0x3fb8aa3b, v4
	v_cndmask_b32_e32 v1, 0, v1, vcc_lo
	v_cmp_nlt_f32_e32 vcc_lo, 0x42b17218, v15
	v_add_f32_e32 v0, v0, v2
	v_cvt_i32_f32_e32 v2, v19
	s_delay_alu instid0(VALU_DEP_4) | instskip(SKIP_1) | instid1(VALU_DEP_2)
	v_cndmask_b32_e32 v1, 0x7f800000, v1, vcc_lo
	v_cmp_ngt_f32_e32 vcc_lo, 0xc2ce8ed0, v14
	v_add_f32_e32 v0, v0, v1
	v_fma_f32 v1, 0x3fb8aa3b, v4, -v5
	s_delay_alu instid0(VALU_DEP_1) | instskip(NEXT) | instid1(VALU_DEP_1)
	v_dual_add_f32 v16, v16, v17 :: v_dual_fmac_f32 v1, 0x32a5705f, v4
	v_exp_f32_e32 v3, v16
	s_waitcnt_depctr 0xfff
	v_ldexp_f32 v2, v3, v2
	v_rndne_f32_e32 v3, v5
	s_delay_alu instid0(VALU_DEP_1) | instskip(SKIP_2) | instid1(VALU_DEP_3)
	v_dual_sub_f32 v5, v5, v3 :: v_dual_cndmask_b32 v2, 0, v2
	v_cmp_nlt_f32_e32 vcc_lo, 0x42b17218, v14
	v_cvt_i32_f32_e32 v3, v3
	v_dual_mul_f32 v14, 0x3fb8aa3b, v7 :: v_dual_add_f32 v1, v5, v1
	v_rndne_f32_e32 v5, v13
	v_cndmask_b32_e32 v2, 0x7f800000, v2, vcc_lo
	v_cmp_ngt_f32_e32 vcc_lo, 0xc2ce8ed0, v4
	s_delay_alu instid0(VALU_DEP_4)
	v_rndne_f32_e32 v15, v14
	v_exp_f32_e32 v1, v1
	s_waitcnt_depctr 0xfff
	v_ldexp_f32 v1, v1, v3
	v_add_f32_e32 v0, v0, v2
	v_fma_f32 v2, 0x3fb8aa3b, v10, -v13
	s_delay_alu instid0(VALU_DEP_3)
	v_cndmask_b32_e32 v1, 0, v1, vcc_lo
	v_cmp_nlt_f32_e32 vcc_lo, 0x42b17218, v4
	v_sub_f32_e32 v6, v6, v12
	v_sub_f32_e32 v12, v13, v5
	v_fma_f32 v13, 0x3fb8aa3b, v7, -v14
	v_cvt_i32_f32_e32 v5, v5
	v_cndmask_b32_e32 v1, 0x7f800000, v1, vcc_lo
	v_mul_f32_e32 v16, 0x3fb8aa3b, v6
	v_cvt_i32_f32_e32 v4, v15
	v_dual_fmac_f32 v13, 0x32a5705f, v7 :: v_dual_fmac_f32 v2, 0x32a5705f, v10
	v_cmp_ngt_f32_e32 vcc_lo, 0xc2ce8ed0, v10
	s_delay_alu instid0(VALU_DEP_4) | instskip(SKIP_1) | instid1(VALU_DEP_4)
	v_rndne_f32_e32 v17, v16
	v_add_f32_e32 v0, v0, v1
	v_add_f32_e32 v2, v12, v2
	v_sub_f32_e32 v12, v14, v15
	v_fma_f32 v14, 0x3fb8aa3b, v6, -v16
	s_delay_alu instid0(VALU_DEP_3) | instskip(NEXT) | instid1(VALU_DEP_1)
	v_exp_f32_e32 v2, v2
	v_dual_add_f32 v3, v12, v13 :: v_dual_fmac_f32 v14, 0x32a5705f, v6
	v_sub_f32_e32 v12, v16, v17
	s_delay_alu instid0(VALU_DEP_2) | instskip(NEXT) | instid1(VALU_DEP_1)
	v_exp_f32_e32 v3, v3
	v_add_f32_e32 v12, v12, v14
	s_waitcnt_depctr 0xfff
	v_ldexp_f32 v2, v2, v5
	v_exp_f32_e32 v5, v12
	s_delay_alu instid0(VALU_DEP_1) | instskip(SKIP_3) | instid1(VALU_DEP_4)
	v_cndmask_b32_e32 v2, 0, v2, vcc_lo
	v_cmp_nlt_f32_e32 vcc_lo, 0x42b17218, v10
	v_ldexp_f32 v1, v3, v4
	v_cvt_i32_f32_e32 v3, v17
	v_cndmask_b32_e32 v2, 0x7f800000, v2, vcc_lo
	v_cmp_ngt_f32_e32 vcc_lo, 0xc2ce8ed0, v7
	s_delay_alu instid0(TRANS32_DEP_1) | instid1(VALU_DEP_3)
	v_ldexp_f32 v3, v5, v3
	s_delay_alu instid0(VALU_DEP_3) | instskip(SKIP_1) | instid1(VALU_DEP_2)
	v_dual_add_f32 v0, v0, v2 :: v_dual_cndmask_b32 v1, 0, v1
	v_cmp_nlt_f32_e32 vcc_lo, 0x42b17218, v7
	v_cndmask_b32_e32 v1, 0x7f800000, v1, vcc_lo
	v_cmp_ngt_f32_e32 vcc_lo, 0xc2ce8ed0, v6
	s_delay_alu instid0(VALU_DEP_2) | instskip(SKIP_2) | instid1(VALU_DEP_2)
	v_add_f32_e32 v0, v0, v1
	v_cndmask_b32_e32 v2, 0, v3, vcc_lo
	v_cmp_nlt_f32_e32 vcc_lo, 0x42b17218, v6
	v_cndmask_b32_e32 v1, 0x7f800000, v2, vcc_lo
	v_cmp_eq_u32_e32 vcc_lo, 0, v11
	s_delay_alu instid0(VALU_DEP_2) | instskip(NEXT) | instid1(VALU_DEP_1)
	v_add_f32_e32 v0, v0, v1
	v_mov_b32_dpp v1, v0 quad_perm:[1,0,3,2] row_mask:0xf bank_mask:0xf
	s_delay_alu instid0(VALU_DEP_1) | instskip(NEXT) | instid1(VALU_DEP_1)
	v_add_f32_e32 v0, v0, v1
	v_mov_b32_dpp v1, v0 quad_perm:[2,3,0,1] row_mask:0xf bank_mask:0xf
	s_and_b32 exec_lo, exec_lo, vcc_lo
	s_cbranch_execz .LBB277_24
; %bb.20:
	s_delay_alu instid0(VALU_DEP_1) | instskip(NEXT) | instid1(VALU_DEP_1)
	v_add_f32_e32 v0, v0, v1
	v_add_f32_e32 v0, v9, v0
	s_delay_alu instid0(VALU_DEP_1)
	v_cmp_neq_f32_e32 vcc_lo, 0, v0
	s_and_b32 exec_lo, exec_lo, vcc_lo
	s_cbranch_execz .LBB277_24
; %bb.21:
	s_and_not1_b32 vcc_lo, exec_lo, s7
	s_cbranch_vccnz .LBB277_24
; %bb.22:
	v_div_scale_f32 v1, null, v0, v0, 1.0
	v_div_scale_f32 v4, vcc_lo, 1.0, v0, 1.0
	v_ashrrev_i32_e32 v9, 31, v8
	s_delay_alu instid0(VALU_DEP_3) | instskip(SKIP_2) | instid1(VALU_DEP_1)
	v_rcp_f32_e32 v2, v1
	s_waitcnt_depctr 0xfff
	v_fma_f32 v3, -v1, v2, 1.0
	v_fmac_f32_e32 v2, v3, v2
	s_delay_alu instid0(VALU_DEP_1) | instskip(NEXT) | instid1(VALU_DEP_1)
	v_mul_f32_e32 v3, v4, v2
	v_fma_f32 v5, -v1, v3, v4
	s_delay_alu instid0(VALU_DEP_1) | instskip(NEXT) | instid1(VALU_DEP_1)
	v_fmac_f32_e32 v3, v5, v2
	v_fma_f32 v1, -v1, v3, v4
	s_delay_alu instid0(VALU_DEP_1) | instskip(SKIP_1) | instid1(VALU_DEP_2)
	v_div_fmas_f32 v1, v1, v2, v3
	v_lshlrev_b64 v[3:4], 2, v[8:9]
	v_div_fixup_f32 v2, v1, v0, 1.0
	s_delay_alu instid0(VALU_DEP_2) | instskip(NEXT) | instid1(VALU_DEP_3)
	v_add_co_u32 v0, vcc_lo, s12, v3
	v_add_co_ci_u32_e32 v1, vcc_lo, s13, v4, vcc_lo
.LBB277_23:                             ; =>This Inner Loop Header: Depth=1
	global_load_b32 v3, v[0:1], off
	s_add_i32 s4, s4, -1
	s_delay_alu instid0(SALU_CYCLE_1)
	s_cmp_lg_u32 s4, 0
	s_waitcnt vmcnt(0)
	v_mul_f32_e32 v3, v2, v3
	global_store_b32 v[0:1], v3, off
	v_add_co_u32 v0, vcc_lo, v0, 4
	v_add_co_ci_u32_e32 v1, vcc_lo, 0, v1, vcc_lo
	s_cbranch_scc1 .LBB277_23
.LBB277_24:
	s_nop 0
	s_sendmsg sendmsg(MSG_DEALLOC_VGPRS)
	s_endpgm
	.section	.rodata,"a",@progbits
	.p2align	6, 0x0
	.amdhsa_kernel _ZN4vllm3moe17topkGatingSoftmaxItLi16ELi64ELi8ELi32ELb0ELi8ELNS0_23SharedExpertScoringFuncE1EEEvPKT_PKbPfiPiS9_iiiiii
		.amdhsa_group_segment_fixed_size 0
		.amdhsa_private_segment_fixed_size 0
		.amdhsa_kernarg_size 72
		.amdhsa_user_sgpr_count 15
		.amdhsa_user_sgpr_dispatch_ptr 0
		.amdhsa_user_sgpr_queue_ptr 0
		.amdhsa_user_sgpr_kernarg_segment_ptr 1
		.amdhsa_user_sgpr_dispatch_id 0
		.amdhsa_user_sgpr_private_segment_size 0
		.amdhsa_wavefront_size32 1
		.amdhsa_uses_dynamic_stack 0
		.amdhsa_enable_private_segment 0
		.amdhsa_system_sgpr_workgroup_id_x 1
		.amdhsa_system_sgpr_workgroup_id_y 0
		.amdhsa_system_sgpr_workgroup_id_z 0
		.amdhsa_system_sgpr_workgroup_info 0
		.amdhsa_system_vgpr_workitem_id 1
		.amdhsa_next_free_vgpr 52
		.amdhsa_next_free_sgpr 19
		.amdhsa_reserve_vcc 1
		.amdhsa_float_round_mode_32 0
		.amdhsa_float_round_mode_16_64 0
		.amdhsa_float_denorm_mode_32 3
		.amdhsa_float_denorm_mode_16_64 3
		.amdhsa_dx10_clamp 1
		.amdhsa_ieee_mode 1
		.amdhsa_fp16_overflow 0
		.amdhsa_workgroup_processor_mode 1
		.amdhsa_memory_ordered 1
		.amdhsa_forward_progress 0
		.amdhsa_shared_vgpr_count 0
		.amdhsa_exception_fp_ieee_invalid_op 0
		.amdhsa_exception_fp_denorm_src 0
		.amdhsa_exception_fp_ieee_div_zero 0
		.amdhsa_exception_fp_ieee_overflow 0
		.amdhsa_exception_fp_ieee_underflow 0
		.amdhsa_exception_fp_ieee_inexact 0
		.amdhsa_exception_int_div_zero 0
	.end_amdhsa_kernel
	.section	.text._ZN4vllm3moe17topkGatingSoftmaxItLi16ELi64ELi8ELi32ELb0ELi8ELNS0_23SharedExpertScoringFuncE1EEEvPKT_PKbPfiPiS9_iiiiii,"axG",@progbits,_ZN4vllm3moe17topkGatingSoftmaxItLi16ELi64ELi8ELi32ELb0ELi8ELNS0_23SharedExpertScoringFuncE1EEEvPKT_PKbPfiPiS9_iiiiii,comdat
.Lfunc_end277:
	.size	_ZN4vllm3moe17topkGatingSoftmaxItLi16ELi64ELi8ELi32ELb0ELi8ELNS0_23SharedExpertScoringFuncE1EEEvPKT_PKbPfiPiS9_iiiiii, .Lfunc_end277-_ZN4vllm3moe17topkGatingSoftmaxItLi16ELi64ELi8ELi32ELb0ELi8ELNS0_23SharedExpertScoringFuncE1EEEvPKT_PKbPfiPiS9_iiiiii
                                        ; -- End function
	.section	.AMDGPU.csdata,"",@progbits
; Kernel info:
; codeLenInByte = 4832
; NumSgprs: 21
; NumVgprs: 52
; ScratchSize: 0
; MemoryBound: 0
; FloatMode: 240
; IeeeMode: 1
; LDSByteSize: 0 bytes/workgroup (compile time only)
; SGPRBlocks: 2
; VGPRBlocks: 6
; NumSGPRsForWavesPerEU: 21
; NumVGPRsForWavesPerEU: 52
; Occupancy: 16
; WaveLimiterHint : 0
; COMPUTE_PGM_RSRC2:SCRATCH_EN: 0
; COMPUTE_PGM_RSRC2:USER_SGPR: 15
; COMPUTE_PGM_RSRC2:TRAP_HANDLER: 0
; COMPUTE_PGM_RSRC2:TGID_X_EN: 1
; COMPUTE_PGM_RSRC2:TGID_Y_EN: 0
; COMPUTE_PGM_RSRC2:TGID_Z_EN: 0
; COMPUTE_PGM_RSRC2:TIDIG_COMP_CNT: 1
	.section	.text._ZN4vllm3moe17topkGatingSoftmaxItLi16ELi128ELi8ELi32ELb1ELi0ELNS0_23SharedExpertScoringFuncE0EEEvPKT_PKbPfiPiS9_iiiiii,"axG",@progbits,_ZN4vllm3moe17topkGatingSoftmaxItLi16ELi128ELi8ELi32ELb1ELi0ELNS0_23SharedExpertScoringFuncE0EEEvPKT_PKbPfiPiS9_iiiiii,comdat
	.protected	_ZN4vllm3moe17topkGatingSoftmaxItLi16ELi128ELi8ELi32ELb1ELi0ELNS0_23SharedExpertScoringFuncE0EEEvPKT_PKbPfiPiS9_iiiiii ; -- Begin function _ZN4vllm3moe17topkGatingSoftmaxItLi16ELi128ELi8ELi32ELb1ELi0ELNS0_23SharedExpertScoringFuncE0EEEvPKT_PKbPfiPiS9_iiiiii
	.globl	_ZN4vllm3moe17topkGatingSoftmaxItLi16ELi128ELi8ELi32ELb1ELi0ELNS0_23SharedExpertScoringFuncE0EEEvPKT_PKbPfiPiS9_iiiiii
	.p2align	8
	.type	_ZN4vllm3moe17topkGatingSoftmaxItLi16ELi128ELi8ELi32ELb1ELi0ELNS0_23SharedExpertScoringFuncE0EEEvPKT_PKbPfiPiS9_iiiiii,@function
_ZN4vllm3moe17topkGatingSoftmaxItLi16ELi128ELi8ELi32ELb1ELi0ELNS0_23SharedExpertScoringFuncE0EEEvPKT_PKbPfiPiS9_iiiiii: ; @_ZN4vllm3moe17topkGatingSoftmaxItLi16ELi128ELi8ELi32ELb1ELi0ELNS0_23SharedExpertScoringFuncE0EEEvPKT_PKbPfiPiS9_iiiiii
; %bb.0:
	s_load_b32 s16, s[0:1], 0x18
	v_bfe_u32 v1, v0, 10, 10
	v_and_b32_e32 v0, 0x3ff, v0
	s_lshl_b32 s18, s15, 5
	s_mov_b32 s2, exec_lo
	s_delay_alu instid0(VALU_DEP_2) | instskip(NEXT) | instid1(VALU_DEP_2)
	v_lshlrev_b32_e32 v42, 2, v1
	v_lshrrev_b32_e32 v43, 3, v0
	s_delay_alu instid0(VALU_DEP_1) | instskip(SKIP_1) | instid1(VALU_DEP_1)
	v_add3_u32 v7, s18, v42, v43
	s_waitcnt lgkmcnt(0)
	v_cmpx_gt_i32_e64 s16, v7
	s_cbranch_execz .LBB278_20
; %bb.1:
	s_clause 0x1
	s_load_b128 s[4:7], s[0:1], 0x0
	s_load_b64 s[12:13], s[0:1], 0x10
	s_waitcnt lgkmcnt(0)
	s_cmp_eq_u64 s[6:7], 0
	s_cbranch_scc1 .LBB278_3
; %bb.2:
	v_ashrrev_i32_e32 v2, 31, v7
	v_add_co_u32 v1, vcc_lo, s6, v7
	s_delay_alu instid0(VALU_DEP_2) | instskip(SKIP_3) | instid1(VALU_DEP_1)
	v_add_co_ci_u32_e32 v2, vcc_lo, s7, v2, vcc_lo
	global_load_u8 v1, v[1:2], off
	s_waitcnt vmcnt(0)
	v_and_b32_e32 v1, 1, v1
	v_cmp_eq_u32_e32 vcc_lo, 1, v1
	s_xor_b32 s2, vcc_lo, -1
	s_delay_alu instid0(SALU_CYCLE_1)
	s_or_not1_b32 s17, s2, exec_lo
	s_branch .LBB278_4
.LBB278_3:
	s_mov_b32 s17, -1
.LBB278_4:
	s_load_b64 s[14:15], s[0:1], 0x40
	v_and_b32_e32 v8, 7, v0
	v_mov_b32_e32 v6, 0
	s_waitcnt lgkmcnt(0)
	v_mul_lo_u32 v1, v7, s15
	s_delay_alu instid0(VALU_DEP_1) | instskip(NEXT) | instid1(VALU_DEP_1)
	v_ashrrev_i32_e32 v2, 31, v1
	v_lshlrev_b64 v[0:1], 1, v[1:2]
	v_lshlrev_b32_e32 v2, 5, v8
	s_delay_alu instid0(VALU_DEP_2) | instskip(NEXT) | instid1(VALU_DEP_3)
	v_add_co_u32 v0, vcc_lo, s4, v0
	v_add_co_ci_u32_e32 v1, vcc_lo, s5, v1, vcc_lo
	s_load_b128 s[4:7], s[0:1], 0x30
	s_delay_alu instid0(VALU_DEP_2) | instskip(NEXT) | instid1(VALU_DEP_2)
	v_add_co_u32 v4, vcc_lo, v0, v2
	v_add_co_ci_u32_e32 v5, vcc_lo, 0, v1, vcc_lo
	s_clause 0x1
	global_load_b128 v[0:3], v[4:5], off
	global_load_b128 v[35:38], v[4:5], off offset:16
	s_waitcnt vmcnt(1)
	v_lshrrev_b32_e32 v4, 16, v0
	v_and_b32_e32 v0, 0xffff, v0
	s_delay_alu instid0(VALU_DEP_2) | instskip(NEXT) | instid1(VALU_DEP_2)
	v_cvt_f32_u32_e32 v10, v4
	v_cvt_f32_u32_e32 v11, v0
	v_and_b32_e32 v0, 0xffff, v1
	v_lshrrev_b32_e32 v1, 16, v1
	s_delay_alu instid0(VALU_DEP_3) | instskip(SKIP_1) | instid1(VALU_DEP_4)
	v_cmp_lt_f32_e32 vcc_lo, v11, v10
	v_lshlrev_b32_e32 v9, 4, v8
	v_cvt_f32_u32_e32 v13, v0
	s_delay_alu instid0(VALU_DEP_4) | instskip(SKIP_1) | instid1(VALU_DEP_4)
	v_cvt_f32_u32_e32 v15, v1
	v_cndmask_b32_e32 v4, v11, v10, vcc_lo
	v_or_b32_e32 v12, 1, v9
	v_or_b32_e32 v14, 2, v9
	;; [unrolled: 1-line block ×5, first 2 shown]
	v_cndmask_b32_e32 v0, v9, v12, vcc_lo
	v_cmp_lt_f32_e32 vcc_lo, v4, v13
	v_or_b32_e32 v22, 6, v9
	v_or_b32_e32 v24, 7, v9
	;; [unrolled: 1-line block ×4, first 2 shown]
	v_dual_cndmask_b32 v1, v4, v13 :: v_dual_and_b32 v4, 0xffff, v2
	v_lshrrev_b32_e32 v2, 16, v2
	v_or_b32_e32 v30, 10, v9
	v_or_b32_e32 v32, 11, v9
	;; [unrolled: 1-line block ×3, first 2 shown]
	v_cvt_f32_u32_e32 v17, v4
	v_cvt_f32_u32_e32 v19, v2
	v_and_b32_e32 v2, 0xffff, v3
	v_or_b32_e32 v40, 15, v9
	s_delay_alu instid0(VALU_DEP_2) | instskip(SKIP_4) | instid1(VALU_DEP_2)
	v_cvt_f32_u32_e32 v21, v2
	v_cndmask_b32_e32 v0, v0, v14, vcc_lo
	v_cmp_lt_f32_e32 vcc_lo, v1, v15
	v_lshrrev_b32_e32 v2, 16, v3
	v_cndmask_b32_e32 v1, v1, v15, vcc_lo
	v_cvt_f32_u32_e32 v23, v2
	s_waitcnt vmcnt(0)
	v_and_b32_e32 v2, 0xffff, v35
	s_delay_alu instid0(VALU_DEP_1) | instskip(SKIP_4) | instid1(VALU_DEP_2)
	v_cvt_f32_u32_e32 v25, v2
	v_cndmask_b32_e32 v0, v0, v16, vcc_lo
	v_cmp_lt_f32_e32 vcc_lo, v1, v17
	v_lshrrev_b32_e32 v2, 16, v35
	v_cndmask_b32_e32 v1, v1, v17, vcc_lo
	v_cvt_f32_u32_e32 v27, v2
	v_cndmask_b32_e32 v0, v0, v18, vcc_lo
	v_and_b32_e32 v2, 0xffff, v36
	s_delay_alu instid0(VALU_DEP_4) | instskip(NEXT) | instid1(VALU_DEP_2)
	v_cmp_lt_f32_e32 vcc_lo, v1, v19
	v_cvt_f32_u32_e32 v29, v2
	v_lshrrev_b32_e32 v2, 16, v36
	v_cndmask_b32_e32 v1, v1, v19, vcc_lo
	v_or_b32_e32 v36, 13, v9
	s_delay_alu instid0(VALU_DEP_3) | instskip(SKIP_1) | instid1(VALU_DEP_4)
	v_cvt_f32_u32_e32 v31, v2
	v_cndmask_b32_e32 v0, v0, v20, vcc_lo
	v_cmp_lt_f32_e32 vcc_lo, v1, v21
	v_and_b32_e32 v2, 0xffff, v37
	v_cndmask_b32_e32 v1, v1, v21, vcc_lo
	s_delay_alu instid0(VALU_DEP_2) | instskip(SKIP_2) | instid1(VALU_DEP_4)
	v_cvt_f32_u32_e32 v33, v2
	v_cndmask_b32_e32 v0, v0, v22, vcc_lo
	v_lshrrev_b32_e32 v2, 16, v37
	v_cmp_lt_f32_e32 vcc_lo, v1, v23
	s_delay_alu instid0(VALU_DEP_2) | instskip(SKIP_2) | instid1(VALU_DEP_2)
	v_cvt_f32_u32_e32 v35, v2
	v_dual_cndmask_b32 v1, v1, v23 :: v_dual_and_b32 v2, 0xffff, v38
	v_cndmask_b32_e32 v0, v0, v24, vcc_lo
	v_cvt_f32_u32_e32 v37, v2
	s_delay_alu instid0(VALU_DEP_3) | instskip(SKIP_3) | instid1(VALU_DEP_3)
	v_cmp_lt_f32_e32 vcc_lo, v1, v25
	v_lshrrev_b32_e32 v2, 16, v38
	v_or_b32_e32 v38, 14, v9
	v_cndmask_b32_e32 v1, v1, v25, vcc_lo
	v_cvt_f32_u32_e32 v39, v2
	v_cndmask_b32_e32 v0, v0, v26, vcc_lo
	s_delay_alu instid0(VALU_DEP_3) | instskip(NEXT) | instid1(VALU_DEP_2)
	v_cmp_lt_f32_e32 vcc_lo, v1, v27
	v_dual_cndmask_b32 v1, v1, v27 :: v_dual_cndmask_b32 v0, v0, v28
	s_delay_alu instid0(VALU_DEP_1) | instskip(NEXT) | instid1(VALU_DEP_2)
	v_cmp_lt_f32_e32 vcc_lo, v1, v29
	v_dual_cndmask_b32 v1, v1, v29 :: v_dual_cndmask_b32 v0, v0, v30
	s_delay_alu instid0(VALU_DEP_1) | instskip(NEXT) | instid1(VALU_DEP_2)
	v_cmp_lt_f32_e32 vcc_lo, v1, v31
	v_dual_cndmask_b32 v1, v1, v31 :: v_dual_cndmask_b32 v0, v0, v32
	s_delay_alu instid0(VALU_DEP_1) | instskip(NEXT) | instid1(VALU_DEP_2)
	v_cmp_lt_f32_e32 vcc_lo, v1, v33
	v_dual_cndmask_b32 v1, v1, v33 :: v_dual_cndmask_b32 v0, v0, v34
	s_delay_alu instid0(VALU_DEP_1) | instskip(NEXT) | instid1(VALU_DEP_2)
	v_cmp_lt_f32_e32 vcc_lo, v1, v35
	v_dual_cndmask_b32 v1, v1, v35 :: v_dual_cndmask_b32 v0, v0, v36
	s_delay_alu instid0(VALU_DEP_1) | instskip(NEXT) | instid1(VALU_DEP_2)
	v_cmp_lt_f32_e32 vcc_lo, v1, v37
	v_dual_cndmask_b32 v1, v1, v37 :: v_dual_cndmask_b32 v0, v0, v38
	s_delay_alu instid0(VALU_DEP_1) | instskip(NEXT) | instid1(VALU_DEP_2)
	v_cmp_lt_f32_e32 vcc_lo, v1, v39
	v_dual_cndmask_b32 v1, v1, v39 :: v_dual_cndmask_b32 v0, v0, v40
	s_delay_alu instid0(VALU_DEP_1) | instskip(NEXT) | instid1(VALU_DEP_2)
	v_mov_b32_dpp v3, v1 quad_perm:[1,0,3,2] row_mask:0xf bank_mask:0xf
	v_mov_b32_dpp v2, v0 quad_perm:[1,0,3,2] row_mask:0xf bank_mask:0xf
	s_delay_alu instid0(VALU_DEP_2) | instskip(NEXT) | instid1(VALU_DEP_2)
	v_cmp_eq_f32_e64 s2, v1, v3
	v_cmp_lt_i32_e32 vcc_lo, v2, v0
	v_cmp_lt_f32_e64 s3, v1, v3
	s_delay_alu instid0(VALU_DEP_3)
	s_and_b32 s2, s2, vcc_lo
	s_delay_alu instid0(VALU_DEP_1) | instid1(SALU_CYCLE_1)
	s_or_b32 vcc_lo, s3, s2
	v_dual_cndmask_b32 v1, v1, v3 :: v_dual_cndmask_b32 v0, v0, v2
	s_delay_alu instid0(VALU_DEP_1) | instskip(NEXT) | instid1(VALU_DEP_2)
	v_mov_b32_dpp v2, v1 quad_perm:[2,3,0,1] row_mask:0xf bank_mask:0xf
	v_mov_b32_dpp v3, v0 quad_perm:[2,3,0,1] row_mask:0xf bank_mask:0xf
	s_delay_alu instid0(VALU_DEP_2) | instskip(NEXT) | instid1(VALU_DEP_2)
	v_cmp_eq_f32_e32 vcc_lo, v1, v2
	v_cmp_lt_i32_e64 s2, v3, v0
	v_cmp_lt_f32_e64 s3, v1, v2
	s_delay_alu instid0(VALU_DEP_2)
	s_and_b32 s2, vcc_lo, s2
	s_delay_alu instid0(VALU_DEP_1) | instid1(SALU_CYCLE_1)
	s_or_b32 vcc_lo, s3, s2
	s_waitcnt lgkmcnt(0)
	s_cmp_gt_i32 s4, 0
	v_cndmask_b32_e32 v2, v1, v2, vcc_lo
	v_cndmask_b32_e32 v0, v0, v3, vcc_lo
	v_cmp_eq_u32_e32 vcc_lo, 0, v8
	s_cselect_b32 s3, -1, 0
	s_cmp_lt_i32 s4, 1
	v_mov_b32_dpp v4, v2 row_half_mirror row_mask:0xf bank_mask:0xf
	v_mov_b32_dpp v41, v0 row_half_mirror row_mask:0xf bank_mask:0xf
	s_cbranch_scc1 .LBB278_16
; %bb.5:
	s_load_b128 s[8:11], s[0:1], 0x20
	s_delay_alu instid0(VALU_DEP_2) | instskip(NEXT) | instid1(VALU_DEP_2)
	v_cmp_eq_f32_e64 s0, v2, v4
	v_cmp_lt_i32_e64 s1, v41, v0
	v_cmp_lt_f32_e64 s2, v2, v4
	v_mul_lo_u32 v1, v7, s7
	v_mul_lo_u32 v3, v7, s14
	;; [unrolled: 1-line block ×3, first 2 shown]
	s_and_b32 s0, s0, s1
	v_mov_b32_e32 v6, 0
	s_or_b32 s0, s2, s0
	s_delay_alu instid0(SALU_CYCLE_1)
	v_cndmask_b32_e64 v0, v0, v41, s0
	v_cndmask_b32_e64 v41, v2, v4, s0
	s_and_saveexec_b32 s2, vcc_lo
	s_cbranch_execz .LBB278_7
; %bb.6:
	s_delay_alu instid0(VALU_DEP_1)
	v_sub_f32_e32 v50, v41, v41
	v_cmp_le_i32_e64 s0, s5, v0
	v_cmp_gt_i32_e64 s1, s6, v0
	v_subrev_nc_u32_e32 v51, s5, v0
	v_ashrrev_i32_e32 v6, 31, v5
	v_mul_f32_e32 v2, 0x3fb8aa3b, v50
	s_delay_alu instid0(VALU_DEP_4) | instskip(NEXT) | instid1(SALU_CYCLE_1)
	s_and_b32 s0, s0, s1
	s_and_b32 s0, s17, s0
	s_delay_alu instid0(VALU_DEP_1) | instskip(SKIP_2) | instid1(VALU_DEP_3)
	v_rndne_f32_e32 v46, v2
	v_fma_f32 v4, 0x3fb8aa3b, v50, -v2
	v_lshlrev_b64 v[48:49], 2, v[5:6]
	v_sub_f32_e32 v2, v2, v46
	s_delay_alu instid0(VALU_DEP_3) | instskip(NEXT) | instid1(VALU_DEP_1)
	v_fmamk_f32 v4, v50, 0x32a5705f, v4
	v_add_f32_e32 v4, v2, v4
	v_ashrrev_i32_e32 v2, 31, v1
	s_delay_alu instid0(VALU_DEP_2) | instskip(NEXT) | instid1(VALU_DEP_1)
	v_exp_f32_e32 v52, v4
	v_lshlrev_b64 v[44:45], 2, v[1:2]
	v_ashrrev_i32_e32 v4, 31, v3
	v_cvt_i32_f32_e32 v2, v46
	s_delay_alu instid0(VALU_DEP_2) | instskip(SKIP_2) | instid1(VALU_DEP_1)
	v_lshlrev_b64 v[46:47], 2, v[3:4]
	v_cndmask_b32_e64 v4, 0x80, v51, s0
	v_add_co_u32 v44, s0, s12, v44
	v_add_co_ci_u32_e64 v45, s0, s13, v45, s0
	s_delay_alu instid0(TRANS32_DEP_1) | instskip(SKIP_1) | instid1(VALU_DEP_1)
	v_ldexp_f32 v2, v52, v2
	v_cmp_ngt_f32_e64 s0, 0xc2ce8ed0, v50
	v_cndmask_b32_e64 v2, 0, v2, s0
	s_waitcnt lgkmcnt(0)
	v_add_co_u32 v46, s0, s8, v46
	s_delay_alu instid0(VALU_DEP_1) | instskip(SKIP_1) | instid1(VALU_DEP_1)
	v_add_co_ci_u32_e64 v47, s0, s9, v47, s0
	v_cmp_nlt_f32_e64 s0, 0x42b17218, v50
	v_cndmask_b32_e64 v6, 0x7f800000, v2, s0
	v_add_co_u32 v48, s0, s10, v48
	s_delay_alu instid0(VALU_DEP_1)
	v_add_co_ci_u32_e64 v49, s0, s11, v49, s0
	global_store_b32 v[46:47], v4, off
	global_store_b32 v[44:45], v6, off
	;; [unrolled: 1-line block ×3, first 2 shown]
.LBB278_7:
	s_or_b32 exec_lo, exec_lo, s2
	v_ashrrev_i32_e32 v4, 31, v0
	s_mov_b32 s1, exec_lo
	s_delay_alu instid0(VALU_DEP_1) | instskip(NEXT) | instid1(VALU_DEP_1)
	v_lshrrev_b32_e32 v2, 28, v4
	v_add_nc_u32_e32 v2, v0, v2
	s_delay_alu instid0(VALU_DEP_1) | instskip(NEXT) | instid1(VALU_DEP_1)
	v_ashrrev_i32_e32 v2, 4, v2
	v_lshrrev_b32_e32 v44, 29, v2
	s_delay_alu instid0(VALU_DEP_1) | instskip(NEXT) | instid1(VALU_DEP_1)
	v_add_nc_u32_e32 v44, v2, v44
	v_and_b32_e32 v44, -8, v44
	s_delay_alu instid0(VALU_DEP_1) | instskip(NEXT) | instid1(VALU_DEP_1)
	v_sub_nc_u32_e32 v44, v2, v44
	v_cmpx_eq_u32_e64 v8, v44
	s_cbranch_execz .LBB278_9
; %bb.8:
	v_lshrrev_b32_e32 v4, 25, v4
	v_lshlrev_b32_e32 v2, 4, v2
	s_delay_alu instid0(VALU_DEP_2) | instskip(NEXT) | instid1(VALU_DEP_2)
	v_add_nc_u32_e32 v4, v0, v4
	v_sub_nc_u32_e32 v0, v0, v2
	s_delay_alu instid0(VALU_DEP_2) | instskip(NEXT) | instid1(VALU_DEP_1)
	v_ashrrev_i32_e32 v2, 7, v4
	v_lshl_add_u32 v0, v2, 4, v0
	s_delay_alu instid0(VALU_DEP_1) | instskip(NEXT) | instid1(VALU_DEP_1)
	v_cmp_ne_u32_e64 s0, 15, v0
	v_cndmask_b32_e64 v39, 0xff800000, v39, s0
	v_cmp_ne_u32_e64 s0, 14, v0
	s_delay_alu instid0(VALU_DEP_1) | instskip(SKIP_1) | instid1(VALU_DEP_1)
	v_cndmask_b32_e64 v37, 0xff800000, v37, s0
	v_cmp_ne_u32_e64 s0, 13, v0
	v_cndmask_b32_e64 v35, 0xff800000, v35, s0
	v_cmp_ne_u32_e64 s0, 12, v0
	s_delay_alu instid0(VALU_DEP_1) | instskip(SKIP_1) | instid1(VALU_DEP_1)
	v_cndmask_b32_e64 v33, 0xff800000, v33, s0
	v_cmp_ne_u32_e64 s0, 11, v0
	v_cndmask_b32_e64 v31, 0xff800000, v31, s0
	v_cmp_ne_u32_e64 s0, 10, v0
	s_delay_alu instid0(VALU_DEP_1) | instskip(SKIP_1) | instid1(VALU_DEP_1)
	v_cndmask_b32_e64 v29, 0xff800000, v29, s0
	v_cmp_ne_u32_e64 s0, 9, v0
	v_cndmask_b32_e64 v27, 0xff800000, v27, s0
	v_cmp_ne_u32_e64 s0, 8, v0
	s_delay_alu instid0(VALU_DEP_1) | instskip(SKIP_1) | instid1(VALU_DEP_1)
	v_cndmask_b32_e64 v25, 0xff800000, v25, s0
	v_cmp_ne_u32_e64 s0, 7, v0
	v_cndmask_b32_e64 v23, 0xff800000, v23, s0
	v_cmp_ne_u32_e64 s0, 6, v0
	s_delay_alu instid0(VALU_DEP_1) | instskip(SKIP_1) | instid1(VALU_DEP_1)
	v_cndmask_b32_e64 v21, 0xff800000, v21, s0
	v_cmp_ne_u32_e64 s0, 5, v0
	v_cndmask_b32_e64 v19, 0xff800000, v19, s0
	v_cmp_ne_u32_e64 s0, 4, v0
	s_delay_alu instid0(VALU_DEP_1) | instskip(SKIP_1) | instid1(VALU_DEP_1)
	v_cndmask_b32_e64 v17, 0xff800000, v17, s0
	v_cmp_ne_u32_e64 s0, 3, v0
	v_cndmask_b32_e64 v15, 0xff800000, v15, s0
	v_cmp_ne_u32_e64 s0, 2, v0
	s_delay_alu instid0(VALU_DEP_1) | instskip(SKIP_1) | instid1(VALU_DEP_1)
	v_cndmask_b32_e64 v13, 0xff800000, v13, s0
	v_cmp_ne_u32_e64 s0, 1, v0
	v_cndmask_b32_e64 v10, 0xff800000, v10, s0
	v_cmp_ne_u32_e64 s0, 0, v0
	s_delay_alu instid0(VALU_DEP_1)
	v_cndmask_b32_e64 v11, 0xff800000, v11, s0
.LBB278_9:
	s_or_b32 exec_lo, exec_lo, s1
	s_cmp_eq_u32 s4, 1
	s_cbranch_scc1 .LBB278_16
; %bb.10:
	s_add_i32 s18, s18, s16
	v_add_nc_u32_e32 v0, 1, v5
	v_add3_u32 v42, s18, v43, v42
	v_add_nc_u32_e32 v2, 1, v3
	v_add_nc_u32_e32 v4, 1, v1
	s_add_i32 s14, s4, -1
	s_branch .LBB278_12
.LBB278_11:                             ;   in Loop: Header=BB278_12 Depth=1
	s_or_b32 exec_lo, exec_lo, s1
	v_add_nc_u32_e32 v42, s16, v42
	v_add_nc_u32_e32 v0, 1, v0
	;; [unrolled: 1-line block ×4, first 2 shown]
	s_add_i32 s14, s14, -1
	s_delay_alu instid0(SALU_CYCLE_1)
	s_cmp_eq_u32 s14, 0
	s_cbranch_scc1 .LBB278_16
.LBB278_12:                             ; =>This Inner Loop Header: Depth=1
	v_cmp_gt_f32_e64 s0, v10, v11
	s_delay_alu instid0(VALU_DEP_1) | instskip(SKIP_1) | instid1(VALU_DEP_2)
	v_cndmask_b32_e64 v3, v11, v10, s0
	v_cndmask_b32_e64 v1, v9, v12, s0
	v_cmp_gt_f32_e64 s0, v13, v3
	s_delay_alu instid0(VALU_DEP_1) | instskip(NEXT) | instid1(VALU_DEP_3)
	v_cndmask_b32_e64 v3, v3, v13, s0
	v_cndmask_b32_e64 v1, v1, v14, s0
	s_delay_alu instid0(VALU_DEP_2) | instskip(NEXT) | instid1(VALU_DEP_1)
	v_cmp_gt_f32_e64 s0, v15, v3
	v_cndmask_b32_e64 v3, v3, v15, s0
	s_delay_alu instid0(VALU_DEP_3) | instskip(NEXT) | instid1(VALU_DEP_2)
	v_cndmask_b32_e64 v1, v1, v16, s0
	v_cmp_gt_f32_e64 s0, v17, v3
	s_delay_alu instid0(VALU_DEP_1) | instskip(NEXT) | instid1(VALU_DEP_3)
	v_cndmask_b32_e64 v3, v3, v17, s0
	v_cndmask_b32_e64 v1, v1, v18, s0
	s_delay_alu instid0(VALU_DEP_2) | instskip(NEXT) | instid1(VALU_DEP_1)
	v_cmp_gt_f32_e64 s0, v19, v3
	v_cndmask_b32_e64 v3, v3, v19, s0
	s_delay_alu instid0(VALU_DEP_3) | instskip(NEXT) | instid1(VALU_DEP_2)
	;; [unrolled: 9-line block ×6, first 2 shown]
	v_cndmask_b32_e64 v1, v1, v36, s0
	v_cmp_gt_f32_e64 s0, v37, v3
	s_delay_alu instid0(VALU_DEP_1) | instskip(NEXT) | instid1(VALU_DEP_3)
	v_cndmask_b32_e64 v3, v3, v37, s0
	v_cndmask_b32_e64 v1, v1, v38, s0
	s_delay_alu instid0(VALU_DEP_2) | instskip(NEXT) | instid1(VALU_DEP_1)
	v_cmp_gt_f32_e64 s0, v39, v3
	v_cndmask_b32_e64 v1, v1, v40, s0
	v_cndmask_b32_e64 v3, v3, v39, s0
	s_delay_alu instid0(VALU_DEP_2) | instskip(NEXT) | instid1(VALU_DEP_2)
	v_mov_b32_dpp v5, v1 quad_perm:[1,0,3,2] row_mask:0xf bank_mask:0xf
	v_mov_b32_dpp v43, v3 quad_perm:[1,0,3,2] row_mask:0xf bank_mask:0xf
	s_delay_alu instid0(VALU_DEP_2) | instskip(NEXT) | instid1(VALU_DEP_2)
	v_cmp_lt_i32_e64 s0, v5, v1
	v_cmp_eq_f32_e64 s1, v3, v43
	v_cmp_lt_f32_e64 s2, v3, v43
	s_delay_alu instid0(VALU_DEP_2)
	s_and_b32 s0, s1, s0
	s_delay_alu instid0(VALU_DEP_1) | instid1(SALU_CYCLE_1)
	s_or_b32 s0, s2, s0
	s_delay_alu instid0(SALU_CYCLE_1) | instskip(SKIP_1) | instid1(VALU_DEP_2)
	v_cndmask_b32_e64 v3, v3, v43, s0
	v_cndmask_b32_e64 v5, v1, v5, s0
	v_mov_b32_dpp v1, v3 quad_perm:[2,3,0,1] row_mask:0xf bank_mask:0xf
	s_delay_alu instid0(VALU_DEP_2) | instskip(NEXT) | instid1(VALU_DEP_2)
	v_mov_b32_dpp v43, v5 quad_perm:[2,3,0,1] row_mask:0xf bank_mask:0xf
	v_cmp_eq_f32_e64 s0, v3, v1
	s_delay_alu instid0(VALU_DEP_2) | instskip(SKIP_1) | instid1(VALU_DEP_2)
	v_cmp_lt_i32_e64 s1, v43, v5
	v_cmp_lt_f32_e64 s2, v3, v1
	s_and_b32 s0, s0, s1
	s_delay_alu instid0(VALU_DEP_1) | instid1(SALU_CYCLE_1)
	s_or_b32 s0, s2, s0
	s_delay_alu instid0(SALU_CYCLE_1) | instskip(SKIP_1) | instid1(VALU_DEP_2)
	v_cndmask_b32_e64 v1, v3, v1, s0
	v_cndmask_b32_e64 v5, v5, v43, s0
	v_mov_b32_dpp v3, v1 row_half_mirror row_mask:0xf bank_mask:0xf
	s_delay_alu instid0(VALU_DEP_2) | instskip(NEXT) | instid1(VALU_DEP_2)
	v_mov_b32_dpp v43, v5 row_half_mirror row_mask:0xf bank_mask:0xf
	v_cmp_eq_f32_e64 s0, v1, v3
	s_delay_alu instid0(VALU_DEP_2) | instskip(SKIP_1) | instid1(VALU_DEP_2)
	v_cmp_lt_i32_e64 s1, v43, v5
	v_cmp_lt_f32_e64 s2, v1, v3
	s_and_b32 s0, s0, s1
	s_delay_alu instid0(VALU_DEP_1) | instid1(SALU_CYCLE_1)
	s_or_b32 s0, s2, s0
	s_delay_alu instid0(SALU_CYCLE_1)
	v_cndmask_b32_e64 v43, v5, v43, s0
	s_and_saveexec_b32 s2, vcc_lo
	s_cbranch_execz .LBB278_14
; %bb.13:                               ;   in Loop: Header=BB278_12 Depth=1
	v_cndmask_b32_e64 v1, v1, v3, s0
	s_delay_alu instid0(VALU_DEP_2) | instskip(SKIP_4) | instid1(VALU_DEP_4)
	v_cmp_le_i32_e64 s0, s5, v43
	v_cmp_gt_i32_e64 s1, s6, v43
	v_ashrrev_i32_e32 v5, 31, v4
	v_subrev_nc_u32_e32 v51, s5, v43
	v_sub_f32_e32 v50, v1, v41
	s_and_b32 s0, s0, s1
	s_delay_alu instid0(SALU_CYCLE_1) | instskip(NEXT) | instid1(VALU_DEP_1)
	s_and_b32 s0, s17, s0
	v_mul_f32_e32 v1, 0x3fb8aa3b, v50
	s_delay_alu instid0(VALU_DEP_1) | instskip(SKIP_1) | instid1(VALU_DEP_2)
	v_fma_f32 v3, 0x3fb8aa3b, v50, -v1
	v_rndne_f32_e32 v44, v1
	v_fmac_f32_e32 v3, 0x32a5705f, v50
	s_delay_alu instid0(VALU_DEP_2) | instskip(SKIP_2) | instid1(VALU_DEP_3)
	v_sub_f32_e32 v1, v1, v44
	v_cvt_i32_f32_e32 v49, v44
	v_lshlrev_b64 v[44:45], 2, v[4:5]
	v_add_f32_e32 v1, v1, v3
	v_ashrrev_i32_e32 v3, 31, v2
	s_delay_alu instid0(VALU_DEP_2) | instskip(SKIP_1) | instid1(VALU_DEP_2)
	v_exp_f32_e32 v48, v1
	v_ashrrev_i32_e32 v1, 31, v0
	v_lshlrev_b64 v[46:47], 2, v[2:3]
	s_waitcnt_depctr 0xfff
	v_ldexp_f32 v3, v48, v49
	v_lshlrev_b64 v[48:49], 2, v[0:1]
	v_cndmask_b32_e64 v1, 0x80, v51, s0
	v_cmp_ngt_f32_e64 s0, 0xc2ce8ed0, v50
	s_delay_alu instid0(VALU_DEP_1) | instskip(SKIP_1) | instid1(VALU_DEP_1)
	v_cndmask_b32_e64 v3, 0, v3, s0
	v_add_co_u32 v44, s0, s12, v44
	v_add_co_ci_u32_e64 v45, s0, s13, v45, s0
	v_cmp_nlt_f32_e64 s0, 0x42b17218, v50
	s_delay_alu instid0(VALU_DEP_1) | instskip(SKIP_2) | instid1(VALU_DEP_1)
	v_cndmask_b32_e64 v3, 0x7f800000, v3, s0
	s_waitcnt lgkmcnt(0)
	v_add_co_u32 v46, s0, s8, v46
	v_add_co_ci_u32_e64 v47, s0, s9, v47, s0
	s_delay_alu instid0(VALU_DEP_3) | instskip(SKIP_1) | instid1(VALU_DEP_1)
	v_add_f32_e32 v6, v6, v3
	v_add_co_u32 v48, s0, s10, v48
	v_add_co_ci_u32_e64 v49, s0, s11, v49, s0
	global_store_b32 v[44:45], v3, off
	global_store_b32 v[46:47], v1, off
	;; [unrolled: 1-line block ×3, first 2 shown]
.LBB278_14:                             ;   in Loop: Header=BB278_12 Depth=1
	s_or_b32 exec_lo, exec_lo, s2
	s_delay_alu instid0(VALU_DEP_1) | instskip(SKIP_1) | instid1(VALU_DEP_1)
	v_ashrrev_i32_e32 v3, 31, v43
	s_mov_b32 s1, exec_lo
	v_lshrrev_b32_e32 v1, 28, v3
	s_delay_alu instid0(VALU_DEP_1) | instskip(NEXT) | instid1(VALU_DEP_1)
	v_add_nc_u32_e32 v1, v43, v1
	v_ashrrev_i32_e32 v1, 4, v1
	s_delay_alu instid0(VALU_DEP_1) | instskip(NEXT) | instid1(VALU_DEP_1)
	v_lshrrev_b32_e32 v5, 29, v1
	v_add_nc_u32_e32 v5, v1, v5
	s_delay_alu instid0(VALU_DEP_1) | instskip(NEXT) | instid1(VALU_DEP_1)
	v_and_b32_e32 v5, -8, v5
	v_sub_nc_u32_e32 v5, v1, v5
	s_delay_alu instid0(VALU_DEP_1)
	v_cmpx_eq_u32_e64 v8, v5
	s_cbranch_execz .LBB278_11
; %bb.15:                               ;   in Loop: Header=BB278_12 Depth=1
	v_lshrrev_b32_e32 v3, 25, v3
	v_lshlrev_b32_e32 v1, 4, v1
	s_delay_alu instid0(VALU_DEP_2) | instskip(NEXT) | instid1(VALU_DEP_2)
	v_add_nc_u32_e32 v3, v43, v3
	v_sub_nc_u32_e32 v1, v43, v1
	s_delay_alu instid0(VALU_DEP_2) | instskip(NEXT) | instid1(VALU_DEP_1)
	v_ashrrev_i32_e32 v3, 7, v3
	v_lshl_add_u32 v1, v3, 4, v1
	s_delay_alu instid0(VALU_DEP_1) | instskip(NEXT) | instid1(VALU_DEP_1)
	v_cmp_ne_u32_e64 s0, 15, v1
	v_cndmask_b32_e64 v39, 0xff800000, v39, s0
	v_cmp_ne_u32_e64 s0, 14, v1
	s_delay_alu instid0(VALU_DEP_1) | instskip(SKIP_1) | instid1(VALU_DEP_1)
	v_cndmask_b32_e64 v37, 0xff800000, v37, s0
	v_cmp_ne_u32_e64 s0, 13, v1
	v_cndmask_b32_e64 v35, 0xff800000, v35, s0
	v_cmp_ne_u32_e64 s0, 12, v1
	s_delay_alu instid0(VALU_DEP_1) | instskip(SKIP_1) | instid1(VALU_DEP_1)
	v_cndmask_b32_e64 v33, 0xff800000, v33, s0
	;; [unrolled: 5-line block ×7, first 2 shown]
	v_cmp_ne_u32_e64 s0, 1, v1
	v_cndmask_b32_e64 v10, 0xff800000, v10, s0
	v_cmp_ne_u32_e64 s0, 0, v1
	s_delay_alu instid0(VALU_DEP_1)
	v_cndmask_b32_e64 v11, 0xff800000, v11, s0
	s_branch .LBB278_11
.LBB278_16:
	v_cmp_eq_u32_e32 vcc_lo, 0, v8
	v_cmp_neq_f32_e64 s0, 0, v6
	s_delay_alu instid0(VALU_DEP_1) | instskip(NEXT) | instid1(SALU_CYCLE_1)
	s_and_b32 s0, vcc_lo, s0
	s_and_b32 exec_lo, exec_lo, s0
	s_cbranch_execz .LBB278_20
; %bb.17:
	s_and_not1_b32 vcc_lo, exec_lo, s3
	s_cbranch_vccnz .LBB278_20
; %bb.18:
	v_div_scale_f32 v1, null, v6, v6, 1.0
	v_div_scale_f32 v3, vcc_lo, 1.0, v6, 1.0
	s_delay_alu instid0(VALU_DEP_2) | instskip(SKIP_2) | instid1(VALU_DEP_1)
	v_rcp_f32_e32 v2, v1
	s_waitcnt_depctr 0xfff
	v_fma_f32 v0, -v1, v2, 1.0
	v_fmac_f32_e32 v2, v0, v2
	v_mul_lo_u32 v0, v7, s7
	s_delay_alu instid0(VALU_DEP_2) | instskip(NEXT) | instid1(VALU_DEP_1)
	v_mul_f32_e32 v4, v3, v2
	v_fma_f32 v5, -v1, v4, v3
	s_delay_alu instid0(VALU_DEP_1) | instskip(NEXT) | instid1(VALU_DEP_1)
	v_fmac_f32_e32 v4, v5, v2
	v_fma_f32 v3, -v1, v4, v3
	v_ashrrev_i32_e32 v1, 31, v0
	s_delay_alu instid0(VALU_DEP_2) | instskip(NEXT) | instid1(VALU_DEP_2)
	v_div_fmas_f32 v2, v3, v2, v4
	v_lshlrev_b64 v[0:1], 2, v[0:1]
	s_delay_alu instid0(VALU_DEP_2) | instskip(NEXT) | instid1(VALU_DEP_2)
	v_div_fixup_f32 v2, v2, v6, 1.0
	v_add_co_u32 v0, vcc_lo, s12, v0
	s_delay_alu instid0(VALU_DEP_3)
	v_add_co_ci_u32_e32 v1, vcc_lo, s13, v1, vcc_lo
.LBB278_19:                             ; =>This Inner Loop Header: Depth=1
	global_load_b32 v3, v[0:1], off
	s_add_i32 s4, s4, -1
	s_delay_alu instid0(SALU_CYCLE_1)
	s_cmp_lg_u32 s4, 0
	s_waitcnt vmcnt(0)
	v_mul_f32_e32 v3, v2, v3
	global_store_b32 v[0:1], v3, off
	v_add_co_u32 v0, vcc_lo, v0, 4
	v_add_co_ci_u32_e32 v1, vcc_lo, 0, v1, vcc_lo
	s_cbranch_scc1 .LBB278_19
.LBB278_20:
	s_nop 0
	s_sendmsg sendmsg(MSG_DEALLOC_VGPRS)
	s_endpgm
	.section	.rodata,"a",@progbits
	.p2align	6, 0x0
	.amdhsa_kernel _ZN4vllm3moe17topkGatingSoftmaxItLi16ELi128ELi8ELi32ELb1ELi0ELNS0_23SharedExpertScoringFuncE0EEEvPKT_PKbPfiPiS9_iiiiii
		.amdhsa_group_segment_fixed_size 0
		.amdhsa_private_segment_fixed_size 0
		.amdhsa_kernarg_size 72
		.amdhsa_user_sgpr_count 15
		.amdhsa_user_sgpr_dispatch_ptr 0
		.amdhsa_user_sgpr_queue_ptr 0
		.amdhsa_user_sgpr_kernarg_segment_ptr 1
		.amdhsa_user_sgpr_dispatch_id 0
		.amdhsa_user_sgpr_private_segment_size 0
		.amdhsa_wavefront_size32 1
		.amdhsa_uses_dynamic_stack 0
		.amdhsa_enable_private_segment 0
		.amdhsa_system_sgpr_workgroup_id_x 1
		.amdhsa_system_sgpr_workgroup_id_y 0
		.amdhsa_system_sgpr_workgroup_id_z 0
		.amdhsa_system_sgpr_workgroup_info 0
		.amdhsa_system_vgpr_workitem_id 1
		.amdhsa_next_free_vgpr 53
		.amdhsa_next_free_sgpr 19
		.amdhsa_reserve_vcc 1
		.amdhsa_float_round_mode_32 0
		.amdhsa_float_round_mode_16_64 0
		.amdhsa_float_denorm_mode_32 3
		.amdhsa_float_denorm_mode_16_64 3
		.amdhsa_dx10_clamp 1
		.amdhsa_ieee_mode 1
		.amdhsa_fp16_overflow 0
		.amdhsa_workgroup_processor_mode 1
		.amdhsa_memory_ordered 1
		.amdhsa_forward_progress 0
		.amdhsa_shared_vgpr_count 0
		.amdhsa_exception_fp_ieee_invalid_op 0
		.amdhsa_exception_fp_denorm_src 0
		.amdhsa_exception_fp_ieee_div_zero 0
		.amdhsa_exception_fp_ieee_overflow 0
		.amdhsa_exception_fp_ieee_underflow 0
		.amdhsa_exception_fp_ieee_inexact 0
		.amdhsa_exception_int_div_zero 0
	.end_amdhsa_kernel
	.section	.text._ZN4vllm3moe17topkGatingSoftmaxItLi16ELi128ELi8ELi32ELb1ELi0ELNS0_23SharedExpertScoringFuncE0EEEvPKT_PKbPfiPiS9_iiiiii,"axG",@progbits,_ZN4vllm3moe17topkGatingSoftmaxItLi16ELi128ELi8ELi32ELb1ELi0ELNS0_23SharedExpertScoringFuncE0EEEvPKT_PKbPfiPiS9_iiiiii,comdat
.Lfunc_end278:
	.size	_ZN4vllm3moe17topkGatingSoftmaxItLi16ELi128ELi8ELi32ELb1ELi0ELNS0_23SharedExpertScoringFuncE0EEEvPKT_PKbPfiPiS9_iiiiii, .Lfunc_end278-_ZN4vllm3moe17topkGatingSoftmaxItLi16ELi128ELi8ELi32ELb1ELi0ELNS0_23SharedExpertScoringFuncE0EEEvPKT_PKbPfiPiS9_iiiiii
                                        ; -- End function
	.section	.AMDGPU.csdata,"",@progbits
; Kernel info:
; codeLenInByte = 3552
; NumSgprs: 21
; NumVgprs: 53
; ScratchSize: 0
; MemoryBound: 0
; FloatMode: 240
; IeeeMode: 1
; LDSByteSize: 0 bytes/workgroup (compile time only)
; SGPRBlocks: 2
; VGPRBlocks: 6
; NumSGPRsForWavesPerEU: 21
; NumVGPRsForWavesPerEU: 53
; Occupancy: 16
; WaveLimiterHint : 0
; COMPUTE_PGM_RSRC2:SCRATCH_EN: 0
; COMPUTE_PGM_RSRC2:USER_SGPR: 15
; COMPUTE_PGM_RSRC2:TRAP_HANDLER: 0
; COMPUTE_PGM_RSRC2:TGID_X_EN: 1
; COMPUTE_PGM_RSRC2:TGID_Y_EN: 0
; COMPUTE_PGM_RSRC2:TGID_Z_EN: 0
; COMPUTE_PGM_RSRC2:TIDIG_COMP_CNT: 1
	.section	.text._ZN4vllm3moe17topkGatingSoftmaxItLi16ELi128ELi8ELi32ELb0ELi0ELNS0_23SharedExpertScoringFuncE0EEEvPKT_PKbPfiPiS9_iiiiii,"axG",@progbits,_ZN4vllm3moe17topkGatingSoftmaxItLi16ELi128ELi8ELi32ELb0ELi0ELNS0_23SharedExpertScoringFuncE0EEEvPKT_PKbPfiPiS9_iiiiii,comdat
	.protected	_ZN4vllm3moe17topkGatingSoftmaxItLi16ELi128ELi8ELi32ELb0ELi0ELNS0_23SharedExpertScoringFuncE0EEEvPKT_PKbPfiPiS9_iiiiii ; -- Begin function _ZN4vllm3moe17topkGatingSoftmaxItLi16ELi128ELi8ELi32ELb0ELi0ELNS0_23SharedExpertScoringFuncE0EEEvPKT_PKbPfiPiS9_iiiiii
	.globl	_ZN4vllm3moe17topkGatingSoftmaxItLi16ELi128ELi8ELi32ELb0ELi0ELNS0_23SharedExpertScoringFuncE0EEEvPKT_PKbPfiPiS9_iiiiii
	.p2align	8
	.type	_ZN4vllm3moe17topkGatingSoftmaxItLi16ELi128ELi8ELi32ELb0ELi0ELNS0_23SharedExpertScoringFuncE0EEEvPKT_PKbPfiPiS9_iiiiii,@function
_ZN4vllm3moe17topkGatingSoftmaxItLi16ELi128ELi8ELi32ELb0ELi0ELNS0_23SharedExpertScoringFuncE0EEEvPKT_PKbPfiPiS9_iiiiii: ; @_ZN4vllm3moe17topkGatingSoftmaxItLi16ELi128ELi8ELi32ELb0ELi0ELNS0_23SharedExpertScoringFuncE0EEEvPKT_PKbPfiPiS9_iiiiii
; %bb.0:
	s_load_b32 s16, s[0:1], 0x18
	v_bfe_u32 v1, v0, 10, 10
	v_and_b32_e32 v0, 0x3ff, v0
	s_lshl_b32 s18, s15, 5
	s_mov_b32 s2, exec_lo
	s_delay_alu instid0(VALU_DEP_2) | instskip(NEXT) | instid1(VALU_DEP_2)
	v_lshlrev_b32_e32 v42, 2, v1
	v_lshrrev_b32_e32 v43, 3, v0
	s_delay_alu instid0(VALU_DEP_1) | instskip(SKIP_1) | instid1(VALU_DEP_1)
	v_add3_u32 v7, s18, v42, v43
	s_waitcnt lgkmcnt(0)
	v_cmpx_gt_i32_e64 s16, v7
	s_cbranch_execz .LBB279_21
; %bb.1:
	s_clause 0x1
	s_load_b128 s[4:7], s[0:1], 0x0
	s_load_b64 s[12:13], s[0:1], 0x10
	s_waitcnt lgkmcnt(0)
	s_cmp_eq_u64 s[6:7], 0
	s_cbranch_scc1 .LBB279_3
; %bb.2:
	v_ashrrev_i32_e32 v2, 31, v7
	v_add_co_u32 v1, vcc_lo, s6, v7
	s_delay_alu instid0(VALU_DEP_2) | instskip(SKIP_3) | instid1(VALU_DEP_1)
	v_add_co_ci_u32_e32 v2, vcc_lo, s7, v2, vcc_lo
	global_load_u8 v1, v[1:2], off
	s_waitcnt vmcnt(0)
	v_and_b32_e32 v1, 1, v1
	v_cmp_eq_u32_e32 vcc_lo, 1, v1
	s_xor_b32 s2, vcc_lo, -1
	s_delay_alu instid0(SALU_CYCLE_1)
	s_or_not1_b32 s17, s2, exec_lo
	s_branch .LBB279_4
.LBB279_3:
	s_mov_b32 s17, -1
.LBB279_4:
	s_load_b64 s[14:15], s[0:1], 0x40
	v_and_b32_e32 v8, 7, v0
	v_mov_b32_e32 v6, 0
	s_delay_alu instid0(VALU_DEP_2) | instskip(NEXT) | instid1(VALU_DEP_1)
	v_lshlrev_b32_e32 v26, 4, v8
	v_or_b32_e32 v27, 1, v26
	v_or_b32_e32 v28, 2, v26
	;; [unrolled: 1-line block ×6, first 2 shown]
	s_waitcnt lgkmcnt(0)
	v_mul_lo_u32 v1, v7, s15
	s_delay_alu instid0(VALU_DEP_1) | instskip(NEXT) | instid1(VALU_DEP_1)
	v_ashrrev_i32_e32 v2, 31, v1
	v_lshlrev_b64 v[0:1], 1, v[1:2]
	v_lshlrev_b32_e32 v2, 5, v8
	s_delay_alu instid0(VALU_DEP_2) | instskip(NEXT) | instid1(VALU_DEP_3)
	v_add_co_u32 v0, vcc_lo, s4, v0
	v_add_co_ci_u32_e32 v1, vcc_lo, s5, v1, vcc_lo
	s_load_b128 s[4:7], s[0:1], 0x30
	s_delay_alu instid0(VALU_DEP_2) | instskip(NEXT) | instid1(VALU_DEP_2)
	v_add_co_u32 v4, vcc_lo, v0, v2
	v_add_co_ci_u32_e32 v5, vcc_lo, 0, v1, vcc_lo
	s_clause 0x1
	global_load_b128 v[0:3], v[4:5], off
	global_load_b128 v[37:40], v[4:5], off offset:16
	s_waitcnt vmcnt(1)
	v_lshrrev_b32_e32 v4, 16, v0
	v_and_b32_e32 v0, 0xffff, v0
	s_delay_alu instid0(VALU_DEP_2) | instskip(NEXT) | instid1(VALU_DEP_2)
	v_cvt_f32_u32_e32 v21, v4
	v_cvt_f32_u32_e32 v23, v0
	v_and_b32_e32 v0, 0xffff, v1
	v_lshrrev_b32_e32 v1, 16, v1
	s_delay_alu instid0(VALU_DEP_3) | instskip(NEXT) | instid1(VALU_DEP_3)
	v_cmp_lt_f32_e32 vcc_lo, v23, v21
	v_cvt_f32_u32_e32 v25, v0
	s_delay_alu instid0(VALU_DEP_3) | instskip(SKIP_2) | instid1(VALU_DEP_2)
	v_cvt_f32_u32_e32 v24, v1
	v_cndmask_b32_e32 v4, v23, v21, vcc_lo
	v_cndmask_b32_e32 v0, v26, v27, vcc_lo
	v_cmp_lt_f32_e32 vcc_lo, v4, v25
	v_dual_cndmask_b32 v1, v4, v25 :: v_dual_and_b32 v4, 0xffff, v2
	v_lshrrev_b32_e32 v2, 16, v2
	s_delay_alu instid0(VALU_DEP_2) | instskip(NEXT) | instid1(VALU_DEP_2)
	v_cvt_f32_u32_e32 v22, v4
	v_cvt_f32_u32_e32 v20, v2
	v_and_b32_e32 v2, 0xffff, v3
	s_delay_alu instid0(VALU_DEP_1) | instskip(SKIP_1) | instid1(VALU_DEP_1)
	v_cvt_f32_u32_e32 v19, v2
	v_lshrrev_b32_e32 v2, 16, v3
	v_cvt_f32_u32_e32 v18, v2
	s_waitcnt vmcnt(0)
	v_and_b32_e32 v2, 0xffff, v37
	s_delay_alu instid0(VALU_DEP_1) | instskip(SKIP_3) | instid1(VALU_DEP_3)
	v_cvt_f32_u32_e32 v17, v2
	v_lshrrev_b32_e32 v2, 16, v37
	v_cndmask_b32_e32 v0, v0, v28, vcc_lo
	v_cmp_lt_f32_e32 vcc_lo, v1, v24
	v_cvt_f32_u32_e32 v16, v2
	v_dual_cndmask_b32 v1, v1, v24 :: v_dual_and_b32 v2, 0xffff, v38
	s_delay_alu instid0(VALU_DEP_1) | instskip(SKIP_1) | instid1(VALU_DEP_1)
	v_cvt_f32_u32_e32 v15, v2
	v_lshrrev_b32_e32 v2, 16, v38
	v_cvt_f32_u32_e32 v14, v2
	v_cndmask_b32_e32 v0, v0, v29, vcc_lo
	v_cmp_lt_f32_e32 vcc_lo, v1, v22
	v_dual_cndmask_b32 v1, v1, v22 :: v_dual_and_b32 v2, 0xffff, v39
	s_delay_alu instid0(VALU_DEP_1) | instskip(SKIP_2) | instid1(VALU_DEP_4)
	v_cvt_f32_u32_e32 v12, v2
	v_lshrrev_b32_e32 v2, 16, v39
	v_cndmask_b32_e32 v0, v0, v30, vcc_lo
	v_cmp_lt_f32_e32 vcc_lo, v1, v20
	s_delay_alu instid0(VALU_DEP_3) | instskip(SKIP_2) | instid1(VALU_DEP_2)
	v_cvt_f32_u32_e32 v11, v2
	v_and_b32_e32 v2, 0xffff, v40
	v_cndmask_b32_e32 v1, v1, v20, vcc_lo
	v_cvt_f32_u32_e32 v10, v2
	v_lshrrev_b32_e32 v2, 16, v40
	s_delay_alu instid0(VALU_DEP_1) | instskip(SKIP_2) | instid1(VALU_DEP_2)
	v_cvt_f32_u32_e32 v9, v2
	v_cndmask_b32_e32 v0, v0, v31, vcc_lo
	v_cmp_lt_f32_e32 vcc_lo, v1, v19
	v_dual_cndmask_b32 v1, v1, v19 :: v_dual_cndmask_b32 v0, v0, v32
	s_delay_alu instid0(VALU_DEP_1)
	v_cmp_lt_f32_e32 vcc_lo, v1, v18
	v_cndmask_b32_e32 v1, v1, v18, vcc_lo
	v_or_b32_e32 v33, 7, v26
	v_or_b32_e32 v34, 8, v26
	;; [unrolled: 1-line block ×5, first 2 shown]
	v_cndmask_b32_e32 v0, v0, v33, vcc_lo
	v_cmp_lt_f32_e32 vcc_lo, v1, v17
	v_or_b32_e32 v38, 12, v26
	v_or_b32_e32 v39, 13, v26
	;; [unrolled: 1-line block ×4, first 2 shown]
	v_dual_cndmask_b32 v1, v1, v17 :: v_dual_cndmask_b32 v0, v0, v34
	s_delay_alu instid0(VALU_DEP_1) | instskip(NEXT) | instid1(VALU_DEP_2)
	v_cmp_lt_f32_e32 vcc_lo, v1, v16
	v_dual_cndmask_b32 v1, v1, v16 :: v_dual_cndmask_b32 v0, v0, v35
	s_delay_alu instid0(VALU_DEP_1) | instskip(NEXT) | instid1(VALU_DEP_2)
	v_cmp_lt_f32_e32 vcc_lo, v1, v15
	;; [unrolled: 3-line block ×4, first 2 shown]
	v_dual_cndmask_b32 v1, v1, v12 :: v_dual_cndmask_b32 v0, v0, v38
	s_delay_alu instid0(VALU_DEP_1) | instskip(SKIP_1) | instid1(VALU_DEP_3)
	v_cmp_lt_f32_e32 vcc_lo, v1, v11
	v_cndmask_b32_e32 v1, v1, v11, vcc_lo
	v_cndmask_b32_e32 v0, v0, v39, vcc_lo
	s_delay_alu instid0(VALU_DEP_2) | instskip(NEXT) | instid1(VALU_DEP_2)
	v_cmp_lt_f32_e32 vcc_lo, v1, v10
	v_dual_cndmask_b32 v1, v1, v10 :: v_dual_cndmask_b32 v0, v0, v40
	s_delay_alu instid0(VALU_DEP_1) | instskip(NEXT) | instid1(VALU_DEP_2)
	v_cmp_lt_f32_e32 vcc_lo, v1, v9
	v_cndmask_b32_e32 v0, v0, v41, vcc_lo
	v_cndmask_b32_e32 v1, v1, v9, vcc_lo
	s_delay_alu instid0(VALU_DEP_2) | instskip(NEXT) | instid1(VALU_DEP_2)
	v_mov_b32_dpp v2, v0 quad_perm:[1,0,3,2] row_mask:0xf bank_mask:0xf
	v_mov_b32_dpp v3, v1 quad_perm:[1,0,3,2] row_mask:0xf bank_mask:0xf
	s_delay_alu instid0(VALU_DEP_2) | instskip(NEXT) | instid1(VALU_DEP_2)
	v_cmp_lt_i32_e32 vcc_lo, v2, v0
	v_cmp_eq_f32_e64 s2, v1, v3
	v_cmp_lt_f32_e64 s3, v1, v3
	s_delay_alu instid0(VALU_DEP_2)
	s_and_b32 s2, s2, vcc_lo
	s_delay_alu instid0(VALU_DEP_1) | instid1(SALU_CYCLE_1)
	s_or_b32 vcc_lo, s3, s2
	v_dual_cndmask_b32 v1, v1, v3 :: v_dual_cndmask_b32 v0, v0, v2
	s_delay_alu instid0(VALU_DEP_1) | instskip(NEXT) | instid1(VALU_DEP_2)
	v_mov_b32_dpp v2, v1 quad_perm:[2,3,0,1] row_mask:0xf bank_mask:0xf
	v_mov_b32_dpp v3, v0 quad_perm:[2,3,0,1] row_mask:0xf bank_mask:0xf
	s_delay_alu instid0(VALU_DEP_2) | instskip(NEXT) | instid1(VALU_DEP_2)
	v_cmp_eq_f32_e32 vcc_lo, v1, v2
	v_cmp_lt_i32_e64 s2, v3, v0
	v_cmp_lt_f32_e64 s3, v1, v2
	s_delay_alu instid0(VALU_DEP_2)
	s_and_b32 s2, vcc_lo, s2
	s_delay_alu instid0(VALU_DEP_1) | instid1(SALU_CYCLE_1)
	s_or_b32 vcc_lo, s3, s2
	v_dual_cndmask_b32 v1, v1, v2 :: v_dual_cndmask_b32 v0, v0, v3
	s_delay_alu instid0(VALU_DEP_1) | instskip(NEXT) | instid1(VALU_DEP_2)
	v_mov_b32_dpp v3, v1 row_half_mirror row_mask:0xf bank_mask:0xf
	v_mov_b32_dpp v2, v0 row_half_mirror row_mask:0xf bank_mask:0xf
	s_delay_alu instid0(VALU_DEP_2) | instskip(NEXT) | instid1(VALU_DEP_2)
	v_cmp_eq_f32_e32 vcc_lo, v1, v3
	v_cmp_lt_i32_e64 s2, v2, v0
	v_cmp_lt_f32_e64 s3, v1, v3
	s_delay_alu instid0(VALU_DEP_2) | instskip(SKIP_1) | instid1(VALU_DEP_2)
	s_and_b32 s2, vcc_lo, s2
	v_cmp_eq_u32_e32 vcc_lo, 0, v8
	s_or_b32 s2, s3, s2
	s_waitcnt lgkmcnt(0)
	s_cmp_gt_i32 s4, 0
	v_cndmask_b32_e64 v13, v1, v3, s2
	s_cselect_b32 s3, -1, 0
	s_cmp_lt_i32 s4, 1
	s_cbranch_scc1 .LBB279_16
; %bb.5:
	s_load_b128 s[8:11], s[0:1], 0x20
	v_mul_lo_u32 v1, v7, s7
	v_mul_lo_u32 v3, v7, s14
	;; [unrolled: 1-line block ×3, first 2 shown]
	v_cndmask_b32_e64 v0, v0, v2, s2
	v_mov_b32_e32 v6, 0
	s_and_saveexec_b32 s2, vcc_lo
	s_cbranch_execz .LBB279_7
; %bb.6:
	v_sub_f32_e32 v50, v13, v13
	v_cmp_le_i32_e64 s0, s5, v0
	v_cmp_gt_i32_e64 s1, s6, v0
	v_subrev_nc_u32_e32 v51, s5, v0
	v_ashrrev_i32_e32 v6, 31, v5
	v_mul_f32_e32 v2, 0x3fb8aa3b, v50
	s_delay_alu instid0(VALU_DEP_4) | instskip(NEXT) | instid1(SALU_CYCLE_1)
	s_and_b32 s0, s0, s1
	s_and_b32 s0, s17, s0
	s_delay_alu instid0(VALU_DEP_1) | instskip(SKIP_2) | instid1(VALU_DEP_3)
	v_rndne_f32_e32 v46, v2
	v_fma_f32 v4, 0x3fb8aa3b, v50, -v2
	v_lshlrev_b64 v[48:49], 2, v[5:6]
	v_sub_f32_e32 v2, v2, v46
	s_delay_alu instid0(VALU_DEP_3) | instskip(NEXT) | instid1(VALU_DEP_1)
	v_fmamk_f32 v4, v50, 0x32a5705f, v4
	v_add_f32_e32 v4, v2, v4
	v_ashrrev_i32_e32 v2, 31, v1
	s_delay_alu instid0(VALU_DEP_2) | instskip(NEXT) | instid1(VALU_DEP_1)
	v_exp_f32_e32 v52, v4
	v_lshlrev_b64 v[44:45], 2, v[1:2]
	v_ashrrev_i32_e32 v4, 31, v3
	v_cvt_i32_f32_e32 v2, v46
	s_delay_alu instid0(VALU_DEP_2) | instskip(SKIP_2) | instid1(VALU_DEP_1)
	v_lshlrev_b64 v[46:47], 2, v[3:4]
	v_cndmask_b32_e64 v4, 0x80, v51, s0
	v_add_co_u32 v44, s0, s12, v44
	v_add_co_ci_u32_e64 v45, s0, s13, v45, s0
	s_delay_alu instid0(TRANS32_DEP_1) | instskip(SKIP_1) | instid1(VALU_DEP_1)
	v_ldexp_f32 v2, v52, v2
	v_cmp_ngt_f32_e64 s0, 0xc2ce8ed0, v50
	v_cndmask_b32_e64 v2, 0, v2, s0
	s_waitcnt lgkmcnt(0)
	v_add_co_u32 v46, s0, s8, v46
	s_delay_alu instid0(VALU_DEP_1) | instskip(SKIP_1) | instid1(VALU_DEP_1)
	v_add_co_ci_u32_e64 v47, s0, s9, v47, s0
	v_cmp_nlt_f32_e64 s0, 0x42b17218, v50
	v_cndmask_b32_e64 v6, 0x7f800000, v2, s0
	v_add_co_u32 v48, s0, s10, v48
	s_delay_alu instid0(VALU_DEP_1)
	v_add_co_ci_u32_e64 v49, s0, s11, v49, s0
	global_store_b32 v[46:47], v4, off
	global_store_b32 v[44:45], v6, off
	;; [unrolled: 1-line block ×3, first 2 shown]
.LBB279_7:
	s_or_b32 exec_lo, exec_lo, s2
	v_ashrrev_i32_e32 v4, 31, v0
	s_mov_b32 s1, exec_lo
	s_delay_alu instid0(VALU_DEP_1) | instskip(NEXT) | instid1(VALU_DEP_1)
	v_lshrrev_b32_e32 v2, 28, v4
	v_add_nc_u32_e32 v2, v0, v2
	s_delay_alu instid0(VALU_DEP_1) | instskip(NEXT) | instid1(VALU_DEP_1)
	v_ashrrev_i32_e32 v2, 4, v2
	v_lshrrev_b32_e32 v44, 29, v2
	s_delay_alu instid0(VALU_DEP_1) | instskip(NEXT) | instid1(VALU_DEP_1)
	v_add_nc_u32_e32 v44, v2, v44
	v_and_b32_e32 v44, -8, v44
	s_delay_alu instid0(VALU_DEP_1) | instskip(NEXT) | instid1(VALU_DEP_1)
	v_sub_nc_u32_e32 v44, v2, v44
	v_cmpx_eq_u32_e64 v8, v44
	s_cbranch_execz .LBB279_9
; %bb.8:
	v_lshrrev_b32_e32 v4, 25, v4
	v_lshlrev_b32_e32 v2, 4, v2
	s_delay_alu instid0(VALU_DEP_2) | instskip(NEXT) | instid1(VALU_DEP_2)
	v_add_nc_u32_e32 v4, v0, v4
	v_sub_nc_u32_e32 v0, v0, v2
	s_delay_alu instid0(VALU_DEP_2) | instskip(NEXT) | instid1(VALU_DEP_1)
	v_ashrrev_i32_e32 v2, 7, v4
	v_lshl_add_u32 v0, v2, 4, v0
	s_delay_alu instid0(VALU_DEP_1) | instskip(NEXT) | instid1(VALU_DEP_1)
	v_cmp_ne_u32_e64 s0, 15, v0
	v_cndmask_b32_e64 v9, 0xff800000, v9, s0
	v_cmp_ne_u32_e64 s0, 14, v0
	s_delay_alu instid0(VALU_DEP_1) | instskip(SKIP_1) | instid1(VALU_DEP_1)
	v_cndmask_b32_e64 v10, 0xff800000, v10, s0
	v_cmp_ne_u32_e64 s0, 13, v0
	v_cndmask_b32_e64 v11, 0xff800000, v11, s0
	v_cmp_ne_u32_e64 s0, 12, v0
	s_delay_alu instid0(VALU_DEP_1) | instskip(SKIP_1) | instid1(VALU_DEP_1)
	v_cndmask_b32_e64 v12, 0xff800000, v12, s0
	;; [unrolled: 5-line block ×7, first 2 shown]
	v_cmp_ne_u32_e64 s0, 1, v0
	v_cndmask_b32_e64 v21, 0xff800000, v21, s0
	v_cmp_ne_u32_e64 s0, 0, v0
	s_delay_alu instid0(VALU_DEP_1)
	v_cndmask_b32_e64 v23, 0xff800000, v23, s0
.LBB279_9:
	s_or_b32 exec_lo, exec_lo, s1
	s_cmp_eq_u32 s4, 1
	s_cbranch_scc1 .LBB279_16
; %bb.10:
	s_add_i32 s18, s18, s16
	v_add_nc_u32_e32 v0, 1, v5
	v_add3_u32 v42, s18, v43, v42
	v_add_nc_u32_e32 v2, 1, v3
	v_add_nc_u32_e32 v4, 1, v1
	s_add_i32 s14, s4, -1
	s_branch .LBB279_12
.LBB279_11:                             ;   in Loop: Header=BB279_12 Depth=1
	s_or_b32 exec_lo, exec_lo, s1
	v_add_nc_u32_e32 v42, s16, v42
	v_add_nc_u32_e32 v0, 1, v0
	;; [unrolled: 1-line block ×4, first 2 shown]
	s_add_i32 s14, s14, -1
	s_delay_alu instid0(SALU_CYCLE_1)
	s_cmp_eq_u32 s14, 0
	s_cbranch_scc1 .LBB279_16
.LBB279_12:                             ; =>This Inner Loop Header: Depth=1
	v_cmp_gt_f32_e64 s0, v21, v23
	s_delay_alu instid0(VALU_DEP_1) | instskip(SKIP_1) | instid1(VALU_DEP_2)
	v_cndmask_b32_e64 v3, v23, v21, s0
	v_cndmask_b32_e64 v1, v26, v27, s0
	v_cmp_gt_f32_e64 s0, v25, v3
	s_delay_alu instid0(VALU_DEP_1) | instskip(NEXT) | instid1(VALU_DEP_3)
	v_cndmask_b32_e64 v3, v3, v25, s0
	v_cndmask_b32_e64 v1, v1, v28, s0
	s_delay_alu instid0(VALU_DEP_2) | instskip(NEXT) | instid1(VALU_DEP_1)
	v_cmp_gt_f32_e64 s0, v24, v3
	v_cndmask_b32_e64 v3, v3, v24, s0
	s_delay_alu instid0(VALU_DEP_3) | instskip(NEXT) | instid1(VALU_DEP_2)
	v_cndmask_b32_e64 v1, v1, v29, s0
	v_cmp_gt_f32_e64 s0, v22, v3
	s_delay_alu instid0(VALU_DEP_1) | instskip(NEXT) | instid1(VALU_DEP_3)
	v_cndmask_b32_e64 v3, v3, v22, s0
	v_cndmask_b32_e64 v1, v1, v30, s0
	s_delay_alu instid0(VALU_DEP_2) | instskip(NEXT) | instid1(VALU_DEP_1)
	v_cmp_gt_f32_e64 s0, v20, v3
	v_cndmask_b32_e64 v3, v3, v20, s0
	s_delay_alu instid0(VALU_DEP_3) | instskip(NEXT) | instid1(VALU_DEP_2)
	;; [unrolled: 9-line block ×6, first 2 shown]
	v_cndmask_b32_e64 v1, v1, v39, s0
	v_cmp_gt_f32_e64 s0, v10, v3
	s_delay_alu instid0(VALU_DEP_1) | instskip(NEXT) | instid1(VALU_DEP_3)
	v_cndmask_b32_e64 v3, v3, v10, s0
	v_cndmask_b32_e64 v1, v1, v40, s0
	s_delay_alu instid0(VALU_DEP_2) | instskip(NEXT) | instid1(VALU_DEP_1)
	v_cmp_gt_f32_e64 s0, v9, v3
	v_cndmask_b32_e64 v1, v1, v41, s0
	v_cndmask_b32_e64 v3, v3, v9, s0
	s_delay_alu instid0(VALU_DEP_2) | instskip(NEXT) | instid1(VALU_DEP_2)
	v_mov_b32_dpp v5, v1 quad_perm:[1,0,3,2] row_mask:0xf bank_mask:0xf
	v_mov_b32_dpp v43, v3 quad_perm:[1,0,3,2] row_mask:0xf bank_mask:0xf
	s_delay_alu instid0(VALU_DEP_2) | instskip(NEXT) | instid1(VALU_DEP_2)
	v_cmp_lt_i32_e64 s0, v5, v1
	v_cmp_eq_f32_e64 s1, v3, v43
	v_cmp_lt_f32_e64 s2, v3, v43
	s_delay_alu instid0(VALU_DEP_2)
	s_and_b32 s0, s1, s0
	s_delay_alu instid0(VALU_DEP_1) | instid1(SALU_CYCLE_1)
	s_or_b32 s0, s2, s0
	s_delay_alu instid0(SALU_CYCLE_1) | instskip(SKIP_1) | instid1(VALU_DEP_2)
	v_cndmask_b32_e64 v3, v3, v43, s0
	v_cndmask_b32_e64 v5, v1, v5, s0
	v_mov_b32_dpp v1, v3 quad_perm:[2,3,0,1] row_mask:0xf bank_mask:0xf
	s_delay_alu instid0(VALU_DEP_2) | instskip(NEXT) | instid1(VALU_DEP_2)
	v_mov_b32_dpp v43, v5 quad_perm:[2,3,0,1] row_mask:0xf bank_mask:0xf
	v_cmp_eq_f32_e64 s0, v3, v1
	s_delay_alu instid0(VALU_DEP_2) | instskip(SKIP_1) | instid1(VALU_DEP_2)
	v_cmp_lt_i32_e64 s1, v43, v5
	v_cmp_lt_f32_e64 s2, v3, v1
	s_and_b32 s0, s0, s1
	s_delay_alu instid0(VALU_DEP_1) | instid1(SALU_CYCLE_1)
	s_or_b32 s0, s2, s0
	s_delay_alu instid0(SALU_CYCLE_1) | instskip(SKIP_1) | instid1(VALU_DEP_2)
	v_cndmask_b32_e64 v1, v3, v1, s0
	v_cndmask_b32_e64 v5, v5, v43, s0
	v_mov_b32_dpp v3, v1 row_half_mirror row_mask:0xf bank_mask:0xf
	s_delay_alu instid0(VALU_DEP_2) | instskip(NEXT) | instid1(VALU_DEP_2)
	v_mov_b32_dpp v43, v5 row_half_mirror row_mask:0xf bank_mask:0xf
	v_cmp_eq_f32_e64 s0, v1, v3
	s_delay_alu instid0(VALU_DEP_2) | instskip(SKIP_1) | instid1(VALU_DEP_2)
	v_cmp_lt_i32_e64 s1, v43, v5
	v_cmp_lt_f32_e64 s2, v1, v3
	s_and_b32 s0, s0, s1
	s_delay_alu instid0(VALU_DEP_1) | instid1(SALU_CYCLE_1)
	s_or_b32 s0, s2, s0
	s_delay_alu instid0(SALU_CYCLE_1)
	v_cndmask_b32_e64 v43, v5, v43, s0
	s_and_saveexec_b32 s2, vcc_lo
	s_cbranch_execz .LBB279_14
; %bb.13:                               ;   in Loop: Header=BB279_12 Depth=1
	v_cndmask_b32_e64 v1, v1, v3, s0
	s_delay_alu instid0(VALU_DEP_2) | instskip(SKIP_4) | instid1(VALU_DEP_4)
	v_cmp_le_i32_e64 s0, s5, v43
	v_cmp_gt_i32_e64 s1, s6, v43
	v_ashrrev_i32_e32 v5, 31, v4
	v_subrev_nc_u32_e32 v51, s5, v43
	v_sub_f32_e32 v50, v1, v13
	s_and_b32 s0, s0, s1
	s_delay_alu instid0(SALU_CYCLE_1) | instskip(NEXT) | instid1(VALU_DEP_1)
	s_and_b32 s0, s17, s0
	v_mul_f32_e32 v1, 0x3fb8aa3b, v50
	s_delay_alu instid0(VALU_DEP_1) | instskip(SKIP_1) | instid1(VALU_DEP_2)
	v_fma_f32 v3, 0x3fb8aa3b, v50, -v1
	v_rndne_f32_e32 v44, v1
	v_fmac_f32_e32 v3, 0x32a5705f, v50
	s_delay_alu instid0(VALU_DEP_2) | instskip(SKIP_2) | instid1(VALU_DEP_3)
	v_sub_f32_e32 v1, v1, v44
	v_cvt_i32_f32_e32 v49, v44
	v_lshlrev_b64 v[44:45], 2, v[4:5]
	v_add_f32_e32 v1, v1, v3
	v_ashrrev_i32_e32 v3, 31, v2
	s_delay_alu instid0(VALU_DEP_2) | instskip(SKIP_1) | instid1(VALU_DEP_2)
	v_exp_f32_e32 v48, v1
	v_ashrrev_i32_e32 v1, 31, v0
	v_lshlrev_b64 v[46:47], 2, v[2:3]
	s_waitcnt_depctr 0xfff
	v_ldexp_f32 v3, v48, v49
	v_lshlrev_b64 v[48:49], 2, v[0:1]
	v_cndmask_b32_e64 v1, 0x80, v51, s0
	v_cmp_ngt_f32_e64 s0, 0xc2ce8ed0, v50
	s_delay_alu instid0(VALU_DEP_1) | instskip(SKIP_1) | instid1(VALU_DEP_1)
	v_cndmask_b32_e64 v3, 0, v3, s0
	v_add_co_u32 v44, s0, s12, v44
	v_add_co_ci_u32_e64 v45, s0, s13, v45, s0
	v_cmp_nlt_f32_e64 s0, 0x42b17218, v50
	s_delay_alu instid0(VALU_DEP_1) | instskip(SKIP_2) | instid1(VALU_DEP_1)
	v_cndmask_b32_e64 v3, 0x7f800000, v3, s0
	s_waitcnt lgkmcnt(0)
	v_add_co_u32 v46, s0, s8, v46
	v_add_co_ci_u32_e64 v47, s0, s9, v47, s0
	s_delay_alu instid0(VALU_DEP_3) | instskip(SKIP_1) | instid1(VALU_DEP_1)
	v_add_f32_e32 v6, v6, v3
	v_add_co_u32 v48, s0, s10, v48
	v_add_co_ci_u32_e64 v49, s0, s11, v49, s0
	global_store_b32 v[44:45], v3, off
	global_store_b32 v[46:47], v1, off
	;; [unrolled: 1-line block ×3, first 2 shown]
.LBB279_14:                             ;   in Loop: Header=BB279_12 Depth=1
	s_or_b32 exec_lo, exec_lo, s2
	s_delay_alu instid0(VALU_DEP_1) | instskip(SKIP_1) | instid1(VALU_DEP_1)
	v_ashrrev_i32_e32 v3, 31, v43
	s_mov_b32 s1, exec_lo
	v_lshrrev_b32_e32 v1, 28, v3
	s_delay_alu instid0(VALU_DEP_1) | instskip(NEXT) | instid1(VALU_DEP_1)
	v_add_nc_u32_e32 v1, v43, v1
	v_ashrrev_i32_e32 v1, 4, v1
	s_delay_alu instid0(VALU_DEP_1) | instskip(NEXT) | instid1(VALU_DEP_1)
	v_lshrrev_b32_e32 v5, 29, v1
	v_add_nc_u32_e32 v5, v1, v5
	s_delay_alu instid0(VALU_DEP_1) | instskip(NEXT) | instid1(VALU_DEP_1)
	v_and_b32_e32 v5, -8, v5
	v_sub_nc_u32_e32 v5, v1, v5
	s_delay_alu instid0(VALU_DEP_1)
	v_cmpx_eq_u32_e64 v8, v5
	s_cbranch_execz .LBB279_11
; %bb.15:                               ;   in Loop: Header=BB279_12 Depth=1
	v_lshrrev_b32_e32 v3, 25, v3
	v_lshlrev_b32_e32 v1, 4, v1
	s_delay_alu instid0(VALU_DEP_2) | instskip(NEXT) | instid1(VALU_DEP_2)
	v_add_nc_u32_e32 v3, v43, v3
	v_sub_nc_u32_e32 v1, v43, v1
	s_delay_alu instid0(VALU_DEP_2) | instskip(NEXT) | instid1(VALU_DEP_1)
	v_ashrrev_i32_e32 v3, 7, v3
	v_lshl_add_u32 v1, v3, 4, v1
	s_delay_alu instid0(VALU_DEP_1) | instskip(NEXT) | instid1(VALU_DEP_1)
	v_cmp_ne_u32_e64 s0, 15, v1
	v_cndmask_b32_e64 v9, 0xff800000, v9, s0
	v_cmp_ne_u32_e64 s0, 14, v1
	s_delay_alu instid0(VALU_DEP_1) | instskip(SKIP_1) | instid1(VALU_DEP_1)
	v_cndmask_b32_e64 v10, 0xff800000, v10, s0
	v_cmp_ne_u32_e64 s0, 13, v1
	v_cndmask_b32_e64 v11, 0xff800000, v11, s0
	v_cmp_ne_u32_e64 s0, 12, v1
	s_delay_alu instid0(VALU_DEP_1) | instskip(SKIP_1) | instid1(VALU_DEP_1)
	v_cndmask_b32_e64 v12, 0xff800000, v12, s0
	;; [unrolled: 5-line block ×7, first 2 shown]
	v_cmp_ne_u32_e64 s0, 1, v1
	v_cndmask_b32_e64 v21, 0xff800000, v21, s0
	v_cmp_ne_u32_e64 s0, 0, v1
	s_delay_alu instid0(VALU_DEP_1)
	v_cndmask_b32_e64 v23, 0xff800000, v23, s0
	s_branch .LBB279_11
.LBB279_16:
	s_delay_alu instid0(VALU_DEP_1)
	v_sub_f32_e32 v0, v23, v13
	v_sub_f32_e32 v1, v21, v13
	;; [unrolled: 1-line block ×5, first 2 shown]
	v_mul_f32_e32 v2, 0x3fb8aa3b, v0
	v_cmp_ngt_f32_e32 vcc_lo, 0xc2ce8ed0, v0
	v_sub_f32_e32 v14, v14, v13
	v_sub_f32_e32 v10, v10, v13
	;; [unrolled: 1-line block ×3, first 2 shown]
	v_fma_f32 v22, 0x3fb8aa3b, v0, -v2
	v_sub_f32_e32 v3, v25, v13
	v_rndne_f32_e32 v23, v2
	v_sub_f32_e32 v11, v11, v13
	s_delay_alu instid0(VALU_DEP_4) | instskip(NEXT) | instid1(VALU_DEP_4)
	v_dual_sub_f32 v9, v9, v13 :: v_dual_fmac_f32 v22, 0x32a5705f, v0
	v_dual_sub_f32 v5, v24, v13 :: v_dual_mul_f32 v26, 0x3fb8aa3b, v3
	s_delay_alu instid0(VALU_DEP_4) | instskip(SKIP_1) | instid1(VALU_DEP_3)
	v_sub_f32_e32 v2, v2, v23
	v_cvt_i32_f32_e32 v23, v23
	v_mul_f32_e32 v27, 0x3fb8aa3b, v5
	s_delay_alu instid0(VALU_DEP_1) | instskip(NEXT) | instid1(VALU_DEP_4)
	v_fma_f32 v29, 0x3fb8aa3b, v5, -v27
	v_add_f32_e32 v2, v2, v22
	v_rndne_f32_e32 v30, v27
	v_mul_f32_e32 v4, 0x3fb8aa3b, v1
	v_fma_f32 v22, 0x3fb8aa3b, v3, -v26
	v_fmac_f32_e32 v29, 0x32a5705f, v5
	v_exp_f32_e32 v2, v2
	s_waitcnt_depctr 0xfff
	v_ldexp_f32 v2, v2, v23
	v_sub_f32_e32 v23, v27, v30
	v_fma_f32 v24, 0x3fb8aa3b, v1, -v4
	v_rndne_f32_e32 v25, v4
	v_fmac_f32_e32 v22, 0x32a5705f, v3
	v_cndmask_b32_e32 v2, 0, v2, vcc_lo
	v_cmp_ngt_f32_e32 vcc_lo, 0xc2ce8ed0, v1
	v_fmac_f32_e32 v24, 0x32a5705f, v1
	v_sub_f32_e32 v4, v4, v25
	v_cvt_i32_f32_e32 v25, v25
	s_delay_alu instid0(VALU_DEP_2) | instskip(SKIP_1) | instid1(VALU_DEP_2)
	v_dual_add_f32 v23, v23, v29 :: v_dual_add_f32 v4, v4, v24
	v_rndne_f32_e32 v24, v26
	v_exp_f32_e32 v23, v23
	v_mul_f32_e32 v28, 0x3fb8aa3b, v21
	s_delay_alu instid0(VALU_DEP_3) | instskip(NEXT) | instid1(VALU_DEP_2)
	v_exp_f32_e32 v4, v4
	v_sub_f32_e32 v26, v26, v24
	v_cvt_i32_f32_e32 v24, v24
	s_delay_alu instid0(VALU_DEP_2) | instskip(SKIP_3) | instid1(VALU_DEP_1)
	v_add_f32_e32 v22, v26, v22
	s_waitcnt_depctr 0xfff
	v_ldexp_f32 v4, v4, v25
	v_exp_f32_e32 v22, v22
	v_cndmask_b32_e32 v4, 0, v4, vcc_lo
	v_cmp_nlt_f32_e32 vcc_lo, 0x42b17218, v0
	v_cndmask_b32_e32 v0, 0x7f800000, v2, vcc_lo
	v_cmp_nlt_f32_e32 vcc_lo, 0x42b17218, v1
	v_fma_f32 v2, 0x3fb8aa3b, v21, -v28
	v_cndmask_b32_e32 v1, 0x7f800000, v4, vcc_lo
	s_delay_alu instid0(TRANS32_DEP_1) | instskip(SKIP_3) | instid1(VALU_DEP_4)
	v_ldexp_f32 v4, v22, v24
	v_cmp_ngt_f32_e32 vcc_lo, 0xc2ce8ed0, v3
	v_rndne_f32_e32 v22, v28
	v_fmac_f32_e32 v2, 0x32a5705f, v21
	v_dual_add_f32 v0, v0, v1 :: v_dual_cndmask_b32 v1, 0, v4
	v_cvt_i32_f32_e32 v4, v30
	v_cmp_nlt_f32_e32 vcc_lo, 0x42b17218, v3
	s_delay_alu instid0(VALU_DEP_2) | instskip(NEXT) | instid1(VALU_DEP_4)
	v_ldexp_f32 v3, v23, v4
	v_cndmask_b32_e32 v1, 0x7f800000, v1, vcc_lo
	v_cmp_ngt_f32_e32 vcc_lo, 0xc2ce8ed0, v5
	v_mul_f32_e32 v4, 0x3fb8aa3b, v20
	s_delay_alu instid0(VALU_DEP_3) | instskip(SKIP_2) | instid1(VALU_DEP_4)
	v_dual_add_f32 v0, v0, v1 :: v_dual_cndmask_b32 v1, 0, v3
	v_cmp_nlt_f32_e32 vcc_lo, 0x42b17218, v5
	v_sub_f32_e32 v24, v28, v22
	v_fma_f32 v3, 0x3fb8aa3b, v20, -v4
	v_rndne_f32_e32 v23, v4
	v_cvt_i32_f32_e32 v5, v22
	s_delay_alu instid0(VALU_DEP_4) | instskip(NEXT) | instid1(VALU_DEP_3)
	v_dual_cndmask_b32 v1, 0x7f800000, v1 :: v_dual_add_f32 v2, v24, v2
	v_dual_fmac_f32 v3, 0x32a5705f, v20 :: v_dual_sub_f32 v4, v4, v23
	v_mul_f32_e32 v22, 0x3fb8aa3b, v19
	s_delay_alu instid0(VALU_DEP_3) | instskip(NEXT) | instid1(VALU_DEP_4)
	v_add_f32_e32 v0, v0, v1
	v_exp_f32_e32 v2, v2
	v_cmp_ngt_f32_e32 vcc_lo, 0xc2ce8ed0, v21
	s_waitcnt_depctr 0xfff
	v_ldexp_f32 v1, v2, v5
	v_add_f32_e32 v2, v4, v3
	v_fma_f32 v3, 0x3fb8aa3b, v19, -v22
	v_rndne_f32_e32 v4, v22
	s_delay_alu instid0(VALU_DEP_4) | instskip(NEXT) | instid1(VALU_DEP_4)
	v_cndmask_b32_e32 v1, 0, v1, vcc_lo
	v_exp_f32_e32 v2, v2
	s_delay_alu instid0(VALU_DEP_3) | instskip(NEXT) | instid1(VALU_DEP_3)
	v_fmac_f32_e32 v3, 0x32a5705f, v19
	v_sub_f32_e32 v5, v22, v4
	v_cmp_nlt_f32_e32 vcc_lo, 0x42b17218, v21
	v_cvt_i32_f32_e32 v21, v23
	v_cvt_i32_f32_e32 v4, v4
	s_delay_alu instid0(VALU_DEP_4) | instskip(SKIP_3) | instid1(VALU_DEP_3)
	v_add_f32_e32 v3, v5, v3
	v_cndmask_b32_e32 v1, 0x7f800000, v1, vcc_lo
	v_mul_f32_e32 v5, 0x3fb8aa3b, v18
	v_cmp_ngt_f32_e32 vcc_lo, 0xc2ce8ed0, v20
	v_add_f32_e32 v0, v0, v1
	v_ldexp_f32 v1, v2, v21
	v_exp_f32_e32 v2, v3
	v_fma_f32 v3, 0x3fb8aa3b, v18, -v5
	v_rndne_f32_e32 v21, v5
	s_delay_alu instid0(VALU_DEP_3) | instskip(SKIP_1) | instid1(VALU_DEP_4)
	v_cndmask_b32_e32 v1, 0, v1, vcc_lo
	v_cmp_nlt_f32_e32 vcc_lo, 0x42b17218, v20
	v_fmac_f32_e32 v3, 0x32a5705f, v18
	s_delay_alu instid0(VALU_DEP_4) | instskip(NEXT) | instid1(VALU_DEP_4)
	v_sub_f32_e32 v5, v5, v21
	v_cndmask_b32_e32 v1, 0x7f800000, v1, vcc_lo
	s_delay_alu instid0(TRANS32_DEP_1) | instskip(NEXT) | instid1(VALU_DEP_3)
	v_ldexp_f32 v2, v2, v4
	v_add_f32_e32 v3, v5, v3
	v_cmp_ngt_f32_e32 vcc_lo, 0xc2ce8ed0, v19
	v_sub_f32_e32 v5, v16, v13
	v_cvt_i32_f32_e32 v16, v21
	v_mul_f32_e32 v21, 0x3fb8aa3b, v14
	v_sub_f32_e32 v15, v15, v13
	v_dual_add_f32 v0, v0, v1 :: v_dual_cndmask_b32 v1, 0, v2
	v_exp_f32_e32 v2, v3
	v_cmp_nlt_f32_e32 vcc_lo, 0x42b17218, v19
	v_mul_f32_e32 v20, 0x3fb8aa3b, v5
	s_delay_alu instid0(VALU_DEP_3) | instskip(NEXT) | instid1(VALU_DEP_1)
	v_cndmask_b32_e32 v1, 0x7f800000, v1, vcc_lo
	v_add_f32_e32 v0, v0, v1
	s_waitcnt_depctr 0xfff
	v_ldexp_f32 v1, v2, v16
	v_rndne_f32_e32 v16, v20
	v_sub_f32_e32 v4, v17, v13
	s_delay_alu instid0(VALU_DEP_1) | instskip(NEXT) | instid1(VALU_DEP_1)
	v_mul_f32_e32 v3, 0x3fb8aa3b, v4
	v_fma_f32 v17, 0x3fb8aa3b, v4, -v3
	v_rndne_f32_e32 v19, v3
	s_delay_alu instid0(VALU_DEP_1) | instskip(SKIP_3) | instid1(VALU_DEP_4)
	v_dual_fmac_f32 v17, 0x32a5705f, v4 :: v_dual_sub_f32 v2, v3, v19
	v_cmp_ngt_f32_e32 vcc_lo, 0xc2ce8ed0, v18
	v_fma_f32 v3, 0x3fb8aa3b, v5, -v20
	v_cvt_i32_f32_e32 v19, v19
	v_add_f32_e32 v2, v2, v17
	v_cndmask_b32_e32 v1, 0, v1, vcc_lo
	v_cmp_nlt_f32_e32 vcc_lo, 0x42b17218, v18
	v_dual_sub_f32 v17, v20, v16 :: v_dual_mul_f32 v20, 0x3fb8aa3b, v15
	s_delay_alu instid0(VALU_DEP_4) | instskip(NEXT) | instid1(VALU_DEP_3)
	v_exp_f32_e32 v2, v2
	v_cndmask_b32_e32 v1, 0x7f800000, v1, vcc_lo
	v_cmp_ngt_f32_e32 vcc_lo, 0xc2ce8ed0, v4
	s_delay_alu instid0(VALU_DEP_3) | instskip(NEXT) | instid1(VALU_DEP_3)
	v_rndne_f32_e32 v18, v20
	v_add_f32_e32 v0, v0, v1
	s_waitcnt_depctr 0xfff
	v_ldexp_f32 v1, v2, v19
	v_cvt_i32_f32_e32 v2, v16
	v_rndne_f32_e32 v19, v21
	s_delay_alu instid0(VALU_DEP_3) | instskip(SKIP_2) | instid1(VALU_DEP_3)
	v_cndmask_b32_e32 v1, 0, v1, vcc_lo
	v_cmp_nlt_f32_e32 vcc_lo, 0x42b17218, v4
	v_cvt_i32_f32_e32 v4, v18
	v_cndmask_b32_e32 v1, 0x7f800000, v1, vcc_lo
	v_cmp_ngt_f32_e32 vcc_lo, 0xc2ce8ed0, v5
	v_fmac_f32_e32 v3, 0x32a5705f, v5
	s_delay_alu instid0(VALU_DEP_1) | instskip(SKIP_2) | instid1(VALU_DEP_3)
	v_dual_add_f32 v0, v0, v1 :: v_dual_add_f32 v3, v17, v3
	v_fma_f32 v17, 0x3fb8aa3b, v15, -v20
	v_sub_f32_e32 v20, v20, v18
	v_exp_f32_e32 v3, v3
	s_delay_alu instid0(VALU_DEP_2) | instskip(NEXT) | instid1(VALU_DEP_1)
	v_fmac_f32_e32 v17, 0x32a5705f, v15
	v_add_f32_e32 v16, v20, v17
	s_waitcnt_depctr 0xfff
	v_ldexp_f32 v2, v3, v2
	v_exp_f32_e32 v3, v16
	v_sub_f32_e32 v16, v21, v19
	s_delay_alu instid0(VALU_DEP_2)
	v_cndmask_b32_e32 v2, 0, v2, vcc_lo
	v_cmp_nlt_f32_e32 vcc_lo, 0x42b17218, v5
	s_waitcnt_depctr 0xfff
	v_ldexp_f32 v1, v3, v4
	v_cndmask_b32_e32 v2, 0x7f800000, v2, vcc_lo
	v_cmp_ngt_f32_e32 vcc_lo, 0xc2ce8ed0, v15
	v_sub_f32_e32 v4, v12, v13
	v_mul_f32_e32 v12, 0x3fb8aa3b, v11
	s_delay_alu instid0(VALU_DEP_4) | instskip(SKIP_1) | instid1(VALU_DEP_4)
	v_dual_add_f32 v0, v0, v2 :: v_dual_cndmask_b32 v1, 0, v1
	v_cmp_nlt_f32_e32 vcc_lo, 0x42b17218, v15
	v_mul_f32_e32 v5, 0x3fb8aa3b, v4
	v_cvt_i32_f32_e32 v2, v19
	s_delay_alu instid0(VALU_DEP_4) | instskip(NEXT) | instid1(VALU_DEP_1)
	v_cndmask_b32_e32 v1, 0x7f800000, v1, vcc_lo
	v_add_f32_e32 v0, v0, v1
	s_delay_alu instid0(VALU_DEP_4) | instskip(NEXT) | instid1(VALU_DEP_1)
	v_fma_f32 v1, 0x3fb8aa3b, v4, -v5
	v_fmac_f32_e32 v1, 0x32a5705f, v4
	v_fma_f32 v17, 0x3fb8aa3b, v14, -v21
	v_cmp_ngt_f32_e32 vcc_lo, 0xc2ce8ed0, v14
	s_delay_alu instid0(VALU_DEP_2) | instskip(NEXT) | instid1(VALU_DEP_1)
	v_fmac_f32_e32 v17, 0x32a5705f, v14
	v_add_f32_e32 v16, v16, v17
	s_delay_alu instid0(VALU_DEP_1) | instskip(SKIP_1) | instid1(VALU_DEP_1)
	v_exp_f32_e32 v3, v16
	v_mul_f32_e32 v16, 0x3fb8aa3b, v9
	v_rndne_f32_e32 v17, v16
	s_waitcnt_depctr 0xfff
	v_ldexp_f32 v2, v3, v2
	v_rndne_f32_e32 v3, v5
	s_delay_alu instid0(VALU_DEP_1) | instskip(SKIP_3) | instid1(VALU_DEP_4)
	v_dual_cndmask_b32 v2, 0, v2 :: v_dual_sub_f32 v5, v5, v3
	v_cmp_nlt_f32_e32 vcc_lo, 0x42b17218, v14
	v_mul_f32_e32 v14, 0x3fb8aa3b, v10
	v_cvt_i32_f32_e32 v3, v3
	v_dual_add_f32 v1, v5, v1 :: v_dual_cndmask_b32 v2, 0x7f800000, v2
	v_rndne_f32_e32 v5, v12
	s_delay_alu instid0(VALU_DEP_4) | instskip(SKIP_1) | instid1(VALU_DEP_4)
	v_fma_f32 v13, 0x3fb8aa3b, v10, -v14
	v_rndne_f32_e32 v15, v14
	v_exp_f32_e32 v1, v1
	v_add_f32_e32 v0, v0, v2
	v_fma_f32 v2, 0x3fb8aa3b, v11, -v12
	v_dual_sub_f32 v12, v12, v5 :: v_dual_fmac_f32 v13, 0x32a5705f, v10
	v_cmp_ngt_f32_e32 vcc_lo, 0xc2ce8ed0, v4
	v_cvt_i32_f32_e32 v5, v5
	s_delay_alu instid0(VALU_DEP_4) | instskip(NEXT) | instid1(TRANS32_DEP_1)
	v_fmac_f32_e32 v2, 0x32a5705f, v11
	v_ldexp_f32 v1, v1, v3
	s_delay_alu instid0(VALU_DEP_2) | instskip(SKIP_2) | instid1(VALU_DEP_4)
	v_add_f32_e32 v2, v12, v2
	v_sub_f32_e32 v12, v14, v15
	v_fma_f32 v14, 0x3fb8aa3b, v9, -v16
	v_cndmask_b32_e32 v1, 0, v1, vcc_lo
	v_cmp_nlt_f32_e32 vcc_lo, 0x42b17218, v4
	v_exp_f32_e32 v2, v2
	v_add_f32_e32 v3, v12, v13
	v_fmac_f32_e32 v14, 0x32a5705f, v9
	v_sub_f32_e32 v12, v16, v17
	v_cndmask_b32_e32 v1, 0x7f800000, v1, vcc_lo
	v_cvt_i32_f32_e32 v4, v15
	v_exp_f32_e32 v3, v3
	v_cmp_ngt_f32_e32 vcc_lo, 0xc2ce8ed0, v11
	v_add_f32_e32 v12, v12, v14
	v_add_f32_e32 v0, v0, v1
	v_ldexp_f32 v2, v2, v5
	s_delay_alu instid0(VALU_DEP_3)
	v_exp_f32_e32 v5, v12
	s_waitcnt_depctr 0xfff
	v_ldexp_f32 v1, v3, v4
	v_cndmask_b32_e32 v2, 0, v2, vcc_lo
	v_cmp_nlt_f32_e32 vcc_lo, 0x42b17218, v11
	v_cvt_i32_f32_e32 v3, v17
	s_delay_alu instid0(VALU_DEP_3) | instskip(SKIP_1) | instid1(VALU_DEP_3)
	v_cndmask_b32_e32 v2, 0x7f800000, v2, vcc_lo
	v_cmp_ngt_f32_e32 vcc_lo, 0xc2ce8ed0, v10
	v_ldexp_f32 v3, v5, v3
	v_cndmask_b32_e32 v1, 0, v1, vcc_lo
	v_cmp_nlt_f32_e32 vcc_lo, 0x42b17218, v10
	s_delay_alu instid0(VALU_DEP_2) | instskip(SKIP_1) | instid1(VALU_DEP_2)
	v_dual_add_f32 v0, v0, v2 :: v_dual_cndmask_b32 v1, 0x7f800000, v1
	v_cmp_ngt_f32_e32 vcc_lo, 0xc2ce8ed0, v9
	v_add_f32_e32 v0, v0, v1
	v_cndmask_b32_e32 v2, 0, v3, vcc_lo
	v_cmp_nlt_f32_e32 vcc_lo, 0x42b17218, v9
	s_delay_alu instid0(VALU_DEP_2) | instskip(SKIP_1) | instid1(VALU_DEP_2)
	v_cndmask_b32_e32 v1, 0x7f800000, v2, vcc_lo
	v_cmp_eq_u32_e32 vcc_lo, 0, v8
	v_add_f32_e32 v0, v0, v1
	s_delay_alu instid0(VALU_DEP_1) | instskip(NEXT) | instid1(VALU_DEP_1)
	v_mov_b32_dpp v1, v0 quad_perm:[1,0,3,2] row_mask:0xf bank_mask:0xf
	v_add_f32_e32 v0, v0, v1
	s_delay_alu instid0(VALU_DEP_1) | instskip(NEXT) | instid1(VALU_DEP_1)
	v_mov_b32_dpp v1, v0 quad_perm:[2,3,0,1] row_mask:0xf bank_mask:0xf
	v_add_f32_e32 v0, v0, v1
	s_delay_alu instid0(VALU_DEP_1)
	v_mov_b32_dpp v1, v0 row_half_mirror row_mask:0xf bank_mask:0xf
	s_and_b32 exec_lo, exec_lo, vcc_lo
	s_cbranch_execz .LBB279_21
; %bb.17:
	s_delay_alu instid0(VALU_DEP_1) | instskip(NEXT) | instid1(VALU_DEP_1)
	v_add_f32_e32 v0, v0, v1
	v_add_f32_e32 v0, v6, v0
	s_delay_alu instid0(VALU_DEP_1)
	v_cmp_neq_f32_e32 vcc_lo, 0, v0
	s_and_b32 exec_lo, exec_lo, vcc_lo
	s_cbranch_execz .LBB279_21
; %bb.18:
	s_and_not1_b32 vcc_lo, exec_lo, s3
	s_cbranch_vccnz .LBB279_21
; %bb.19:
	v_div_scale_f32 v2, null, v0, v0, 1.0
	v_div_scale_f32 v4, vcc_lo, 1.0, v0, 1.0
	s_delay_alu instid0(VALU_DEP_2) | instskip(SKIP_2) | instid1(VALU_DEP_1)
	v_rcp_f32_e32 v3, v2
	s_waitcnt_depctr 0xfff
	v_fma_f32 v1, -v2, v3, 1.0
	v_fmac_f32_e32 v3, v1, v3
	v_mul_lo_u32 v1, v7, s7
	s_delay_alu instid0(VALU_DEP_2) | instskip(NEXT) | instid1(VALU_DEP_1)
	v_mul_f32_e32 v5, v4, v3
	v_fma_f32 v6, -v2, v5, v4
	s_delay_alu instid0(VALU_DEP_1) | instskip(NEXT) | instid1(VALU_DEP_1)
	v_fmac_f32_e32 v5, v6, v3
	v_fma_f32 v4, -v2, v5, v4
	v_ashrrev_i32_e32 v2, 31, v1
	s_delay_alu instid0(VALU_DEP_2) | instskip(NEXT) | instid1(VALU_DEP_2)
	v_div_fmas_f32 v5, v4, v3, v5
	v_lshlrev_b64 v[3:4], 2, v[1:2]
	s_delay_alu instid0(VALU_DEP_2) | instskip(NEXT) | instid1(VALU_DEP_2)
	v_div_fixup_f32 v2, v5, v0, 1.0
	v_add_co_u32 v0, vcc_lo, s12, v3
	s_delay_alu instid0(VALU_DEP_3)
	v_add_co_ci_u32_e32 v1, vcc_lo, s13, v4, vcc_lo
.LBB279_20:                             ; =>This Inner Loop Header: Depth=1
	global_load_b32 v3, v[0:1], off
	s_add_i32 s4, s4, -1
	s_delay_alu instid0(SALU_CYCLE_1)
	s_cmp_lg_u32 s4, 0
	s_waitcnt vmcnt(0)
	v_mul_f32_e32 v3, v2, v3
	global_store_b32 v[0:1], v3, off
	v_add_co_u32 v0, vcc_lo, v0, 4
	v_add_co_ci_u32_e32 v1, vcc_lo, 0, v1, vcc_lo
	s_cbranch_scc1 .LBB279_20
.LBB279_21:
	s_nop 0
	s_sendmsg sendmsg(MSG_DEALLOC_VGPRS)
	s_endpgm
	.section	.rodata,"a",@progbits
	.p2align	6, 0x0
	.amdhsa_kernel _ZN4vllm3moe17topkGatingSoftmaxItLi16ELi128ELi8ELi32ELb0ELi0ELNS0_23SharedExpertScoringFuncE0EEEvPKT_PKbPfiPiS9_iiiiii
		.amdhsa_group_segment_fixed_size 0
		.amdhsa_private_segment_fixed_size 0
		.amdhsa_kernarg_size 72
		.amdhsa_user_sgpr_count 15
		.amdhsa_user_sgpr_dispatch_ptr 0
		.amdhsa_user_sgpr_queue_ptr 0
		.amdhsa_user_sgpr_kernarg_segment_ptr 1
		.amdhsa_user_sgpr_dispatch_id 0
		.amdhsa_user_sgpr_private_segment_size 0
		.amdhsa_wavefront_size32 1
		.amdhsa_uses_dynamic_stack 0
		.amdhsa_enable_private_segment 0
		.amdhsa_system_sgpr_workgroup_id_x 1
		.amdhsa_system_sgpr_workgroup_id_y 0
		.amdhsa_system_sgpr_workgroup_id_z 0
		.amdhsa_system_sgpr_workgroup_info 0
		.amdhsa_system_vgpr_workitem_id 1
		.amdhsa_next_free_vgpr 53
		.amdhsa_next_free_sgpr 19
		.amdhsa_reserve_vcc 1
		.amdhsa_float_round_mode_32 0
		.amdhsa_float_round_mode_16_64 0
		.amdhsa_float_denorm_mode_32 3
		.amdhsa_float_denorm_mode_16_64 3
		.amdhsa_dx10_clamp 1
		.amdhsa_ieee_mode 1
		.amdhsa_fp16_overflow 0
		.amdhsa_workgroup_processor_mode 1
		.amdhsa_memory_ordered 1
		.amdhsa_forward_progress 0
		.amdhsa_shared_vgpr_count 0
		.amdhsa_exception_fp_ieee_invalid_op 0
		.amdhsa_exception_fp_denorm_src 0
		.amdhsa_exception_fp_ieee_div_zero 0
		.amdhsa_exception_fp_ieee_overflow 0
		.amdhsa_exception_fp_ieee_underflow 0
		.amdhsa_exception_fp_ieee_inexact 0
		.amdhsa_exception_int_div_zero 0
	.end_amdhsa_kernel
	.section	.text._ZN4vllm3moe17topkGatingSoftmaxItLi16ELi128ELi8ELi32ELb0ELi0ELNS0_23SharedExpertScoringFuncE0EEEvPKT_PKbPfiPiS9_iiiiii,"axG",@progbits,_ZN4vllm3moe17topkGatingSoftmaxItLi16ELi128ELi8ELi32ELb0ELi0ELNS0_23SharedExpertScoringFuncE0EEEvPKT_PKbPfiPiS9_iiiiii,comdat
.Lfunc_end279:
	.size	_ZN4vllm3moe17topkGatingSoftmaxItLi16ELi128ELi8ELi32ELb0ELi0ELNS0_23SharedExpertScoringFuncE0EEEvPKT_PKbPfiPiS9_iiiiii, .Lfunc_end279-_ZN4vllm3moe17topkGatingSoftmaxItLi16ELi128ELi8ELi32ELb0ELi0ELNS0_23SharedExpertScoringFuncE0EEEvPKT_PKbPfiPiS9_iiiiii
                                        ; -- End function
	.section	.AMDGPU.csdata,"",@progbits
; Kernel info:
; codeLenInByte = 5276
; NumSgprs: 21
; NumVgprs: 53
; ScratchSize: 0
; MemoryBound: 0
; FloatMode: 240
; IeeeMode: 1
; LDSByteSize: 0 bytes/workgroup (compile time only)
; SGPRBlocks: 2
; VGPRBlocks: 6
; NumSGPRsForWavesPerEU: 21
; NumVGPRsForWavesPerEU: 53
; Occupancy: 16
; WaveLimiterHint : 0
; COMPUTE_PGM_RSRC2:SCRATCH_EN: 0
; COMPUTE_PGM_RSRC2:USER_SGPR: 15
; COMPUTE_PGM_RSRC2:TRAP_HANDLER: 0
; COMPUTE_PGM_RSRC2:TGID_X_EN: 1
; COMPUTE_PGM_RSRC2:TGID_Y_EN: 0
; COMPUTE_PGM_RSRC2:TGID_Z_EN: 0
; COMPUTE_PGM_RSRC2:TIDIG_COMP_CNT: 1
	.section	.text._ZN4vllm3moe17topkGatingSoftmaxItLi16ELi128ELi8ELi32ELb1ELi1ELNS0_23SharedExpertScoringFuncE1EEEvPKT_PKbPfiPiS9_iiiiii,"axG",@progbits,_ZN4vllm3moe17topkGatingSoftmaxItLi16ELi128ELi8ELi32ELb1ELi1ELNS0_23SharedExpertScoringFuncE1EEEvPKT_PKbPfiPiS9_iiiiii,comdat
	.protected	_ZN4vllm3moe17topkGatingSoftmaxItLi16ELi128ELi8ELi32ELb1ELi1ELNS0_23SharedExpertScoringFuncE1EEEvPKT_PKbPfiPiS9_iiiiii ; -- Begin function _ZN4vllm3moe17topkGatingSoftmaxItLi16ELi128ELi8ELi32ELb1ELi1ELNS0_23SharedExpertScoringFuncE1EEEvPKT_PKbPfiPiS9_iiiiii
	.globl	_ZN4vllm3moe17topkGatingSoftmaxItLi16ELi128ELi8ELi32ELb1ELi1ELNS0_23SharedExpertScoringFuncE1EEEvPKT_PKbPfiPiS9_iiiiii
	.p2align	8
	.type	_ZN4vllm3moe17topkGatingSoftmaxItLi16ELi128ELi8ELi32ELb1ELi1ELNS0_23SharedExpertScoringFuncE1EEEvPKT_PKbPfiPiS9_iiiiii,@function
_ZN4vllm3moe17topkGatingSoftmaxItLi16ELi128ELi8ELi32ELb1ELi1ELNS0_23SharedExpertScoringFuncE1EEEvPKT_PKbPfiPiS9_iiiiii: ; @_ZN4vllm3moe17topkGatingSoftmaxItLi16ELi128ELi8ELi32ELb1ELi1ELNS0_23SharedExpertScoringFuncE1EEEvPKT_PKbPfiPiS9_iiiiii
; %bb.0:
	s_load_b32 s16, s[0:1], 0x18
	v_bfe_u32 v1, v0, 10, 10
	v_and_b32_e32 v0, 0x3ff, v0
	s_lshl_b32 s18, s15, 5
	s_mov_b32 s2, exec_lo
	s_delay_alu instid0(VALU_DEP_2) | instskip(NEXT) | instid1(VALU_DEP_2)
	v_lshlrev_b32_e32 v42, 2, v1
	v_lshrrev_b32_e32 v43, 3, v0
	s_delay_alu instid0(VALU_DEP_1) | instskip(SKIP_1) | instid1(VALU_DEP_1)
	v_add3_u32 v10, s18, v42, v43
	s_waitcnt lgkmcnt(0)
	v_cmpx_gt_i32_e64 s16, v10
	s_cbranch_execz .LBB280_22
; %bb.1:
	s_clause 0x1
	s_load_b128 s[4:7], s[0:1], 0x0
	s_load_b64 s[12:13], s[0:1], 0x10
	s_waitcnt lgkmcnt(0)
	s_cmp_eq_u64 s[6:7], 0
	s_cbranch_scc1 .LBB280_3
; %bb.2:
	v_ashrrev_i32_e32 v2, 31, v10
	v_add_co_u32 v1, vcc_lo, s6, v10
	s_delay_alu instid0(VALU_DEP_2) | instskip(SKIP_3) | instid1(VALU_DEP_1)
	v_add_co_ci_u32_e32 v2, vcc_lo, s7, v2, vcc_lo
	global_load_u8 v1, v[1:2], off
	s_waitcnt vmcnt(0)
	v_and_b32_e32 v1, 1, v1
	v_cmp_eq_u32_e32 vcc_lo, 1, v1
	s_xor_b32 s2, vcc_lo, -1
	s_delay_alu instid0(SALU_CYCLE_1)
	s_or_not1_b32 s17, s2, exec_lo
	s_branch .LBB280_4
.LBB280_3:
	s_mov_b32 s17, -1
.LBB280_4:
	s_clause 0x1
	s_load_b64 s[14:15], s[0:1], 0x40
	s_load_b128 s[8:11], s[0:1], 0x30
	v_and_b32_e32 v11, 7, v0
	s_delay_alu instid0(VALU_DEP_1) | instskip(SKIP_3) | instid1(VALU_DEP_1)
	v_dual_mov_b32 v13, 0 :: v_dual_lshlrev_b32 v12, 4, v11
	v_cmp_eq_u32_e64 s2, 0, v11
	s_waitcnt lgkmcnt(0)
	v_mul_lo_u32 v1, v10, s15
	v_ashrrev_i32_e32 v2, 31, v1
	s_delay_alu instid0(VALU_DEP_1) | instskip(SKIP_1) | instid1(VALU_DEP_2)
	v_lshlrev_b64 v[0:1], 1, v[1:2]
	v_lshlrev_b32_e32 v2, 5, v11
	v_add_co_u32 v8, vcc_lo, s4, v0
	s_delay_alu instid0(VALU_DEP_3) | instskip(NEXT) | instid1(VALU_DEP_2)
	v_add_co_ci_u32_e32 v9, vcc_lo, s5, v1, vcc_lo
	v_add_co_u32 v4, vcc_lo, v8, v2
	s_delay_alu instid0(VALU_DEP_2)
	v_add_co_ci_u32_e32 v5, vcc_lo, 0, v9, vcc_lo
	s_clause 0x1
	global_load_b128 v[0:3], v[4:5], off offset:16
	global_load_b128 v[4:7], v[4:5], off
	s_and_saveexec_b32 s3, s2
	s_cbranch_execz .LBB280_6
; %bb.5:
	global_load_u16 v8, v[8:9], off offset:256
	s_waitcnt vmcnt(0)
	v_cvt_f32_u32_e32 v8, v8
	s_delay_alu instid0(VALU_DEP_1) | instskip(SKIP_1) | instid1(VALU_DEP_2)
	v_mul_f32_e32 v9, 0xbfb8aa3b, v8
	v_cmp_nlt_f32_e32 vcc_lo, 0x42ce8ed0, v8
	v_rndne_f32_e32 v14, v9
	v_fma_f32 v15, 0xbfb8aa3b, v8, -v9
	s_delay_alu instid0(VALU_DEP_2) | instskip(NEXT) | instid1(VALU_DEP_2)
	v_sub_f32_e32 v9, v9, v14
	v_fmamk_f32 v15, v8, 0xb2a5705f, v15
	v_cvt_i32_f32_e32 v14, v14
	s_delay_alu instid0(VALU_DEP_2) | instskip(NEXT) | instid1(VALU_DEP_1)
	v_add_f32_e32 v9, v9, v15
	v_exp_f32_e32 v9, v9
	s_waitcnt_depctr 0xfff
	v_ldexp_f32 v9, v9, v14
	s_delay_alu instid0(VALU_DEP_1) | instskip(SKIP_1) | instid1(VALU_DEP_2)
	v_cndmask_b32_e32 v9, 0, v9, vcc_lo
	v_cmp_ngt_f32_e32 vcc_lo, 0xc2b17218, v8
	v_cndmask_b32_e32 v8, 0x7f800000, v9, vcc_lo
	s_delay_alu instid0(VALU_DEP_1) | instskip(NEXT) | instid1(VALU_DEP_1)
	v_add_f32_e32 v14, 1.0, v8
	v_div_scale_f32 v15, null, v14, v14, 1.0
	v_div_scale_f32 v17, vcc_lo, 1.0, v14, 1.0
	s_delay_alu instid0(VALU_DEP_2) | instskip(SKIP_2) | instid1(VALU_DEP_1)
	v_rcp_f32_e32 v16, v15
	s_waitcnt_depctr 0xfff
	v_fma_f32 v8, -v15, v16, 1.0
	v_fmac_f32_e32 v16, v8, v16
	v_mad_u64_u32 v[8:9], null, v10, s11, s[8:9]
	s_delay_alu instid0(VALU_DEP_2) | instskip(NEXT) | instid1(VALU_DEP_2)
	v_mul_f32_e32 v18, v17, v16
	v_ashrrev_i32_e32 v9, 31, v8
	s_delay_alu instid0(VALU_DEP_2) | instskip(NEXT) | instid1(VALU_DEP_2)
	v_fma_f32 v19, -v15, v18, v17
	v_lshlrev_b64 v[8:9], 2, v[8:9]
	s_delay_alu instid0(VALU_DEP_2) | instskip(NEXT) | instid1(VALU_DEP_1)
	v_fmac_f32_e32 v18, v19, v16
	v_fma_f32 v15, -v15, v18, v17
	s_delay_alu instid0(VALU_DEP_1) | instskip(NEXT) | instid1(VALU_DEP_4)
	v_div_fmas_f32 v15, v15, v16, v18
	v_add_co_u32 v8, vcc_lo, s12, v8
	v_add_co_ci_u32_e32 v9, vcc_lo, s13, v9, vcc_lo
	s_delay_alu instid0(VALU_DEP_3)
	v_div_fixup_f32 v14, v15, v14, 1.0
	global_store_b32 v[8:9], v14, off
.LBB280_6:
	s_or_b32 exec_lo, exec_lo, s3
	s_waitcnt vmcnt(0)
	v_and_b32_e32 v8, 0xffff, v4
	v_lshrrev_b32_e32 v4, 16, v4
	v_or_b32_e32 v14, 1, v12
	v_or_b32_e32 v16, 2, v12
	;; [unrolled: 1-line block ×3, first 2 shown]
	v_cvt_f32_u32_e32 v8, v8
	v_cvt_f32_u32_e32 v9, v4
	v_or_b32_e32 v22, 5, v12
	v_or_b32_e32 v25, 7, v12
	;; [unrolled: 1-line block ×4, first 2 shown]
	v_cmp_lt_f32_e32 vcc_lo, v8, v9
	v_or_b32_e32 v31, 10, v12
	v_or_b32_e32 v33, 11, v12
	;; [unrolled: 1-line block ×3, first 2 shown]
	v_dual_cndmask_b32 v18, v8, v9 :: v_dual_and_b32 v19, 0xffff, v6
	v_lshrrev_b32_e32 v6, 16, v6
	v_or_b32_e32 v37, 13, v12
	v_or_b32_e32 v39, 14, v12
	s_delay_alu instid0(VALU_DEP_4)
	v_cvt_f32_u32_e32 v19, v19
	v_and_b32_e32 v4, 0xffff, v5
	v_lshrrev_b32_e32 v5, 16, v5
	v_cvt_f32_u32_e32 v21, v6
	v_and_b32_e32 v6, 0xffff, v7
	v_or_b32_e32 v41, 15, v12
	v_cvt_f32_u32_e32 v15, v4
	v_cvt_f32_u32_e32 v17, v5
	v_cndmask_b32_e32 v4, v12, v14, vcc_lo
	v_cvt_f32_u32_e32 v23, v6
	v_lshrrev_b32_e32 v6, 16, v7
	v_cmp_lt_f32_e32 vcc_lo, v18, v15
	v_or_b32_e32 v7, 6, v12
	s_delay_alu instid0(VALU_DEP_3) | instskip(SKIP_4) | instid1(VALU_DEP_4)
	v_cvt_f32_u32_e32 v24, v6
	v_dual_cndmask_b32 v5, v18, v15 :: v_dual_cndmask_b32 v4, v4, v16
	v_or_b32_e32 v18, 3, v12
	v_and_b32_e32 v6, 0xffff, v0
	v_lshrrev_b32_e32 v0, 16, v0
	v_cmp_lt_f32_e32 vcc_lo, v5, v17
	s_delay_alu instid0(VALU_DEP_3) | instskip(NEXT) | instid1(VALU_DEP_3)
	v_cvt_f32_u32_e32 v26, v6
	v_cvt_f32_u32_e32 v28, v0
	v_dual_cndmask_b32 v5, v5, v17 :: v_dual_cndmask_b32 v4, v4, v18
	s_delay_alu instid0(VALU_DEP_1) | instskip(NEXT) | instid1(VALU_DEP_2)
	v_cmp_lt_f32_e32 vcc_lo, v5, v19
	v_dual_cndmask_b32 v5, v5, v19 :: v_dual_cndmask_b32 v4, v4, v20
	s_delay_alu instid0(VALU_DEP_1) | instskip(NEXT) | instid1(VALU_DEP_2)
	v_cmp_lt_f32_e32 vcc_lo, v5, v21
	v_dual_cndmask_b32 v5, v5, v21 :: v_dual_cndmask_b32 v4, v4, v22
	s_delay_alu instid0(VALU_DEP_1) | instskip(SKIP_1) | instid1(VALU_DEP_3)
	v_cmp_lt_f32_e32 vcc_lo, v5, v23
	v_cndmask_b32_e32 v5, v5, v23, vcc_lo
	v_cndmask_b32_e32 v4, v4, v7, vcc_lo
	s_delay_alu instid0(VALU_DEP_2) | instskip(NEXT) | instid1(VALU_DEP_2)
	v_cmp_lt_f32_e32 vcc_lo, v5, v24
	v_dual_cndmask_b32 v5, v5, v24 :: v_dual_cndmask_b32 v4, v4, v25
	s_delay_alu instid0(VALU_DEP_1) | instskip(NEXT) | instid1(VALU_DEP_2)
	v_cmp_lt_f32_e32 vcc_lo, v5, v26
	v_cndmask_b32_e32 v0, v4, v27, vcc_lo
	v_dual_cndmask_b32 v4, v5, v26 :: v_dual_and_b32 v5, 0xffff, v1
	v_lshrrev_b32_e32 v1, 16, v1
	s_delay_alu instid0(VALU_DEP_2) | instskip(NEXT) | instid1(VALU_DEP_3)
	v_cmp_lt_f32_e32 vcc_lo, v4, v28
	v_cvt_f32_u32_e32 v30, v5
	s_delay_alu instid0(VALU_DEP_3) | instskip(SKIP_2) | instid1(VALU_DEP_2)
	v_cvt_f32_u32_e32 v32, v1
	v_cndmask_b32_e32 v4, v4, v28, vcc_lo
	v_cndmask_b32_e32 v0, v0, v29, vcc_lo
	v_cmp_lt_f32_e32 vcc_lo, v4, v30
	v_cndmask_b32_e32 v1, v4, v30, vcc_lo
	s_delay_alu instid0(VALU_DEP_3) | instskip(SKIP_2) | instid1(VALU_DEP_4)
	v_cndmask_b32_e32 v0, v0, v31, vcc_lo
	v_and_b32_e32 v4, 0xffff, v2
	v_lshrrev_b32_e32 v2, 16, v2
	v_cmp_lt_f32_e32 vcc_lo, v1, v32
	s_delay_alu instid0(VALU_DEP_3) | instskip(NEXT) | instid1(VALU_DEP_3)
	v_cvt_f32_u32_e32 v34, v4
	v_cvt_f32_u32_e32 v36, v2
	v_dual_cndmask_b32 v1, v1, v32 :: v_dual_and_b32 v2, 0xffff, v3
	v_cndmask_b32_e32 v0, v0, v33, vcc_lo
	s_delay_alu instid0(VALU_DEP_2) | instskip(NEXT) | instid1(VALU_DEP_3)
	v_cvt_f32_u32_e32 v38, v2
	v_cmp_lt_f32_e32 vcc_lo, v1, v34
	v_lshrrev_b32_e32 v2, 16, v3
	s_delay_alu instid0(VALU_DEP_4) | instskip(NEXT) | instid1(VALU_DEP_2)
	v_dual_cndmask_b32 v1, v1, v34 :: v_dual_cndmask_b32 v0, v0, v35
	v_cvt_f32_u32_e32 v40, v2
	s_delay_alu instid0(VALU_DEP_2) | instskip(NEXT) | instid1(VALU_DEP_3)
	v_cmp_lt_f32_e32 vcc_lo, v1, v36
	v_dual_cndmask_b32 v1, v1, v36 :: v_dual_cndmask_b32 v0, v0, v37
	s_delay_alu instid0(VALU_DEP_1) | instskip(NEXT) | instid1(VALU_DEP_2)
	v_cmp_lt_f32_e32 vcc_lo, v1, v38
	v_dual_cndmask_b32 v1, v1, v38 :: v_dual_cndmask_b32 v0, v0, v39
	s_delay_alu instid0(VALU_DEP_1) | instskip(NEXT) | instid1(VALU_DEP_2)
	;; [unrolled: 3-line block ×3, first 2 shown]
	v_mov_b32_dpp v3, v1 quad_perm:[1,0,3,2] row_mask:0xf bank_mask:0xf
	v_mov_b32_dpp v2, v0 quad_perm:[1,0,3,2] row_mask:0xf bank_mask:0xf
	s_delay_alu instid0(VALU_DEP_2) | instskip(NEXT) | instid1(VALU_DEP_2)
	v_cmp_eq_f32_e64 s3, v1, v3
	v_cmp_lt_i32_e32 vcc_lo, v2, v0
	v_cmp_lt_f32_e64 s4, v1, v3
	s_delay_alu instid0(VALU_DEP_3)
	s_and_b32 s3, s3, vcc_lo
	s_delay_alu instid0(VALU_DEP_1) | instid1(SALU_CYCLE_1)
	s_or_b32 vcc_lo, s4, s3
	v_dual_cndmask_b32 v1, v1, v3 :: v_dual_cndmask_b32 v0, v0, v2
	s_delay_alu instid0(VALU_DEP_1) | instskip(NEXT) | instid1(VALU_DEP_2)
	v_mov_b32_dpp v2, v1 quad_perm:[2,3,0,1] row_mask:0xf bank_mask:0xf
	v_mov_b32_dpp v3, v0 quad_perm:[2,3,0,1] row_mask:0xf bank_mask:0xf
	s_delay_alu instid0(VALU_DEP_2) | instskip(NEXT) | instid1(VALU_DEP_2)
	v_cmp_eq_f32_e32 vcc_lo, v1, v2
	v_cmp_lt_i32_e64 s3, v3, v0
	v_cmp_lt_f32_e64 s4, v1, v2
	s_delay_alu instid0(VALU_DEP_2)
	s_and_b32 s3, vcc_lo, s3
	s_delay_alu instid0(VALU_DEP_1) | instid1(SALU_CYCLE_1)
	s_or_b32 vcc_lo, s4, s3
	s_cmp_gt_i32 s8, 0
	v_cndmask_b32_e32 v2, v1, v2, vcc_lo
	v_cndmask_b32_e32 v0, v0, v3, vcc_lo
	s_cselect_b32 s3, -1, 0
	s_delay_alu instid0(SALU_CYCLE_1) | instskip(NEXT) | instid1(VALU_DEP_2)
	s_and_b32 vcc_lo, exec_lo, s3
	v_mov_b32_dpp v4, v2 row_half_mirror row_mask:0xf bank_mask:0xf
	s_delay_alu instid0(VALU_DEP_2)
	v_mov_b32_dpp v6, v0 row_half_mirror row_mask:0xf bank_mask:0xf
	s_cbranch_vccz .LBB280_18
; %bb.7:
	s_load_b128 s[4:7], s[0:1], 0x20
	s_delay_alu instid0(VALU_DEP_2) | instskip(NEXT) | instid1(VALU_DEP_2)
	v_cmp_eq_f32_e32 vcc_lo, v2, v4
	v_cmp_lt_i32_e64 s0, v6, v0
	v_cmp_lt_f32_e64 s1, v2, v4
	v_mul_lo_u32 v1, v10, s11
	v_mul_lo_u32 v3, v10, s14
	;; [unrolled: 1-line block ×3, first 2 shown]
	s_and_b32 s0, vcc_lo, s0
	v_mov_b32_e32 v13, 0
	s_or_b32 vcc_lo, s1, s0
	v_cndmask_b32_e32 v0, v0, v6, vcc_lo
	v_cndmask_b32_e32 v44, v2, v4, vcc_lo
	s_and_saveexec_b32 s1, s2
	s_cbranch_execz .LBB280_9
; %bb.8:
	s_delay_alu instid0(VALU_DEP_1)
	v_sub_f32_e32 v13, v44, v44
	v_cmp_le_i32_e32 vcc_lo, s9, v0
	v_cmp_gt_i32_e64 s0, s10, v0
	v_subrev_nc_u32_e32 v51, s9, v0
	v_ashrrev_i32_e32 v6, 31, v5
	v_mul_f32_e32 v2, 0x3fb8aa3b, v13
	s_delay_alu instid0(VALU_DEP_4) | instskip(NEXT) | instid1(SALU_CYCLE_1)
	s_and_b32 s0, vcc_lo, s0
	s_and_b32 vcc_lo, s17, s0
	s_delay_alu instid0(VALU_DEP_1) | instskip(SKIP_2) | instid1(VALU_DEP_3)
	v_rndne_f32_e32 v47, v2
	v_fma_f32 v4, 0x3fb8aa3b, v13, -v2
	v_lshlrev_b64 v[49:50], 2, v[5:6]
	v_sub_f32_e32 v2, v2, v47
	s_delay_alu instid0(VALU_DEP_3) | instskip(NEXT) | instid1(VALU_DEP_1)
	v_fmamk_f32 v4, v13, 0x32a5705f, v4
	v_add_f32_e32 v4, v2, v4
	v_ashrrev_i32_e32 v2, 31, v1
	s_delay_alu instid0(VALU_DEP_2) | instskip(NEXT) | instid1(VALU_DEP_1)
	v_exp_f32_e32 v52, v4
	v_lshlrev_b64 v[45:46], 2, v[1:2]
	v_ashrrev_i32_e32 v4, 31, v3
	v_cvt_i32_f32_e32 v2, v47
	s_delay_alu instid0(VALU_DEP_2) | instskip(SKIP_3) | instid1(TRANS32_DEP_1)
	v_lshlrev_b64 v[47:48], 2, v[3:4]
	v_cndmask_b32_e32 v4, 0x80, v51, vcc_lo
	v_add_co_u32 v45, vcc_lo, s12, v45
	v_add_co_ci_u32_e32 v46, vcc_lo, s13, v46, vcc_lo
	v_ldexp_f32 v2, v52, v2
	v_cmp_ngt_f32_e32 vcc_lo, 0xc2ce8ed0, v13
	s_delay_alu instid0(VALU_DEP_2)
	v_cndmask_b32_e32 v2, 0, v2, vcc_lo
	s_waitcnt lgkmcnt(0)
	v_add_co_u32 v47, vcc_lo, s4, v47
	v_add_co_ci_u32_e32 v48, vcc_lo, s5, v48, vcc_lo
	v_cmp_nlt_f32_e32 vcc_lo, 0x42b17218, v13
	v_cndmask_b32_e32 v13, 0x7f800000, v2, vcc_lo
	v_add_co_u32 v49, vcc_lo, s6, v49
	v_add_co_ci_u32_e32 v50, vcc_lo, s7, v50, vcc_lo
	global_store_b32 v[47:48], v4, off
	global_store_b32 v[45:46], v13, off
	;; [unrolled: 1-line block ×3, first 2 shown]
.LBB280_9:
	s_or_b32 exec_lo, exec_lo, s1
	v_ashrrev_i32_e32 v4, 31, v0
	s_mov_b32 s0, exec_lo
	s_delay_alu instid0(VALU_DEP_1) | instskip(NEXT) | instid1(VALU_DEP_1)
	v_lshrrev_b32_e32 v2, 28, v4
	v_add_nc_u32_e32 v2, v0, v2
	s_delay_alu instid0(VALU_DEP_1) | instskip(NEXT) | instid1(VALU_DEP_1)
	v_ashrrev_i32_e32 v2, 4, v2
	v_lshrrev_b32_e32 v6, 29, v2
	s_delay_alu instid0(VALU_DEP_1) | instskip(NEXT) | instid1(VALU_DEP_1)
	v_add_nc_u32_e32 v6, v2, v6
	v_and_b32_e32 v6, -8, v6
	s_delay_alu instid0(VALU_DEP_1) | instskip(NEXT) | instid1(VALU_DEP_1)
	v_sub_nc_u32_e32 v6, v2, v6
	v_cmpx_eq_u32_e64 v11, v6
	s_cbranch_execz .LBB280_11
; %bb.10:
	v_lshrrev_b32_e32 v4, 25, v4
	v_lshlrev_b32_e32 v2, 4, v2
	s_delay_alu instid0(VALU_DEP_2) | instskip(NEXT) | instid1(VALU_DEP_2)
	v_add_nc_u32_e32 v4, v0, v4
	v_sub_nc_u32_e32 v0, v0, v2
	s_delay_alu instid0(VALU_DEP_2) | instskip(NEXT) | instid1(VALU_DEP_1)
	v_ashrrev_i32_e32 v2, 7, v4
	v_lshl_add_u32 v0, v2, 4, v0
	s_delay_alu instid0(VALU_DEP_1)
	v_cmp_ne_u32_e32 vcc_lo, 15, v0
	v_cndmask_b32_e32 v40, 0xff800000, v40, vcc_lo
	v_cmp_ne_u32_e32 vcc_lo, 14, v0
	v_cndmask_b32_e32 v38, 0xff800000, v38, vcc_lo
	v_cmp_ne_u32_e32 vcc_lo, 13, v0
	v_cndmask_b32_e32 v36, 0xff800000, v36, vcc_lo
	v_cmp_ne_u32_e32 vcc_lo, 12, v0
	v_cndmask_b32_e32 v34, 0xff800000, v34, vcc_lo
	v_cmp_ne_u32_e32 vcc_lo, 11, v0
	v_cndmask_b32_e32 v32, 0xff800000, v32, vcc_lo
	v_cmp_ne_u32_e32 vcc_lo, 10, v0
	v_cndmask_b32_e32 v30, 0xff800000, v30, vcc_lo
	v_cmp_ne_u32_e32 vcc_lo, 9, v0
	v_cndmask_b32_e32 v28, 0xff800000, v28, vcc_lo
	v_cmp_ne_u32_e32 vcc_lo, 8, v0
	v_cndmask_b32_e32 v26, 0xff800000, v26, vcc_lo
	v_cmp_ne_u32_e32 vcc_lo, 7, v0
	v_cndmask_b32_e32 v24, 0xff800000, v24, vcc_lo
	v_cmp_ne_u32_e32 vcc_lo, 6, v0
	v_cndmask_b32_e32 v23, 0xff800000, v23, vcc_lo
	v_cmp_ne_u32_e32 vcc_lo, 5, v0
	v_cndmask_b32_e32 v21, 0xff800000, v21, vcc_lo
	v_cmp_ne_u32_e32 vcc_lo, 4, v0
	v_cndmask_b32_e32 v19, 0xff800000, v19, vcc_lo
	v_cmp_ne_u32_e32 vcc_lo, 3, v0
	v_cndmask_b32_e32 v17, 0xff800000, v17, vcc_lo
	v_cmp_ne_u32_e32 vcc_lo, 2, v0
	v_cndmask_b32_e32 v15, 0xff800000, v15, vcc_lo
	v_cmp_ne_u32_e32 vcc_lo, 1, v0
	v_cndmask_b32_e32 v9, 0xff800000, v9, vcc_lo
	v_cmp_ne_u32_e32 vcc_lo, 0, v0
	v_cndmask_b32_e32 v8, 0xff800000, v8, vcc_lo
.LBB280_11:
	s_or_b32 exec_lo, exec_lo, s0
	s_cmp_eq_u32 s8, 1
	s_cbranch_scc1 .LBB280_18
; %bb.12:
	s_add_i32 s18, s18, s16
	v_add_nc_u32_e32 v0, 1, v5
	v_add3_u32 v6, s18, v43, v42
	v_add_nc_u32_e32 v2, 1, v3
	v_add_nc_u32_e32 v4, 1, v1
	s_add_i32 s14, s8, -1
	s_branch .LBB280_14
.LBB280_13:                             ;   in Loop: Header=BB280_14 Depth=1
	s_or_b32 exec_lo, exec_lo, s0
	v_add_nc_u32_e32 v6, s16, v6
	v_add_nc_u32_e32 v0, 1, v0
	;; [unrolled: 1-line block ×4, first 2 shown]
	s_add_i32 s14, s14, -1
	s_delay_alu instid0(SALU_CYCLE_1)
	s_cmp_eq_u32 s14, 0
	s_cbranch_scc1 .LBB280_18
.LBB280_14:                             ; =>This Inner Loop Header: Depth=1
	v_cmp_gt_f32_e32 vcc_lo, v9, v8
	v_cndmask_b32_e32 v3, v8, v9, vcc_lo
	v_cndmask_b32_e32 v1, v12, v14, vcc_lo
	s_delay_alu instid0(VALU_DEP_2) | instskip(SKIP_1) | instid1(VALU_DEP_3)
	v_cmp_gt_f32_e32 vcc_lo, v15, v3
	v_cndmask_b32_e32 v3, v3, v15, vcc_lo
	v_cndmask_b32_e32 v1, v1, v16, vcc_lo
	s_delay_alu instid0(VALU_DEP_2) | instskip(SKIP_1) | instid1(VALU_DEP_3)
	;; [unrolled: 4-line block ×13, first 2 shown]
	v_cmp_gt_f32_e32 vcc_lo, v38, v3
	v_cndmask_b32_e32 v3, v3, v38, vcc_lo
	v_cndmask_b32_e32 v1, v1, v39, vcc_lo
	s_delay_alu instid0(VALU_DEP_2) | instskip(NEXT) | instid1(VALU_DEP_2)
	v_cmp_gt_f32_e32 vcc_lo, v40, v3
	v_cndmask_b32_e32 v1, v1, v41, vcc_lo
	v_cndmask_b32_e32 v3, v3, v40, vcc_lo
	s_delay_alu instid0(VALU_DEP_2) | instskip(NEXT) | instid1(VALU_DEP_2)
	v_mov_b32_dpp v5, v1 quad_perm:[1,0,3,2] row_mask:0xf bank_mask:0xf
	v_mov_b32_dpp v42, v3 quad_perm:[1,0,3,2] row_mask:0xf bank_mask:0xf
	s_delay_alu instid0(VALU_DEP_2) | instskip(NEXT) | instid1(VALU_DEP_2)
	v_cmp_lt_i32_e32 vcc_lo, v5, v1
	v_cmp_eq_f32_e64 s0, v3, v42
	v_cmp_lt_f32_e64 s1, v3, v42
	s_delay_alu instid0(VALU_DEP_2)
	s_and_b32 s0, s0, vcc_lo
	s_delay_alu instid0(VALU_DEP_1) | instid1(SALU_CYCLE_1)
	s_or_b32 vcc_lo, s1, s0
	v_cndmask_b32_e32 v3, v3, v42, vcc_lo
	v_cndmask_b32_e32 v5, v1, v5, vcc_lo
	s_delay_alu instid0(VALU_DEP_2) | instskip(NEXT) | instid1(VALU_DEP_2)
	v_mov_b32_dpp v1, v3 quad_perm:[2,3,0,1] row_mask:0xf bank_mask:0xf
	v_mov_b32_dpp v42, v5 quad_perm:[2,3,0,1] row_mask:0xf bank_mask:0xf
	s_delay_alu instid0(VALU_DEP_2) | instskip(NEXT) | instid1(VALU_DEP_2)
	v_cmp_eq_f32_e32 vcc_lo, v3, v1
	v_cmp_lt_i32_e64 s0, v42, v5
	v_cmp_lt_f32_e64 s1, v3, v1
	s_delay_alu instid0(VALU_DEP_2)
	s_and_b32 s0, vcc_lo, s0
	s_delay_alu instid0(VALU_DEP_1) | instid1(SALU_CYCLE_1)
	s_or_b32 vcc_lo, s1, s0
	v_cndmask_b32_e32 v1, v3, v1, vcc_lo
	v_cndmask_b32_e32 v5, v5, v42, vcc_lo
	s_delay_alu instid0(VALU_DEP_2) | instskip(NEXT) | instid1(VALU_DEP_2)
	v_mov_b32_dpp v3, v1 row_half_mirror row_mask:0xf bank_mask:0xf
	v_mov_b32_dpp v42, v5 row_half_mirror row_mask:0xf bank_mask:0xf
	s_delay_alu instid0(VALU_DEP_2) | instskip(NEXT) | instid1(VALU_DEP_2)
	v_cmp_eq_f32_e32 vcc_lo, v1, v3
	v_cmp_lt_i32_e64 s0, v42, v5
	v_cmp_lt_f32_e64 s1, v1, v3
	s_delay_alu instid0(VALU_DEP_2)
	s_and_b32 s0, vcc_lo, s0
	s_delay_alu instid0(VALU_DEP_1) | instid1(SALU_CYCLE_1)
	s_or_b32 vcc_lo, s1, s0
	v_cndmask_b32_e32 v42, v5, v42, vcc_lo
	s_and_saveexec_b32 s1, s2
	s_cbranch_execz .LBB280_16
; %bb.15:                               ;   in Loop: Header=BB280_14 Depth=1
	v_cndmask_b32_e32 v1, v1, v3, vcc_lo
	s_delay_alu instid0(VALU_DEP_2) | instskip(SKIP_4) | instid1(VALU_DEP_4)
	v_cmp_le_i32_e32 vcc_lo, s9, v42
	v_cmp_gt_i32_e64 s0, s10, v42
	v_ashrrev_i32_e32 v5, 31, v4
	v_subrev_nc_u32_e32 v51, s9, v42
	v_sub_f32_e32 v43, v1, v44
	s_and_b32 s0, vcc_lo, s0
	s_delay_alu instid0(SALU_CYCLE_1) | instskip(NEXT) | instid1(VALU_DEP_1)
	s_and_b32 vcc_lo, s17, s0
	v_mul_f32_e32 v1, 0x3fb8aa3b, v43
	s_delay_alu instid0(VALU_DEP_1) | instskip(SKIP_1) | instid1(VALU_DEP_2)
	v_fma_f32 v3, 0x3fb8aa3b, v43, -v1
	v_rndne_f32_e32 v45, v1
	v_fmac_f32_e32 v3, 0x32a5705f, v43
	s_delay_alu instid0(VALU_DEP_2) | instskip(SKIP_2) | instid1(VALU_DEP_3)
	v_sub_f32_e32 v1, v1, v45
	v_cvt_i32_f32_e32 v50, v45
	v_lshlrev_b64 v[45:46], 2, v[4:5]
	v_add_f32_e32 v1, v1, v3
	v_ashrrev_i32_e32 v3, 31, v2
	s_delay_alu instid0(VALU_DEP_2) | instskip(SKIP_1) | instid1(VALU_DEP_2)
	v_exp_f32_e32 v49, v1
	v_ashrrev_i32_e32 v1, 31, v0
	v_lshlrev_b64 v[47:48], 2, v[2:3]
	s_waitcnt_depctr 0xfff
	v_ldexp_f32 v3, v49, v50
	v_lshlrev_b64 v[49:50], 2, v[0:1]
	v_cndmask_b32_e32 v1, 0x80, v51, vcc_lo
	v_cmp_ngt_f32_e32 vcc_lo, 0xc2ce8ed0, v43
	s_delay_alu instid0(VALU_DEP_4) | instskip(SKIP_3) | instid1(VALU_DEP_4)
	v_cndmask_b32_e32 v3, 0, v3, vcc_lo
	v_add_co_u32 v45, vcc_lo, s12, v45
	v_add_co_ci_u32_e32 v46, vcc_lo, s13, v46, vcc_lo
	v_cmp_nlt_f32_e32 vcc_lo, 0x42b17218, v43
	v_cndmask_b32_e32 v3, 0x7f800000, v3, vcc_lo
	s_waitcnt lgkmcnt(0)
	v_add_co_u32 v47, vcc_lo, s4, v47
	v_add_co_ci_u32_e32 v48, vcc_lo, s5, v48, vcc_lo
	v_add_co_u32 v49, vcc_lo, s6, v49
	v_add_f32_e32 v13, v13, v3
	v_add_co_ci_u32_e32 v50, vcc_lo, s7, v50, vcc_lo
	global_store_b32 v[45:46], v3, off
	global_store_b32 v[47:48], v1, off
	;; [unrolled: 1-line block ×3, first 2 shown]
.LBB280_16:                             ;   in Loop: Header=BB280_14 Depth=1
	s_or_b32 exec_lo, exec_lo, s1
	s_delay_alu instid0(VALU_DEP_1) | instskip(SKIP_1) | instid1(VALU_DEP_1)
	v_ashrrev_i32_e32 v3, 31, v42
	s_mov_b32 s0, exec_lo
	v_lshrrev_b32_e32 v1, 28, v3
	s_delay_alu instid0(VALU_DEP_1) | instskip(NEXT) | instid1(VALU_DEP_1)
	v_add_nc_u32_e32 v1, v42, v1
	v_ashrrev_i32_e32 v1, 4, v1
	s_delay_alu instid0(VALU_DEP_1) | instskip(NEXT) | instid1(VALU_DEP_1)
	v_lshrrev_b32_e32 v5, 29, v1
	v_add_nc_u32_e32 v5, v1, v5
	s_delay_alu instid0(VALU_DEP_1) | instskip(NEXT) | instid1(VALU_DEP_1)
	v_and_b32_e32 v5, -8, v5
	v_sub_nc_u32_e32 v5, v1, v5
	s_delay_alu instid0(VALU_DEP_1)
	v_cmpx_eq_u32_e64 v11, v5
	s_cbranch_execz .LBB280_13
; %bb.17:                               ;   in Loop: Header=BB280_14 Depth=1
	v_lshrrev_b32_e32 v3, 25, v3
	v_lshlrev_b32_e32 v1, 4, v1
	s_delay_alu instid0(VALU_DEP_2) | instskip(NEXT) | instid1(VALU_DEP_2)
	v_add_nc_u32_e32 v3, v42, v3
	v_sub_nc_u32_e32 v1, v42, v1
	s_delay_alu instid0(VALU_DEP_2) | instskip(NEXT) | instid1(VALU_DEP_1)
	v_ashrrev_i32_e32 v3, 7, v3
	v_lshl_add_u32 v1, v3, 4, v1
	s_delay_alu instid0(VALU_DEP_1)
	v_cmp_ne_u32_e32 vcc_lo, 15, v1
	v_cndmask_b32_e32 v40, 0xff800000, v40, vcc_lo
	v_cmp_ne_u32_e32 vcc_lo, 14, v1
	v_cndmask_b32_e32 v38, 0xff800000, v38, vcc_lo
	;; [unrolled: 2-line block ×16, first 2 shown]
	s_branch .LBB280_13
.LBB280_18:
	v_cmp_neq_f32_e32 vcc_lo, 0, v13
	s_and_b32 s0, s2, vcc_lo
	s_delay_alu instid0(SALU_CYCLE_1)
	s_and_b32 exec_lo, exec_lo, s0
	s_cbranch_execz .LBB280_22
; %bb.19:
	s_and_not1_b32 vcc_lo, exec_lo, s3
	s_cbranch_vccnz .LBB280_22
; %bb.20:
	v_div_scale_f32 v1, null, v13, v13, 1.0
	v_div_scale_f32 v3, vcc_lo, 1.0, v13, 1.0
	s_delay_alu instid0(VALU_DEP_2) | instskip(SKIP_2) | instid1(VALU_DEP_1)
	v_rcp_f32_e32 v2, v1
	s_waitcnt_depctr 0xfff
	v_fma_f32 v0, -v1, v2, 1.0
	v_fmac_f32_e32 v2, v0, v2
	v_mul_lo_u32 v0, v10, s11
	s_delay_alu instid0(VALU_DEP_2) | instskip(NEXT) | instid1(VALU_DEP_1)
	v_mul_f32_e32 v4, v3, v2
	v_fma_f32 v5, -v1, v4, v3
	s_delay_alu instid0(VALU_DEP_1) | instskip(NEXT) | instid1(VALU_DEP_1)
	v_fmac_f32_e32 v4, v5, v2
	v_fma_f32 v3, -v1, v4, v3
	v_ashrrev_i32_e32 v1, 31, v0
	s_delay_alu instid0(VALU_DEP_2) | instskip(NEXT) | instid1(VALU_DEP_2)
	v_div_fmas_f32 v2, v3, v2, v4
	v_lshlrev_b64 v[0:1], 2, v[0:1]
	s_delay_alu instid0(VALU_DEP_2) | instskip(NEXT) | instid1(VALU_DEP_2)
	v_div_fixup_f32 v2, v2, v13, 1.0
	v_add_co_u32 v0, vcc_lo, s12, v0
	s_delay_alu instid0(VALU_DEP_3)
	v_add_co_ci_u32_e32 v1, vcc_lo, s13, v1, vcc_lo
.LBB280_21:                             ; =>This Inner Loop Header: Depth=1
	global_load_b32 v3, v[0:1], off
	s_add_i32 s8, s8, -1
	s_delay_alu instid0(SALU_CYCLE_1)
	s_cmp_lg_u32 s8, 0
	s_waitcnt vmcnt(0)
	v_mul_f32_e32 v3, v2, v3
	global_store_b32 v[0:1], v3, off
	v_add_co_u32 v0, vcc_lo, v0, 4
	v_add_co_ci_u32_e32 v1, vcc_lo, 0, v1, vcc_lo
	s_cbranch_scc1 .LBB280_21
.LBB280_22:
	s_nop 0
	s_sendmsg sendmsg(MSG_DEALLOC_VGPRS)
	s_endpgm
	.section	.rodata,"a",@progbits
	.p2align	6, 0x0
	.amdhsa_kernel _ZN4vllm3moe17topkGatingSoftmaxItLi16ELi128ELi8ELi32ELb1ELi1ELNS0_23SharedExpertScoringFuncE1EEEvPKT_PKbPfiPiS9_iiiiii
		.amdhsa_group_segment_fixed_size 0
		.amdhsa_private_segment_fixed_size 0
		.amdhsa_kernarg_size 72
		.amdhsa_user_sgpr_count 15
		.amdhsa_user_sgpr_dispatch_ptr 0
		.amdhsa_user_sgpr_queue_ptr 0
		.amdhsa_user_sgpr_kernarg_segment_ptr 1
		.amdhsa_user_sgpr_dispatch_id 0
		.amdhsa_user_sgpr_private_segment_size 0
		.amdhsa_wavefront_size32 1
		.amdhsa_uses_dynamic_stack 0
		.amdhsa_enable_private_segment 0
		.amdhsa_system_sgpr_workgroup_id_x 1
		.amdhsa_system_sgpr_workgroup_id_y 0
		.amdhsa_system_sgpr_workgroup_id_z 0
		.amdhsa_system_sgpr_workgroup_info 0
		.amdhsa_system_vgpr_workitem_id 1
		.amdhsa_next_free_vgpr 53
		.amdhsa_next_free_sgpr 19
		.amdhsa_reserve_vcc 1
		.amdhsa_float_round_mode_32 0
		.amdhsa_float_round_mode_16_64 0
		.amdhsa_float_denorm_mode_32 3
		.amdhsa_float_denorm_mode_16_64 3
		.amdhsa_dx10_clamp 1
		.amdhsa_ieee_mode 1
		.amdhsa_fp16_overflow 0
		.amdhsa_workgroup_processor_mode 1
		.amdhsa_memory_ordered 1
		.amdhsa_forward_progress 0
		.amdhsa_shared_vgpr_count 0
		.amdhsa_exception_fp_ieee_invalid_op 0
		.amdhsa_exception_fp_denorm_src 0
		.amdhsa_exception_fp_ieee_div_zero 0
		.amdhsa_exception_fp_ieee_overflow 0
		.amdhsa_exception_fp_ieee_underflow 0
		.amdhsa_exception_fp_ieee_inexact 0
		.amdhsa_exception_int_div_zero 0
	.end_amdhsa_kernel
	.section	.text._ZN4vllm3moe17topkGatingSoftmaxItLi16ELi128ELi8ELi32ELb1ELi1ELNS0_23SharedExpertScoringFuncE1EEEvPKT_PKbPfiPiS9_iiiiii,"axG",@progbits,_ZN4vllm3moe17topkGatingSoftmaxItLi16ELi128ELi8ELi32ELb1ELi1ELNS0_23SharedExpertScoringFuncE1EEEvPKT_PKbPfiPiS9_iiiiii,comdat
.Lfunc_end280:
	.size	_ZN4vllm3moe17topkGatingSoftmaxItLi16ELi128ELi8ELi32ELb1ELi1ELNS0_23SharedExpertScoringFuncE1EEEvPKT_PKbPfiPiS9_iiiiii, .Lfunc_end280-_ZN4vllm3moe17topkGatingSoftmaxItLi16ELi128ELi8ELi32ELb1ELi1ELNS0_23SharedExpertScoringFuncE1EEEvPKT_PKbPfiPiS9_iiiiii
                                        ; -- End function
	.section	.AMDGPU.csdata,"",@progbits
; Kernel info:
; codeLenInByte = 3164
; NumSgprs: 21
; NumVgprs: 53
; ScratchSize: 0
; MemoryBound: 0
; FloatMode: 240
; IeeeMode: 1
; LDSByteSize: 0 bytes/workgroup (compile time only)
; SGPRBlocks: 2
; VGPRBlocks: 6
; NumSGPRsForWavesPerEU: 21
; NumVGPRsForWavesPerEU: 53
; Occupancy: 16
; WaveLimiterHint : 0
; COMPUTE_PGM_RSRC2:SCRATCH_EN: 0
; COMPUTE_PGM_RSRC2:USER_SGPR: 15
; COMPUTE_PGM_RSRC2:TRAP_HANDLER: 0
; COMPUTE_PGM_RSRC2:TGID_X_EN: 1
; COMPUTE_PGM_RSRC2:TGID_Y_EN: 0
; COMPUTE_PGM_RSRC2:TGID_Z_EN: 0
; COMPUTE_PGM_RSRC2:TIDIG_COMP_CNT: 1
	.section	.text._ZN4vllm3moe17topkGatingSoftmaxItLi16ELi128ELi8ELi32ELb0ELi1ELNS0_23SharedExpertScoringFuncE1EEEvPKT_PKbPfiPiS9_iiiiii,"axG",@progbits,_ZN4vllm3moe17topkGatingSoftmaxItLi16ELi128ELi8ELi32ELb0ELi1ELNS0_23SharedExpertScoringFuncE1EEEvPKT_PKbPfiPiS9_iiiiii,comdat
	.protected	_ZN4vllm3moe17topkGatingSoftmaxItLi16ELi128ELi8ELi32ELb0ELi1ELNS0_23SharedExpertScoringFuncE1EEEvPKT_PKbPfiPiS9_iiiiii ; -- Begin function _ZN4vllm3moe17topkGatingSoftmaxItLi16ELi128ELi8ELi32ELb0ELi1ELNS0_23SharedExpertScoringFuncE1EEEvPKT_PKbPfiPiS9_iiiiii
	.globl	_ZN4vllm3moe17topkGatingSoftmaxItLi16ELi128ELi8ELi32ELb0ELi1ELNS0_23SharedExpertScoringFuncE1EEEvPKT_PKbPfiPiS9_iiiiii
	.p2align	8
	.type	_ZN4vllm3moe17topkGatingSoftmaxItLi16ELi128ELi8ELi32ELb0ELi1ELNS0_23SharedExpertScoringFuncE1EEEvPKT_PKbPfiPiS9_iiiiii,@function
_ZN4vllm3moe17topkGatingSoftmaxItLi16ELi128ELi8ELi32ELb0ELi1ELNS0_23SharedExpertScoringFuncE1EEEvPKT_PKbPfiPiS9_iiiiii: ; @_ZN4vllm3moe17topkGatingSoftmaxItLi16ELi128ELi8ELi32ELb0ELi1ELNS0_23SharedExpertScoringFuncE1EEEvPKT_PKbPfiPiS9_iiiiii
; %bb.0:
	s_load_b32 s16, s[0:1], 0x18
	v_bfe_u32 v1, v0, 10, 10
	v_and_b32_e32 v0, 0x3ff, v0
	s_lshl_b32 s18, s15, 5
	s_mov_b32 s2, exec_lo
	s_delay_alu instid0(VALU_DEP_2) | instskip(NEXT) | instid1(VALU_DEP_2)
	v_lshlrev_b32_e32 v42, 2, v1
	v_lshrrev_b32_e32 v43, 3, v0
	s_delay_alu instid0(VALU_DEP_1) | instskip(SKIP_1) | instid1(VALU_DEP_1)
	v_add3_u32 v10, s18, v42, v43
	s_waitcnt lgkmcnt(0)
	v_cmpx_gt_i32_e64 s16, v10
	s_cbranch_execz .LBB281_23
; %bb.1:
	s_clause 0x1
	s_load_b128 s[4:7], s[0:1], 0x0
	s_load_b64 s[12:13], s[0:1], 0x10
	s_waitcnt lgkmcnt(0)
	s_cmp_eq_u64 s[6:7], 0
	s_cbranch_scc1 .LBB281_3
; %bb.2:
	v_ashrrev_i32_e32 v2, 31, v10
	v_add_co_u32 v1, vcc_lo, s6, v10
	s_delay_alu instid0(VALU_DEP_2) | instskip(SKIP_3) | instid1(VALU_DEP_1)
	v_add_co_ci_u32_e32 v2, vcc_lo, s7, v2, vcc_lo
	global_load_u8 v1, v[1:2], off
	s_waitcnt vmcnt(0)
	v_and_b32_e32 v1, 1, v1
	v_cmp_eq_u32_e32 vcc_lo, 1, v1
	s_xor_b32 s2, vcc_lo, -1
	s_delay_alu instid0(SALU_CYCLE_1)
	s_or_not1_b32 s17, s2, exec_lo
	s_branch .LBB281_4
.LBB281_3:
	s_mov_b32 s17, -1
.LBB281_4:
	s_clause 0x1
	s_load_b64 s[14:15], s[0:1], 0x40
	s_load_b128 s[8:11], s[0:1], 0x30
	v_and_b32_e32 v21, 7, v0
	s_delay_alu instid0(VALU_DEP_1) | instskip(SKIP_3) | instid1(VALU_DEP_1)
	v_dual_mov_b32 v11, 0 :: v_dual_lshlrev_b32 v22, 4, v21
	v_cmp_eq_u32_e64 s2, 0, v21
	s_waitcnt lgkmcnt(0)
	v_mul_lo_u32 v1, v10, s15
	v_ashrrev_i32_e32 v2, 31, v1
	s_delay_alu instid0(VALU_DEP_1) | instskip(SKIP_1) | instid1(VALU_DEP_2)
	v_lshlrev_b64 v[0:1], 1, v[1:2]
	v_lshlrev_b32_e32 v2, 5, v21
	v_add_co_u32 v8, vcc_lo, s4, v0
	s_delay_alu instid0(VALU_DEP_3) | instskip(NEXT) | instid1(VALU_DEP_2)
	v_add_co_ci_u32_e32 v9, vcc_lo, s5, v1, vcc_lo
	v_add_co_u32 v4, vcc_lo, v8, v2
	s_delay_alu instid0(VALU_DEP_2)
	v_add_co_ci_u32_e32 v5, vcc_lo, 0, v9, vcc_lo
	s_clause 0x1
	global_load_b128 v[0:3], v[4:5], off offset:16
	global_load_b128 v[4:7], v[4:5], off
	s_and_saveexec_b32 s3, s2
	s_cbranch_execz .LBB281_6
; %bb.5:
	global_load_u16 v8, v[8:9], off offset:256
	s_waitcnt vmcnt(0)
	v_cvt_f32_u32_e32 v8, v8
	s_delay_alu instid0(VALU_DEP_1) | instskip(SKIP_1) | instid1(VALU_DEP_2)
	v_mul_f32_e32 v9, 0xbfb8aa3b, v8
	v_cmp_nlt_f32_e32 vcc_lo, 0x42ce8ed0, v8
	v_rndne_f32_e32 v12, v9
	v_fma_f32 v13, 0xbfb8aa3b, v8, -v9
	s_delay_alu instid0(VALU_DEP_2) | instskip(NEXT) | instid1(VALU_DEP_2)
	v_sub_f32_e32 v9, v9, v12
	v_fmamk_f32 v13, v8, 0xb2a5705f, v13
	v_cvt_i32_f32_e32 v12, v12
	s_delay_alu instid0(VALU_DEP_2) | instskip(NEXT) | instid1(VALU_DEP_1)
	v_add_f32_e32 v9, v9, v13
	v_exp_f32_e32 v9, v9
	s_waitcnt_depctr 0xfff
	v_ldexp_f32 v9, v9, v12
	s_delay_alu instid0(VALU_DEP_1) | instskip(SKIP_1) | instid1(VALU_DEP_2)
	v_cndmask_b32_e32 v9, 0, v9, vcc_lo
	v_cmp_ngt_f32_e32 vcc_lo, 0xc2b17218, v8
	v_cndmask_b32_e32 v8, 0x7f800000, v9, vcc_lo
	s_delay_alu instid0(VALU_DEP_1) | instskip(NEXT) | instid1(VALU_DEP_1)
	v_add_f32_e32 v12, 1.0, v8
	v_div_scale_f32 v13, null, v12, v12, 1.0
	v_div_scale_f32 v15, vcc_lo, 1.0, v12, 1.0
	s_delay_alu instid0(VALU_DEP_2) | instskip(SKIP_2) | instid1(VALU_DEP_1)
	v_rcp_f32_e32 v14, v13
	s_waitcnt_depctr 0xfff
	v_fma_f32 v8, -v13, v14, 1.0
	v_fmac_f32_e32 v14, v8, v14
	v_mad_u64_u32 v[8:9], null, v10, s11, s[8:9]
	s_delay_alu instid0(VALU_DEP_2) | instskip(NEXT) | instid1(VALU_DEP_2)
	v_mul_f32_e32 v16, v15, v14
	v_ashrrev_i32_e32 v9, 31, v8
	s_delay_alu instid0(VALU_DEP_2) | instskip(NEXT) | instid1(VALU_DEP_2)
	v_fma_f32 v17, -v13, v16, v15
	v_lshlrev_b64 v[8:9], 2, v[8:9]
	s_delay_alu instid0(VALU_DEP_2) | instskip(NEXT) | instid1(VALU_DEP_1)
	v_fmac_f32_e32 v16, v17, v14
	v_fma_f32 v13, -v13, v16, v15
	s_delay_alu instid0(VALU_DEP_1) | instskip(NEXT) | instid1(VALU_DEP_4)
	v_div_fmas_f32 v13, v13, v14, v16
	v_add_co_u32 v8, vcc_lo, s12, v8
	v_add_co_ci_u32_e32 v9, vcc_lo, s13, v9, vcc_lo
	s_delay_alu instid0(VALU_DEP_3)
	v_div_fixup_f32 v12, v13, v12, 1.0
	global_store_b32 v[8:9], v12, off
.LBB281_6:
	s_or_b32 exec_lo, exec_lo, s3
	s_waitcnt vmcnt(0)
	v_and_b32_e32 v8, 0xffff, v4
	v_lshrrev_b32_e32 v4, 16, v4
	v_or_b32_e32 v28, 1, v22
	v_or_b32_e32 v29, 2, v22
	;; [unrolled: 1-line block ×3, first 2 shown]
	v_cvt_f32_u32_e32 v25, v8
	v_cvt_f32_u32_e32 v23, v4
	v_or_b32_e32 v31, 4, v22
	v_or_b32_e32 v32, 5, v22
	;; [unrolled: 1-line block ×4, first 2 shown]
	v_cmp_lt_f32_e32 vcc_lo, v25, v23
	v_or_b32_e32 v35, 8, v22
	v_or_b32_e32 v36, 9, v22
	;; [unrolled: 1-line block ×4, first 2 shown]
	v_cndmask_b32_e32 v8, v25, v23, vcc_lo
	v_and_b32_e32 v4, 0xffff, v5
	v_lshrrev_b32_e32 v5, 16, v5
	v_or_b32_e32 v39, 12, v22
	v_or_b32_e32 v40, 13, v22
	;; [unrolled: 1-line block ×3, first 2 shown]
	v_cvt_f32_u32_e32 v27, v4
	v_cndmask_b32_e32 v4, v22, v28, vcc_lo
	v_cvt_f32_u32_e32 v26, v5
	v_or_b32_e32 v44, 15, v22
	s_delay_alu instid0(VALU_DEP_4) | instskip(SKIP_2) | instid1(VALU_DEP_2)
	v_cmp_lt_f32_e32 vcc_lo, v8, v27
	v_dual_cndmask_b32 v5, v8, v27 :: v_dual_and_b32 v8, 0xffff, v6
	v_lshrrev_b32_e32 v6, 16, v6
	v_cvt_f32_u32_e32 v24, v8
	v_cndmask_b32_e32 v4, v4, v29, vcc_lo
	s_delay_alu instid0(VALU_DEP_4) | instskip(NEXT) | instid1(VALU_DEP_4)
	v_cmp_lt_f32_e32 vcc_lo, v5, v26
	v_cvt_f32_u32_e32 v20, v6
	v_dual_cndmask_b32 v5, v5, v26 :: v_dual_and_b32 v6, 0xffff, v7
	s_delay_alu instid0(VALU_DEP_4) | instskip(NEXT) | instid1(VALU_DEP_2)
	v_cndmask_b32_e32 v4, v4, v30, vcc_lo
	v_cvt_f32_u32_e32 v19, v6
	v_lshrrev_b32_e32 v6, 16, v7
	s_delay_alu instid0(VALU_DEP_4) | instskip(NEXT) | instid1(VALU_DEP_2)
	v_cmp_lt_f32_e32 vcc_lo, v5, v24
	v_cvt_f32_u32_e32 v18, v6
	v_and_b32_e32 v6, 0xffff, v0
	v_dual_cndmask_b32 v5, v5, v24 :: v_dual_cndmask_b32 v4, v4, v31
	v_lshrrev_b32_e32 v0, 16, v0
	s_delay_alu instid0(VALU_DEP_3) | instskip(NEXT) | instid1(VALU_DEP_3)
	v_cvt_f32_u32_e32 v17, v6
	v_cmp_lt_f32_e32 vcc_lo, v5, v20
	s_delay_alu instid0(VALU_DEP_3) | instskip(SKIP_2) | instid1(VALU_DEP_2)
	v_cvt_f32_u32_e32 v16, v0
	v_cndmask_b32_e32 v5, v5, v20, vcc_lo
	v_cndmask_b32_e32 v4, v4, v32, vcc_lo
	v_cmp_lt_f32_e32 vcc_lo, v5, v19
	s_delay_alu instid0(VALU_DEP_2) | instskip(NEXT) | instid1(VALU_DEP_1)
	v_dual_cndmask_b32 v5, v5, v19 :: v_dual_cndmask_b32 v4, v4, v33
	v_cmp_lt_f32_e32 vcc_lo, v5, v18
	v_cndmask_b32_e32 v5, v5, v18, vcc_lo
	s_delay_alu instid0(VALU_DEP_3) | instskip(NEXT) | instid1(VALU_DEP_2)
	v_cndmask_b32_e32 v4, v4, v34, vcc_lo
	v_cmp_lt_f32_e32 vcc_lo, v5, v17
	s_delay_alu instid0(VALU_DEP_2) | instskip(SKIP_3) | instid1(VALU_DEP_3)
	v_cndmask_b32_e32 v0, v4, v35, vcc_lo
	v_cndmask_b32_e32 v4, v5, v17, vcc_lo
	v_and_b32_e32 v5, 0xffff, v1
	v_lshrrev_b32_e32 v1, 16, v1
	v_cmp_lt_f32_e32 vcc_lo, v4, v16
	s_delay_alu instid0(VALU_DEP_3) | instskip(NEXT) | instid1(VALU_DEP_3)
	v_cvt_f32_u32_e32 v15, v5
	v_cvt_f32_u32_e32 v14, v1
	v_cndmask_b32_e32 v4, v4, v16, vcc_lo
	v_cndmask_b32_e32 v0, v0, v36, vcc_lo
	s_delay_alu instid0(VALU_DEP_2) | instskip(SKIP_1) | instid1(VALU_DEP_3)
	v_cmp_lt_f32_e32 vcc_lo, v4, v15
	v_cndmask_b32_e32 v1, v4, v15, vcc_lo
	v_cndmask_b32_e32 v0, v0, v37, vcc_lo
	v_and_b32_e32 v4, 0xffff, v2
	v_lshrrev_b32_e32 v2, 16, v2
	s_delay_alu instid0(VALU_DEP_4) | instskip(NEXT) | instid1(VALU_DEP_3)
	v_cmp_lt_f32_e32 vcc_lo, v1, v14
	v_cvt_f32_u32_e32 v13, v4
	s_delay_alu instid0(VALU_DEP_3) | instskip(SKIP_2) | instid1(VALU_DEP_2)
	v_cvt_f32_u32_e32 v9, v2
	v_dual_cndmask_b32 v1, v1, v14 :: v_dual_and_b32 v2, 0xffff, v3
	v_cndmask_b32_e32 v0, v0, v38, vcc_lo
	v_cvt_f32_u32_e32 v8, v2
	s_delay_alu instid0(VALU_DEP_3) | instskip(SKIP_1) | instid1(VALU_DEP_4)
	v_cmp_lt_f32_e32 vcc_lo, v1, v13
	v_lshrrev_b32_e32 v2, 16, v3
	v_dual_cndmask_b32 v1, v1, v13 :: v_dual_cndmask_b32 v0, v0, v39
	s_delay_alu instid0(VALU_DEP_2) | instskip(NEXT) | instid1(VALU_DEP_2)
	v_cvt_f32_u32_e32 v7, v2
	v_cmp_lt_f32_e32 vcc_lo, v1, v9
	s_delay_alu instid0(VALU_DEP_3) | instskip(NEXT) | instid1(VALU_DEP_1)
	v_dual_cndmask_b32 v1, v1, v9 :: v_dual_cndmask_b32 v0, v0, v40
	v_cmp_lt_f32_e32 vcc_lo, v1, v8
	s_delay_alu instid0(VALU_DEP_2) | instskip(NEXT) | instid1(VALU_DEP_1)
	v_dual_cndmask_b32 v1, v1, v8 :: v_dual_cndmask_b32 v0, v0, v41
	v_cmp_lt_f32_e32 vcc_lo, v1, v7
	s_delay_alu instid0(VALU_DEP_2) | instskip(NEXT) | instid1(VALU_DEP_1)
	v_dual_cndmask_b32 v0, v0, v44 :: v_dual_cndmask_b32 v1, v1, v7
	v_mov_b32_dpp v3, v0 quad_perm:[1,0,3,2] row_mask:0xf bank_mask:0xf
	s_delay_alu instid0(VALU_DEP_2) | instskip(NEXT) | instid1(VALU_DEP_2)
	v_mov_b32_dpp v2, v1 quad_perm:[1,0,3,2] row_mask:0xf bank_mask:0xf
	v_cmp_lt_i32_e64 s3, v3, v0
	s_delay_alu instid0(VALU_DEP_2) | instskip(SKIP_1) | instid1(VALU_DEP_3)
	v_cmp_eq_f32_e32 vcc_lo, v1, v2
	v_cmp_lt_f32_e64 s4, v1, v2
	s_and_b32 s3, vcc_lo, s3
	s_delay_alu instid0(VALU_DEP_1) | instid1(SALU_CYCLE_1)
	s_or_b32 vcc_lo, s4, s3
	v_dual_cndmask_b32 v1, v1, v2 :: v_dual_cndmask_b32 v0, v0, v3
	s_delay_alu instid0(VALU_DEP_1) | instskip(NEXT) | instid1(VALU_DEP_2)
	v_mov_b32_dpp v2, v1 quad_perm:[2,3,0,1] row_mask:0xf bank_mask:0xf
	v_mov_b32_dpp v3, v0 quad_perm:[2,3,0,1] row_mask:0xf bank_mask:0xf
	s_delay_alu instid0(VALU_DEP_2) | instskip(NEXT) | instid1(VALU_DEP_2)
	v_cmp_eq_f32_e32 vcc_lo, v1, v2
	v_cmp_lt_i32_e64 s3, v3, v0
	v_cmp_lt_f32_e64 s4, v1, v2
	s_delay_alu instid0(VALU_DEP_2)
	s_and_b32 s3, vcc_lo, s3
	s_delay_alu instid0(VALU_DEP_1) | instid1(SALU_CYCLE_1)
	s_or_b32 vcc_lo, s4, s3
	v_dual_cndmask_b32 v1, v1, v2 :: v_dual_cndmask_b32 v0, v0, v3
	s_delay_alu instid0(VALU_DEP_1) | instskip(NEXT) | instid1(VALU_DEP_2)
	v_mov_b32_dpp v3, v1 row_half_mirror row_mask:0xf bank_mask:0xf
	v_mov_b32_dpp v2, v0 row_half_mirror row_mask:0xf bank_mask:0xf
	s_delay_alu instid0(VALU_DEP_2) | instskip(NEXT) | instid1(VALU_DEP_2)
	v_cmp_eq_f32_e32 vcc_lo, v1, v3
	v_cmp_lt_i32_e64 s3, v2, v0
	v_cmp_lt_f32_e64 s4, v1, v3
	s_delay_alu instid0(VALU_DEP_2)
	s_and_b32 s3, vcc_lo, s3
	s_delay_alu instid0(VALU_DEP_1) | instid1(SALU_CYCLE_1)
	s_or_b32 s3, s4, s3
	s_cmp_gt_i32 s8, 0
	v_cndmask_b32_e64 v12, v1, v3, s3
	s_cselect_b32 s15, -1, 0
	s_delay_alu instid0(SALU_CYCLE_1)
	s_and_b32 vcc_lo, exec_lo, s15
	s_cbranch_vccz .LBB281_18
; %bb.7:
	s_load_b128 s[4:7], s[0:1], 0x20
	v_mul_lo_u32 v1, v10, s11
	v_mul_lo_u32 v3, v10, s14
	;; [unrolled: 1-line block ×3, first 2 shown]
	v_cndmask_b32_e64 v0, v0, v2, s3
	v_mov_b32_e32 v11, 0
	s_and_saveexec_b32 s1, s2
	s_cbranch_execz .LBB281_9
; %bb.8:
	v_sub_f32_e32 v11, v12, v12
	v_cmp_le_i32_e32 vcc_lo, s9, v0
	v_cmp_gt_i32_e64 s0, s10, v0
	v_subrev_nc_u32_e32 v51, s9, v0
	v_ashrrev_i32_e32 v6, 31, v5
	v_mul_f32_e32 v2, 0x3fb8aa3b, v11
	s_delay_alu instid0(VALU_DEP_4) | instskip(NEXT) | instid1(SALU_CYCLE_1)
	s_and_b32 s0, vcc_lo, s0
	s_and_b32 vcc_lo, s17, s0
	s_delay_alu instid0(VALU_DEP_1) | instskip(SKIP_2) | instid1(VALU_DEP_3)
	v_rndne_f32_e32 v47, v2
	v_fma_f32 v4, 0x3fb8aa3b, v11, -v2
	v_lshlrev_b64 v[49:50], 2, v[5:6]
	v_sub_f32_e32 v2, v2, v47
	s_delay_alu instid0(VALU_DEP_3) | instskip(NEXT) | instid1(VALU_DEP_1)
	v_fmamk_f32 v4, v11, 0x32a5705f, v4
	v_add_f32_e32 v4, v2, v4
	v_ashrrev_i32_e32 v2, 31, v1
	s_delay_alu instid0(VALU_DEP_2) | instskip(NEXT) | instid1(VALU_DEP_1)
	v_exp_f32_e32 v52, v4
	v_lshlrev_b64 v[45:46], 2, v[1:2]
	v_ashrrev_i32_e32 v4, 31, v3
	v_cvt_i32_f32_e32 v2, v47
	s_delay_alu instid0(VALU_DEP_2) | instskip(SKIP_3) | instid1(TRANS32_DEP_1)
	v_lshlrev_b64 v[47:48], 2, v[3:4]
	v_cndmask_b32_e32 v4, 0x80, v51, vcc_lo
	v_add_co_u32 v45, vcc_lo, s12, v45
	v_add_co_ci_u32_e32 v46, vcc_lo, s13, v46, vcc_lo
	v_ldexp_f32 v2, v52, v2
	v_cmp_ngt_f32_e32 vcc_lo, 0xc2ce8ed0, v11
	s_delay_alu instid0(VALU_DEP_2)
	v_cndmask_b32_e32 v2, 0, v2, vcc_lo
	s_waitcnt lgkmcnt(0)
	v_add_co_u32 v47, vcc_lo, s4, v47
	v_add_co_ci_u32_e32 v48, vcc_lo, s5, v48, vcc_lo
	v_cmp_nlt_f32_e32 vcc_lo, 0x42b17218, v11
	v_cndmask_b32_e32 v11, 0x7f800000, v2, vcc_lo
	v_add_co_u32 v49, vcc_lo, s6, v49
	v_add_co_ci_u32_e32 v50, vcc_lo, s7, v50, vcc_lo
	global_store_b32 v[47:48], v4, off
	global_store_b32 v[45:46], v11, off
	;; [unrolled: 1-line block ×3, first 2 shown]
.LBB281_9:
	s_or_b32 exec_lo, exec_lo, s1
	v_ashrrev_i32_e32 v4, 31, v0
	s_mov_b32 s0, exec_lo
	s_delay_alu instid0(VALU_DEP_1) | instskip(NEXT) | instid1(VALU_DEP_1)
	v_lshrrev_b32_e32 v2, 28, v4
	v_add_nc_u32_e32 v2, v0, v2
	s_delay_alu instid0(VALU_DEP_1) | instskip(NEXT) | instid1(VALU_DEP_1)
	v_ashrrev_i32_e32 v2, 4, v2
	v_lshrrev_b32_e32 v6, 29, v2
	s_delay_alu instid0(VALU_DEP_1) | instskip(NEXT) | instid1(VALU_DEP_1)
	v_add_nc_u32_e32 v6, v2, v6
	v_and_b32_e32 v6, -8, v6
	s_delay_alu instid0(VALU_DEP_1) | instskip(NEXT) | instid1(VALU_DEP_1)
	v_sub_nc_u32_e32 v6, v2, v6
	v_cmpx_eq_u32_e64 v21, v6
	s_cbranch_execz .LBB281_11
; %bb.10:
	v_lshrrev_b32_e32 v4, 25, v4
	v_lshlrev_b32_e32 v2, 4, v2
	s_delay_alu instid0(VALU_DEP_2) | instskip(NEXT) | instid1(VALU_DEP_2)
	v_add_nc_u32_e32 v4, v0, v4
	v_sub_nc_u32_e32 v0, v0, v2
	s_delay_alu instid0(VALU_DEP_2) | instskip(NEXT) | instid1(VALU_DEP_1)
	v_ashrrev_i32_e32 v2, 7, v4
	v_lshl_add_u32 v0, v2, 4, v0
	s_delay_alu instid0(VALU_DEP_1)
	v_cmp_ne_u32_e32 vcc_lo, 15, v0
	v_cndmask_b32_e32 v7, 0xff800000, v7, vcc_lo
	v_cmp_ne_u32_e32 vcc_lo, 14, v0
	v_cndmask_b32_e32 v8, 0xff800000, v8, vcc_lo
	v_cmp_ne_u32_e32 vcc_lo, 13, v0
	v_cndmask_b32_e32 v9, 0xff800000, v9, vcc_lo
	v_cmp_ne_u32_e32 vcc_lo, 12, v0
	v_cndmask_b32_e32 v13, 0xff800000, v13, vcc_lo
	v_cmp_ne_u32_e32 vcc_lo, 11, v0
	v_cndmask_b32_e32 v14, 0xff800000, v14, vcc_lo
	v_cmp_ne_u32_e32 vcc_lo, 10, v0
	v_cndmask_b32_e32 v15, 0xff800000, v15, vcc_lo
	v_cmp_ne_u32_e32 vcc_lo, 9, v0
	v_cndmask_b32_e32 v16, 0xff800000, v16, vcc_lo
	v_cmp_ne_u32_e32 vcc_lo, 8, v0
	v_cndmask_b32_e32 v17, 0xff800000, v17, vcc_lo
	v_cmp_ne_u32_e32 vcc_lo, 7, v0
	v_cndmask_b32_e32 v18, 0xff800000, v18, vcc_lo
	v_cmp_ne_u32_e32 vcc_lo, 6, v0
	v_cndmask_b32_e32 v19, 0xff800000, v19, vcc_lo
	v_cmp_ne_u32_e32 vcc_lo, 5, v0
	v_cndmask_b32_e32 v20, 0xff800000, v20, vcc_lo
	v_cmp_ne_u32_e32 vcc_lo, 4, v0
	v_cndmask_b32_e32 v24, 0xff800000, v24, vcc_lo
	v_cmp_ne_u32_e32 vcc_lo, 3, v0
	v_cndmask_b32_e32 v26, 0xff800000, v26, vcc_lo
	v_cmp_ne_u32_e32 vcc_lo, 2, v0
	v_cndmask_b32_e32 v27, 0xff800000, v27, vcc_lo
	v_cmp_ne_u32_e32 vcc_lo, 1, v0
	v_cndmask_b32_e32 v23, 0xff800000, v23, vcc_lo
	v_cmp_ne_u32_e32 vcc_lo, 0, v0
	v_cndmask_b32_e32 v25, 0xff800000, v25, vcc_lo
.LBB281_11:
	s_or_b32 exec_lo, exec_lo, s0
	s_cmp_eq_u32 s8, 1
	s_cbranch_scc1 .LBB281_18
; %bb.12:
	s_add_i32 s18, s18, s16
	v_add_nc_u32_e32 v0, 1, v5
	v_add3_u32 v6, s18, v43, v42
	v_add_nc_u32_e32 v2, 1, v3
	v_add_nc_u32_e32 v4, 1, v1
	s_add_i32 s3, s8, -1
	s_branch .LBB281_14
.LBB281_13:                             ;   in Loop: Header=BB281_14 Depth=1
	s_or_b32 exec_lo, exec_lo, s0
	v_add_nc_u32_e32 v6, s16, v6
	v_add_nc_u32_e32 v0, 1, v0
	;; [unrolled: 1-line block ×4, first 2 shown]
	s_add_i32 s3, s3, -1
	s_delay_alu instid0(SALU_CYCLE_1)
	s_cmp_eq_u32 s3, 0
	s_cbranch_scc1 .LBB281_18
.LBB281_14:                             ; =>This Inner Loop Header: Depth=1
	v_cmp_gt_f32_e32 vcc_lo, v23, v25
	v_cndmask_b32_e32 v3, v25, v23, vcc_lo
	v_cndmask_b32_e32 v1, v22, v28, vcc_lo
	s_delay_alu instid0(VALU_DEP_2) | instskip(SKIP_1) | instid1(VALU_DEP_3)
	v_cmp_gt_f32_e32 vcc_lo, v27, v3
	v_cndmask_b32_e32 v3, v3, v27, vcc_lo
	v_cndmask_b32_e32 v1, v1, v29, vcc_lo
	s_delay_alu instid0(VALU_DEP_2) | instskip(SKIP_1) | instid1(VALU_DEP_3)
	;; [unrolled: 4-line block ×13, first 2 shown]
	v_cmp_gt_f32_e32 vcc_lo, v8, v3
	v_cndmask_b32_e32 v3, v3, v8, vcc_lo
	v_cndmask_b32_e32 v1, v1, v41, vcc_lo
	s_delay_alu instid0(VALU_DEP_2) | instskip(NEXT) | instid1(VALU_DEP_2)
	v_cmp_gt_f32_e32 vcc_lo, v7, v3
	v_cndmask_b32_e32 v1, v1, v44, vcc_lo
	v_cndmask_b32_e32 v3, v3, v7, vcc_lo
	s_delay_alu instid0(VALU_DEP_2) | instskip(NEXT) | instid1(VALU_DEP_2)
	v_mov_b32_dpp v5, v1 quad_perm:[1,0,3,2] row_mask:0xf bank_mask:0xf
	v_mov_b32_dpp v42, v3 quad_perm:[1,0,3,2] row_mask:0xf bank_mask:0xf
	s_delay_alu instid0(VALU_DEP_2) | instskip(NEXT) | instid1(VALU_DEP_2)
	v_cmp_lt_i32_e32 vcc_lo, v5, v1
	v_cmp_eq_f32_e64 s0, v3, v42
	v_cmp_lt_f32_e64 s1, v3, v42
	s_delay_alu instid0(VALU_DEP_2)
	s_and_b32 s0, s0, vcc_lo
	s_delay_alu instid0(VALU_DEP_1) | instid1(SALU_CYCLE_1)
	s_or_b32 vcc_lo, s1, s0
	v_cndmask_b32_e32 v3, v3, v42, vcc_lo
	v_cndmask_b32_e32 v5, v1, v5, vcc_lo
	s_delay_alu instid0(VALU_DEP_2) | instskip(NEXT) | instid1(VALU_DEP_2)
	v_mov_b32_dpp v1, v3 quad_perm:[2,3,0,1] row_mask:0xf bank_mask:0xf
	v_mov_b32_dpp v42, v5 quad_perm:[2,3,0,1] row_mask:0xf bank_mask:0xf
	s_delay_alu instid0(VALU_DEP_2) | instskip(NEXT) | instid1(VALU_DEP_2)
	v_cmp_eq_f32_e32 vcc_lo, v3, v1
	v_cmp_lt_i32_e64 s0, v42, v5
	v_cmp_lt_f32_e64 s1, v3, v1
	s_delay_alu instid0(VALU_DEP_2)
	s_and_b32 s0, vcc_lo, s0
	s_delay_alu instid0(VALU_DEP_1) | instid1(SALU_CYCLE_1)
	s_or_b32 vcc_lo, s1, s0
	v_cndmask_b32_e32 v1, v3, v1, vcc_lo
	v_cndmask_b32_e32 v5, v5, v42, vcc_lo
	s_delay_alu instid0(VALU_DEP_2) | instskip(NEXT) | instid1(VALU_DEP_2)
	v_mov_b32_dpp v3, v1 row_half_mirror row_mask:0xf bank_mask:0xf
	v_mov_b32_dpp v42, v5 row_half_mirror row_mask:0xf bank_mask:0xf
	s_delay_alu instid0(VALU_DEP_2) | instskip(NEXT) | instid1(VALU_DEP_2)
	v_cmp_eq_f32_e32 vcc_lo, v1, v3
	v_cmp_lt_i32_e64 s0, v42, v5
	v_cmp_lt_f32_e64 s1, v1, v3
	s_delay_alu instid0(VALU_DEP_2)
	s_and_b32 s0, vcc_lo, s0
	s_delay_alu instid0(VALU_DEP_1) | instid1(SALU_CYCLE_1)
	s_or_b32 vcc_lo, s1, s0
	v_cndmask_b32_e32 v42, v5, v42, vcc_lo
	s_and_saveexec_b32 s1, s2
	s_cbranch_execz .LBB281_16
; %bb.15:                               ;   in Loop: Header=BB281_14 Depth=1
	v_cndmask_b32_e32 v1, v1, v3, vcc_lo
	s_delay_alu instid0(VALU_DEP_2) | instskip(SKIP_4) | instid1(VALU_DEP_4)
	v_cmp_le_i32_e32 vcc_lo, s9, v42
	v_cmp_gt_i32_e64 s0, s10, v42
	v_ashrrev_i32_e32 v5, 31, v4
	v_subrev_nc_u32_e32 v51, s9, v42
	v_sub_f32_e32 v43, v1, v12
	s_and_b32 s0, vcc_lo, s0
	s_delay_alu instid0(SALU_CYCLE_1) | instskip(NEXT) | instid1(VALU_DEP_1)
	s_and_b32 vcc_lo, s17, s0
	v_mul_f32_e32 v1, 0x3fb8aa3b, v43
	s_delay_alu instid0(VALU_DEP_1) | instskip(SKIP_1) | instid1(VALU_DEP_2)
	v_fma_f32 v3, 0x3fb8aa3b, v43, -v1
	v_rndne_f32_e32 v45, v1
	v_fmac_f32_e32 v3, 0x32a5705f, v43
	s_delay_alu instid0(VALU_DEP_2) | instskip(SKIP_2) | instid1(VALU_DEP_3)
	v_sub_f32_e32 v1, v1, v45
	v_cvt_i32_f32_e32 v50, v45
	v_lshlrev_b64 v[45:46], 2, v[4:5]
	v_add_f32_e32 v1, v1, v3
	v_ashrrev_i32_e32 v3, 31, v2
	s_delay_alu instid0(VALU_DEP_2) | instskip(SKIP_1) | instid1(VALU_DEP_2)
	v_exp_f32_e32 v49, v1
	v_ashrrev_i32_e32 v1, 31, v0
	v_lshlrev_b64 v[47:48], 2, v[2:3]
	s_waitcnt_depctr 0xfff
	v_ldexp_f32 v3, v49, v50
	v_lshlrev_b64 v[49:50], 2, v[0:1]
	v_cndmask_b32_e32 v1, 0x80, v51, vcc_lo
	v_cmp_ngt_f32_e32 vcc_lo, 0xc2ce8ed0, v43
	s_delay_alu instid0(VALU_DEP_4) | instskip(SKIP_3) | instid1(VALU_DEP_4)
	v_cndmask_b32_e32 v3, 0, v3, vcc_lo
	v_add_co_u32 v45, vcc_lo, s12, v45
	v_add_co_ci_u32_e32 v46, vcc_lo, s13, v46, vcc_lo
	v_cmp_nlt_f32_e32 vcc_lo, 0x42b17218, v43
	v_cndmask_b32_e32 v3, 0x7f800000, v3, vcc_lo
	s_waitcnt lgkmcnt(0)
	v_add_co_u32 v47, vcc_lo, s4, v47
	v_add_co_ci_u32_e32 v48, vcc_lo, s5, v48, vcc_lo
	v_add_co_u32 v49, vcc_lo, s6, v49
	v_add_f32_e32 v11, v11, v3
	v_add_co_ci_u32_e32 v50, vcc_lo, s7, v50, vcc_lo
	global_store_b32 v[45:46], v3, off
	global_store_b32 v[47:48], v1, off
	;; [unrolled: 1-line block ×3, first 2 shown]
.LBB281_16:                             ;   in Loop: Header=BB281_14 Depth=1
	s_or_b32 exec_lo, exec_lo, s1
	s_delay_alu instid0(VALU_DEP_1) | instskip(SKIP_1) | instid1(VALU_DEP_1)
	v_ashrrev_i32_e32 v3, 31, v42
	s_mov_b32 s0, exec_lo
	v_lshrrev_b32_e32 v1, 28, v3
	s_delay_alu instid0(VALU_DEP_1) | instskip(NEXT) | instid1(VALU_DEP_1)
	v_add_nc_u32_e32 v1, v42, v1
	v_ashrrev_i32_e32 v1, 4, v1
	s_delay_alu instid0(VALU_DEP_1) | instskip(NEXT) | instid1(VALU_DEP_1)
	v_lshrrev_b32_e32 v5, 29, v1
	v_add_nc_u32_e32 v5, v1, v5
	s_delay_alu instid0(VALU_DEP_1) | instskip(NEXT) | instid1(VALU_DEP_1)
	v_and_b32_e32 v5, -8, v5
	v_sub_nc_u32_e32 v5, v1, v5
	s_delay_alu instid0(VALU_DEP_1)
	v_cmpx_eq_u32_e64 v21, v5
	s_cbranch_execz .LBB281_13
; %bb.17:                               ;   in Loop: Header=BB281_14 Depth=1
	v_lshrrev_b32_e32 v3, 25, v3
	v_lshlrev_b32_e32 v1, 4, v1
	s_delay_alu instid0(VALU_DEP_2) | instskip(NEXT) | instid1(VALU_DEP_2)
	v_add_nc_u32_e32 v3, v42, v3
	v_sub_nc_u32_e32 v1, v42, v1
	s_delay_alu instid0(VALU_DEP_2) | instskip(NEXT) | instid1(VALU_DEP_1)
	v_ashrrev_i32_e32 v3, 7, v3
	v_lshl_add_u32 v1, v3, 4, v1
	s_delay_alu instid0(VALU_DEP_1)
	v_cmp_ne_u32_e32 vcc_lo, 15, v1
	v_cndmask_b32_e32 v7, 0xff800000, v7, vcc_lo
	v_cmp_ne_u32_e32 vcc_lo, 14, v1
	v_cndmask_b32_e32 v8, 0xff800000, v8, vcc_lo
	;; [unrolled: 2-line block ×16, first 2 shown]
	s_branch .LBB281_13
.LBB281_18:
	s_delay_alu instid0(VALU_DEP_1) | instskip(SKIP_4) | instid1(VALU_DEP_4)
	v_sub_f32_e32 v3, v27, v12
	v_sub_f32_e32 v0, v25, v12
	;; [unrolled: 1-line block ×5, first 2 shown]
	v_dual_mul_f32 v25, 0x3fb8aa3b, v3 :: v_dual_mul_f32 v2, 0x3fb8aa3b, v0
	s_delay_alu instid0(VALU_DEP_4)
	v_mul_f32_e32 v27, 0x3fb8aa3b, v6
	v_cmp_ngt_f32_e32 vcc_lo, 0xc2ce8ed0, v0
	v_sub_f32_e32 v14, v14, v12
	v_sub_f32_e32 v8, v8, v12
	v_rndne_f32_e32 v22, v2
	v_sub_f32_e32 v1, v23, v12
	v_fma_f32 v21, 0x3fb8aa3b, v0, -v2
	s_delay_alu instid0(VALU_DEP_3) | instskip(NEXT) | instid1(VALU_DEP_3)
	v_sub_f32_e32 v2, v2, v22
	v_mul_f32_e32 v4, 0x3fb8aa3b, v1
	v_cvt_i32_f32_e32 v22, v22
	s_delay_alu instid0(VALU_DEP_2) | instskip(SKIP_1) | instid1(VALU_DEP_1)
	v_fma_f32 v23, 0x3fb8aa3b, v1, -v4
	v_rndne_f32_e32 v24, v4
	v_dual_fmac_f32 v23, 0x32a5705f, v1 :: v_dual_sub_f32 v4, v4, v24
	v_sub_f32_e32 v5, v26, v12
	v_cvt_i32_f32_e32 v24, v24
	s_delay_alu instid0(VALU_DEP_3) | instskip(SKIP_1) | instid1(VALU_DEP_4)
	v_add_f32_e32 v4, v4, v23
	v_rndne_f32_e32 v23, v25
	v_mul_f32_e32 v26, 0x3fb8aa3b, v5
	s_delay_alu instid0(VALU_DEP_3) | instskip(NEXT) | instid1(VALU_DEP_1)
	v_exp_f32_e32 v4, v4
	v_fma_f32 v28, 0x3fb8aa3b, v5, -v26
	s_delay_alu instid0(VALU_DEP_1) | instskip(NEXT) | instid1(VALU_DEP_1)
	v_dual_fmac_f32 v21, 0x32a5705f, v0 :: v_dual_fmac_f32 v28, 0x32a5705f, v5
	v_add_f32_e32 v2, v2, v21
	v_fma_f32 v21, 0x3fb8aa3b, v3, -v25
	v_sub_f32_e32 v25, v25, v23
	s_waitcnt_depctr 0xfff
	v_ldexp_f32 v4, v4, v24
	v_rndne_f32_e32 v29, v26
	v_exp_f32_e32 v2, v2
	v_fmac_f32_e32 v21, 0x32a5705f, v3
	v_cvt_i32_f32_e32 v23, v23
	s_waitcnt_depctr 0xfff
	v_ldexp_f32 v2, v2, v22
	s_delay_alu instid0(VALU_DEP_1) | instskip(SKIP_1) | instid1(VALU_DEP_2)
	v_dual_add_f32 v21, v25, v21 :: v_dual_cndmask_b32 v2, 0, v2
	v_cmp_ngt_f32_e32 vcc_lo, 0xc2ce8ed0, v1
	v_exp_f32_e32 v21, v21
	v_cndmask_b32_e32 v4, 0, v4, vcc_lo
	v_cmp_nlt_f32_e32 vcc_lo, 0x42b17218, v0
	v_cndmask_b32_e32 v0, 0x7f800000, v2, vcc_lo
	v_cmp_nlt_f32_e32 vcc_lo, 0x42b17218, v1
	v_fma_f32 v2, 0x3fb8aa3b, v6, -v27
	v_cndmask_b32_e32 v1, 0x7f800000, v4, vcc_lo
	s_delay_alu instid0(TRANS32_DEP_1) | instskip(SKIP_3) | instid1(VALU_DEP_4)
	v_ldexp_f32 v4, v21, v23
	v_cmp_ngt_f32_e32 vcc_lo, 0xc2ce8ed0, v3
	v_sub_f32_e32 v22, v26, v29
	v_rndne_f32_e32 v21, v27
	v_dual_add_f32 v0, v0, v1 :: v_dual_cndmask_b32 v1, 0, v4
	v_cmp_nlt_f32_e32 vcc_lo, 0x42b17218, v3
	s_delay_alu instid0(VALU_DEP_4) | instskip(SKIP_3) | instid1(VALU_DEP_4)
	v_add_f32_e32 v22, v22, v28
	v_cvt_i32_f32_e32 v4, v29
	v_sub_f32_e32 v23, v27, v21
	v_cndmask_b32_e32 v1, 0x7f800000, v1, vcc_lo
	v_exp_f32_e32 v22, v22
	v_cmp_ngt_f32_e32 vcc_lo, 0xc2ce8ed0, v5
	s_delay_alu instid0(VALU_DEP_2) | instskip(SKIP_2) | instid1(VALU_DEP_1)
	v_add_f32_e32 v0, v0, v1
	s_waitcnt_depctr 0xfff
	v_ldexp_f32 v3, v22, v4
	v_cndmask_b32_e32 v1, 0, v3, vcc_lo
	v_cmp_nlt_f32_e32 vcc_lo, 0x42b17218, v5
	v_sub_f32_e32 v20, v20, v12
	v_cvt_i32_f32_e32 v5, v21
	v_mul_f32_e32 v21, 0x3fb8aa3b, v19
	v_cndmask_b32_e32 v1, 0x7f800000, v1, vcc_lo
	v_cmp_ngt_f32_e32 vcc_lo, 0xc2ce8ed0, v6
	v_mul_f32_e32 v4, 0x3fb8aa3b, v20
	s_delay_alu instid0(VALU_DEP_3) | instskip(NEXT) | instid1(VALU_DEP_2)
	v_add_f32_e32 v0, v0, v1
	v_fma_f32 v3, 0x3fb8aa3b, v20, -v4
	s_delay_alu instid0(VALU_DEP_1) | instskip(NEXT) | instid1(VALU_DEP_1)
	v_dual_fmac_f32 v2, 0x32a5705f, v6 :: v_dual_fmac_f32 v3, 0x32a5705f, v20
	v_add_f32_e32 v2, v23, v2
	s_delay_alu instid0(VALU_DEP_1) | instskip(SKIP_2) | instid1(VALU_DEP_1)
	v_exp_f32_e32 v2, v2
	s_waitcnt_depctr 0xfff
	v_ldexp_f32 v1, v2, v5
	v_cndmask_b32_e32 v1, 0, v1, vcc_lo
	v_rndne_f32_e32 v22, v4
	v_cmp_nlt_f32_e32 vcc_lo, 0x42b17218, v6
	s_delay_alu instid0(VALU_DEP_2) | instskip(SKIP_2) | instid1(VALU_DEP_3)
	v_dual_sub_f32 v4, v4, v22 :: v_dual_cndmask_b32 v1, 0x7f800000, v1
	v_cvt_i32_f32_e32 v6, v22
	v_cmp_ngt_f32_e32 vcc_lo, 0xc2ce8ed0, v20
	v_add_f32_e32 v2, v4, v3
	v_fma_f32 v3, 0x3fb8aa3b, v19, -v21
	v_rndne_f32_e32 v4, v21
	s_delay_alu instid0(VALU_DEP_2) | instskip(NEXT) | instid1(VALU_DEP_2)
	v_fmac_f32_e32 v3, 0x32a5705f, v19
	v_sub_f32_e32 v5, v21, v4
	v_cvt_i32_f32_e32 v4, v4
	s_delay_alu instid0(VALU_DEP_2)
	v_add_f32_e32 v3, v5, v3
	v_mul_f32_e32 v5, 0x3fb8aa3b, v18
	v_exp_f32_e32 v2, v2
	v_add_f32_e32 v0, v0, v1
	s_waitcnt_depctr 0xfff
	v_ldexp_f32 v1, v2, v6
	v_exp_f32_e32 v2, v3
	v_fma_f32 v3, 0x3fb8aa3b, v18, -v5
	v_rndne_f32_e32 v6, v5
	s_delay_alu instid0(VALU_DEP_3) | instskip(SKIP_1) | instid1(VALU_DEP_4)
	v_cndmask_b32_e32 v1, 0, v1, vcc_lo
	v_cmp_nlt_f32_e32 vcc_lo, 0x42b17218, v20
	v_fmac_f32_e32 v3, 0x32a5705f, v18
	v_mul_f32_e32 v20, 0x3fb8aa3b, v14
	s_delay_alu instid0(TRANS32_DEP_1) | instskip(SKIP_4) | instid1(VALU_DEP_4)
	v_ldexp_f32 v2, v2, v4
	v_dual_sub_f32 v4, v17, v12 :: v_dual_cndmask_b32 v1, 0x7f800000, v1
	v_cmp_ngt_f32_e32 vcc_lo, 0xc2ce8ed0, v19
	v_sub_f32_e32 v5, v5, v6
	v_cvt_i32_f32_e32 v6, v6
	v_dual_add_f32 v0, v0, v1 :: v_dual_cndmask_b32 v1, 0, v2
	v_cmp_nlt_f32_e32 vcc_lo, 0x42b17218, v19
	s_delay_alu instid0(VALU_DEP_2) | instskip(SKIP_3) | instid1(VALU_DEP_4)
	v_cndmask_b32_e32 v1, 0x7f800000, v1, vcc_lo
	v_add_f32_e32 v3, v5, v3
	v_sub_f32_e32 v5, v16, v12
	v_cmp_ngt_f32_e32 vcc_lo, 0xc2ce8ed0, v18
	v_add_f32_e32 v0, v0, v1
	s_delay_alu instid0(VALU_DEP_4) | instskip(NEXT) | instid1(VALU_DEP_3)
	v_exp_f32_e32 v2, v3
	v_mul_f32_e32 v19, 0x3fb8aa3b, v5
	s_waitcnt_depctr 0xfff
	v_ldexp_f32 v1, v2, v6
	v_rndne_f32_e32 v6, v19
	v_mul_f32_e32 v3, 0x3fb8aa3b, v4
	s_delay_alu instid0(VALU_DEP_3) | instskip(SKIP_1) | instid1(VALU_DEP_3)
	v_cndmask_b32_e32 v1, 0, v1, vcc_lo
	v_cmp_nlt_f32_e32 vcc_lo, 0x42b17218, v18
	v_fma_f32 v16, 0x3fb8aa3b, v4, -v3
	v_rndne_f32_e32 v17, v3
	s_delay_alu instid0(VALU_DEP_4) | instskip(NEXT) | instid1(VALU_DEP_3)
	v_cndmask_b32_e32 v1, 0x7f800000, v1, vcc_lo
	v_fmac_f32_e32 v16, 0x32a5705f, v4
	s_delay_alu instid0(VALU_DEP_3) | instskip(SKIP_1) | instid1(VALU_DEP_4)
	v_sub_f32_e32 v2, v3, v17
	v_fma_f32 v3, 0x3fb8aa3b, v5, -v19
	v_dual_sub_f32 v15, v15, v12 :: v_dual_add_f32 v0, v0, v1
	v_cvt_i32_f32_e32 v17, v17
	s_delay_alu instid0(VALU_DEP_3) | instskip(SKIP_2) | instid1(VALU_DEP_3)
	v_dual_add_f32 v2, v2, v16 :: v_dual_fmac_f32 v3, 0x32a5705f, v5
	v_sub_f32_e32 v16, v19, v6
	v_cmp_ngt_f32_e32 vcc_lo, 0xc2ce8ed0, v4
	v_exp_f32_e32 v2, v2
	s_delay_alu instid0(VALU_DEP_2)
	v_add_f32_e32 v3, v16, v3
	s_waitcnt_depctr 0xfff
	v_ldexp_f32 v1, v2, v17
	v_rndne_f32_e32 v17, v20
	v_mul_f32_e32 v19, 0x3fb8aa3b, v15
	v_cvt_i32_f32_e32 v2, v6
	s_delay_alu instid0(VALU_DEP_4) | instskip(SKIP_1) | instid1(VALU_DEP_4)
	v_cndmask_b32_e32 v1, 0, v1, vcc_lo
	v_cmp_nlt_f32_e32 vcc_lo, 0x42b17218, v4
	v_fma_f32 v16, 0x3fb8aa3b, v15, -v19
	v_rndne_f32_e32 v18, v19
	s_delay_alu instid0(VALU_DEP_4) | instskip(NEXT) | instid1(VALU_DEP_2)
	v_cndmask_b32_e32 v1, 0x7f800000, v1, vcc_lo
	v_dual_fmac_f32 v16, 0x32a5705f, v15 :: v_dual_sub_f32 v19, v19, v18
	v_cvt_i32_f32_e32 v4, v18
	v_cmp_ngt_f32_e32 vcc_lo, 0xc2ce8ed0, v5
	s_delay_alu instid0(VALU_DEP_4) | instskip(NEXT) | instid1(VALU_DEP_4)
	v_add_f32_e32 v0, v0, v1
	v_add_f32_e32 v6, v19, v16
	v_fma_f32 v16, 0x3fb8aa3b, v14, -v20
	s_delay_alu instid0(VALU_DEP_1)
	v_fmac_f32_e32 v16, 0x32a5705f, v14
	v_exp_f32_e32 v3, v3
	s_waitcnt_depctr 0xfff
	v_ldexp_f32 v2, v3, v2
	v_exp_f32_e32 v3, v6
	v_sub_f32_e32 v6, v20, v17
	s_delay_alu instid0(VALU_DEP_2) | instskip(SKIP_1) | instid1(VALU_DEP_3)
	v_cndmask_b32_e32 v2, 0, v2, vcc_lo
	v_cmp_nlt_f32_e32 vcc_lo, 0x42b17218, v5
	v_add_f32_e32 v6, v6, v16
	s_waitcnt_depctr 0xfff
	v_ldexp_f32 v1, v3, v4
	v_sub_f32_e32 v4, v13, v12
	v_exp_f32_e32 v3, v6
	v_sub_f32_e32 v6, v9, v12
	v_mul_f32_e32 v13, 0x3fb8aa3b, v8
	s_delay_alu instid0(VALU_DEP_3) | instskip(SKIP_3) | instid1(VALU_DEP_3)
	v_mul_f32_e32 v5, 0x3fb8aa3b, v4
	v_cndmask_b32_e32 v2, 0x7f800000, v2, vcc_lo
	v_cmp_ngt_f32_e32 vcc_lo, 0xc2ce8ed0, v15
	v_mul_f32_e32 v9, 0x3fb8aa3b, v6
	v_dual_add_f32 v0, v0, v2 :: v_dual_cndmask_b32 v1, 0, v1
	v_cvt_i32_f32_e32 v2, v17
	v_cmp_nlt_f32_e32 vcc_lo, 0x42b17218, v15
	s_delay_alu instid0(VALU_DEP_2) | instskip(NEXT) | instid1(VALU_DEP_4)
	v_ldexp_f32 v2, v3, v2
	v_cndmask_b32_e32 v1, 0x7f800000, v1, vcc_lo
	v_cmp_ngt_f32_e32 vcc_lo, 0xc2ce8ed0, v14
	s_delay_alu instid0(VALU_DEP_2)
	v_add_f32_e32 v0, v0, v1
	v_fma_f32 v1, 0x3fb8aa3b, v4, -v5
	v_rndne_f32_e32 v3, v5
	v_cndmask_b32_e32 v2, 0, v2, vcc_lo
	v_cmp_nlt_f32_e32 vcc_lo, 0x42b17218, v14
	v_rndne_f32_e32 v14, v13
	v_fmac_f32_e32 v1, 0x32a5705f, v4
	v_sub_f32_e32 v5, v5, v3
	v_cvt_i32_f32_e32 v3, v3
	v_cndmask_b32_e32 v2, 0x7f800000, v2, vcc_lo
	v_cmp_ngt_f32_e32 vcc_lo, 0xc2ce8ed0, v4
	s_delay_alu instid0(VALU_DEP_4) | instskip(SKIP_1) | instid1(VALU_DEP_4)
	v_add_f32_e32 v1, v5, v1
	v_rndne_f32_e32 v5, v9
	v_add_f32_e32 v0, v0, v2
	v_fma_f32 v2, 0x3fb8aa3b, v6, -v9
	v_sub_f32_e32 v7, v7, v12
	v_exp_f32_e32 v1, v1
	v_fma_f32 v12, 0x3fb8aa3b, v8, -v13
	s_delay_alu instid0(VALU_DEP_3) | instskip(SKIP_1) | instid1(VALU_DEP_3)
	v_dual_sub_f32 v9, v9, v5 :: v_dual_fmac_f32 v2, 0x32a5705f, v6
	v_cvt_i32_f32_e32 v5, v5
	v_fmac_f32_e32 v12, 0x32a5705f, v8
	s_delay_alu instid0(VALU_DEP_3) | instskip(SKIP_4) | instid1(VALU_DEP_2)
	v_dual_mul_f32 v15, 0x3fb8aa3b, v7 :: v_dual_add_f32 v2, v9, v2
	s_waitcnt_depctr 0xfff
	v_ldexp_f32 v1, v1, v3
	v_rndne_f32_e32 v16, v15
	v_exp_f32_e32 v2, v2
	v_cndmask_b32_e32 v1, 0, v1, vcc_lo
	v_cmp_nlt_f32_e32 vcc_lo, 0x42b17218, v4
	v_cvt_i32_f32_e32 v4, v14
	s_delay_alu instid0(VALU_DEP_3)
	v_cndmask_b32_e32 v1, 0x7f800000, v1, vcc_lo
	v_sub_f32_e32 v9, v13, v14
	s_waitcnt_depctr 0xfff
	v_ldexp_f32 v2, v2, v5
	v_cmp_ngt_f32_e32 vcc_lo, 0xc2ce8ed0, v6
	v_fma_f32 v13, 0x3fb8aa3b, v7, -v15
	v_dual_add_f32 v0, v0, v1 :: v_dual_add_f32 v3, v9, v12
	s_delay_alu instid0(VALU_DEP_4) | instskip(SKIP_2) | instid1(VALU_DEP_4)
	v_cndmask_b32_e32 v2, 0, v2, vcc_lo
	v_cmp_nlt_f32_e32 vcc_lo, 0x42b17218, v6
	v_sub_f32_e32 v9, v15, v16
	v_exp_f32_e32 v3, v3
	s_delay_alu instid0(VALU_DEP_3) | instskip(SKIP_2) | instid1(VALU_DEP_2)
	v_cndmask_b32_e32 v2, 0x7f800000, v2, vcc_lo
	v_fmac_f32_e32 v13, 0x32a5705f, v7
	v_cmp_ngt_f32_e32 vcc_lo, 0xc2ce8ed0, v8
	v_dual_add_f32 v0, v0, v2 :: v_dual_add_f32 v9, v9, v13
	s_waitcnt_depctr 0xfff
	v_ldexp_f32 v1, v3, v4
	v_cvt_i32_f32_e32 v3, v16
	v_exp_f32_e32 v5, v9
	s_delay_alu instid0(VALU_DEP_2) | instskip(SKIP_1) | instid1(VALU_DEP_2)
	v_cndmask_b32_e32 v1, 0, v1, vcc_lo
	v_cmp_nlt_f32_e32 vcc_lo, 0x42b17218, v8
	v_cndmask_b32_e32 v1, 0x7f800000, v1, vcc_lo
	v_cmp_ngt_f32_e32 vcc_lo, 0xc2ce8ed0, v7
	s_waitcnt_depctr 0xfff
	v_ldexp_f32 v3, v5, v3
	s_delay_alu instid0(VALU_DEP_1) | instskip(SKIP_1) | instid1(VALU_DEP_2)
	v_cndmask_b32_e32 v2, 0, v3, vcc_lo
	v_cmp_nlt_f32_e32 vcc_lo, 0x42b17218, v7
	v_dual_add_f32 v0, v0, v1 :: v_dual_cndmask_b32 v1, 0x7f800000, v2
	s_delay_alu instid0(VALU_DEP_1) | instskip(NEXT) | instid1(VALU_DEP_1)
	v_add_f32_e32 v0, v0, v1
	v_mov_b32_dpp v1, v0 quad_perm:[1,0,3,2] row_mask:0xf bank_mask:0xf
	s_delay_alu instid0(VALU_DEP_1) | instskip(NEXT) | instid1(VALU_DEP_1)
	v_add_f32_e32 v0, v0, v1
	v_mov_b32_dpp v1, v0 quad_perm:[2,3,0,1] row_mask:0xf bank_mask:0xf
	s_delay_alu instid0(VALU_DEP_1) | instskip(NEXT) | instid1(VALU_DEP_1)
	v_add_f32_e32 v0, v0, v1
	v_mov_b32_dpp v1, v0 row_half_mirror row_mask:0xf bank_mask:0xf
	s_and_b32 exec_lo, exec_lo, s2
	s_cbranch_execz .LBB281_23
; %bb.19:
	s_delay_alu instid0(VALU_DEP_1) | instskip(NEXT) | instid1(VALU_DEP_1)
	v_add_f32_e32 v0, v0, v1
	v_add_f32_e32 v0, v11, v0
	s_delay_alu instid0(VALU_DEP_1)
	v_cmp_neq_f32_e32 vcc_lo, 0, v0
	s_and_b32 exec_lo, exec_lo, vcc_lo
	s_cbranch_execz .LBB281_23
; %bb.20:
	s_and_not1_b32 vcc_lo, exec_lo, s15
	s_cbranch_vccnz .LBB281_23
; %bb.21:
	v_div_scale_f32 v2, null, v0, v0, 1.0
	v_div_scale_f32 v4, vcc_lo, 1.0, v0, 1.0
	s_delay_alu instid0(VALU_DEP_2) | instskip(SKIP_2) | instid1(VALU_DEP_1)
	v_rcp_f32_e32 v3, v2
	s_waitcnt_depctr 0xfff
	v_fma_f32 v1, -v2, v3, 1.0
	v_fmac_f32_e32 v3, v1, v3
	v_mul_lo_u32 v1, v10, s11
	s_delay_alu instid0(VALU_DEP_2) | instskip(NEXT) | instid1(VALU_DEP_1)
	v_mul_f32_e32 v5, v4, v3
	v_fma_f32 v6, -v2, v5, v4
	s_delay_alu instid0(VALU_DEP_1) | instskip(NEXT) | instid1(VALU_DEP_1)
	v_fmac_f32_e32 v5, v6, v3
	v_fma_f32 v4, -v2, v5, v4
	v_ashrrev_i32_e32 v2, 31, v1
	s_delay_alu instid0(VALU_DEP_2) | instskip(NEXT) | instid1(VALU_DEP_2)
	v_div_fmas_f32 v5, v4, v3, v5
	v_lshlrev_b64 v[3:4], 2, v[1:2]
	s_delay_alu instid0(VALU_DEP_2) | instskip(NEXT) | instid1(VALU_DEP_2)
	v_div_fixup_f32 v2, v5, v0, 1.0
	v_add_co_u32 v0, vcc_lo, s12, v3
	s_delay_alu instid0(VALU_DEP_3)
	v_add_co_ci_u32_e32 v1, vcc_lo, s13, v4, vcc_lo
.LBB281_22:                             ; =>This Inner Loop Header: Depth=1
	global_load_b32 v3, v[0:1], off
	s_add_i32 s8, s8, -1
	s_delay_alu instid0(SALU_CYCLE_1)
	s_cmp_lg_u32 s8, 0
	s_waitcnt vmcnt(0)
	v_mul_f32_e32 v3, v2, v3
	global_store_b32 v[0:1], v3, off
	v_add_co_u32 v0, vcc_lo, v0, 4
	v_add_co_ci_u32_e32 v1, vcc_lo, 0, v1, vcc_lo
	s_cbranch_scc1 .LBB281_22
.LBB281_23:
	s_nop 0
	s_sendmsg sendmsg(MSG_DEALLOC_VGPRS)
	s_endpgm
	.section	.rodata,"a",@progbits
	.p2align	6, 0x0
	.amdhsa_kernel _ZN4vllm3moe17topkGatingSoftmaxItLi16ELi128ELi8ELi32ELb0ELi1ELNS0_23SharedExpertScoringFuncE1EEEvPKT_PKbPfiPiS9_iiiiii
		.amdhsa_group_segment_fixed_size 0
		.amdhsa_private_segment_fixed_size 0
		.amdhsa_kernarg_size 72
		.amdhsa_user_sgpr_count 15
		.amdhsa_user_sgpr_dispatch_ptr 0
		.amdhsa_user_sgpr_queue_ptr 0
		.amdhsa_user_sgpr_kernarg_segment_ptr 1
		.amdhsa_user_sgpr_dispatch_id 0
		.amdhsa_user_sgpr_private_segment_size 0
		.amdhsa_wavefront_size32 1
		.amdhsa_uses_dynamic_stack 0
		.amdhsa_enable_private_segment 0
		.amdhsa_system_sgpr_workgroup_id_x 1
		.amdhsa_system_sgpr_workgroup_id_y 0
		.amdhsa_system_sgpr_workgroup_id_z 0
		.amdhsa_system_sgpr_workgroup_info 0
		.amdhsa_system_vgpr_workitem_id 1
		.amdhsa_next_free_vgpr 53
		.amdhsa_next_free_sgpr 19
		.amdhsa_reserve_vcc 1
		.amdhsa_float_round_mode_32 0
		.amdhsa_float_round_mode_16_64 0
		.amdhsa_float_denorm_mode_32 3
		.amdhsa_float_denorm_mode_16_64 3
		.amdhsa_dx10_clamp 1
		.amdhsa_ieee_mode 1
		.amdhsa_fp16_overflow 0
		.amdhsa_workgroup_processor_mode 1
		.amdhsa_memory_ordered 1
		.amdhsa_forward_progress 0
		.amdhsa_shared_vgpr_count 0
		.amdhsa_exception_fp_ieee_invalid_op 0
		.amdhsa_exception_fp_denorm_src 0
		.amdhsa_exception_fp_ieee_div_zero 0
		.amdhsa_exception_fp_ieee_overflow 0
		.amdhsa_exception_fp_ieee_underflow 0
		.amdhsa_exception_fp_ieee_inexact 0
		.amdhsa_exception_int_div_zero 0
	.end_amdhsa_kernel
	.section	.text._ZN4vllm3moe17topkGatingSoftmaxItLi16ELi128ELi8ELi32ELb0ELi1ELNS0_23SharedExpertScoringFuncE1EEEvPKT_PKbPfiPiS9_iiiiii,"axG",@progbits,_ZN4vllm3moe17topkGatingSoftmaxItLi16ELi128ELi8ELi32ELb0ELi1ELNS0_23SharedExpertScoringFuncE1EEEvPKT_PKbPfiPiS9_iiiiii,comdat
.Lfunc_end281:
	.size	_ZN4vllm3moe17topkGatingSoftmaxItLi16ELi128ELi8ELi32ELb0ELi1ELNS0_23SharedExpertScoringFuncE1EEEvPKT_PKbPfiPiS9_iiiiii, .Lfunc_end281-_ZN4vllm3moe17topkGatingSoftmaxItLi16ELi128ELi8ELi32ELb0ELi1ELNS0_23SharedExpertScoringFuncE1EEEvPKT_PKbPfiPiS9_iiiiii
                                        ; -- End function
	.section	.AMDGPU.csdata,"",@progbits
; Kernel info:
; codeLenInByte = 4912
; NumSgprs: 21
; NumVgprs: 53
; ScratchSize: 0
; MemoryBound: 0
; FloatMode: 240
; IeeeMode: 1
; LDSByteSize: 0 bytes/workgroup (compile time only)
; SGPRBlocks: 2
; VGPRBlocks: 6
; NumSGPRsForWavesPerEU: 21
; NumVGPRsForWavesPerEU: 53
; Occupancy: 16
; WaveLimiterHint : 0
; COMPUTE_PGM_RSRC2:SCRATCH_EN: 0
; COMPUTE_PGM_RSRC2:USER_SGPR: 15
; COMPUTE_PGM_RSRC2:TRAP_HANDLER: 0
; COMPUTE_PGM_RSRC2:TGID_X_EN: 1
; COMPUTE_PGM_RSRC2:TGID_Y_EN: 0
; COMPUTE_PGM_RSRC2:TGID_Z_EN: 0
; COMPUTE_PGM_RSRC2:TIDIG_COMP_CNT: 1
	.section	.text._ZN4vllm3moe17topkGatingSoftmaxItLi16ELi128ELi8ELi32ELb1ELi2ELNS0_23SharedExpertScoringFuncE1EEEvPKT_PKbPfiPiS9_iiiiii,"axG",@progbits,_ZN4vllm3moe17topkGatingSoftmaxItLi16ELi128ELi8ELi32ELb1ELi2ELNS0_23SharedExpertScoringFuncE1EEEvPKT_PKbPfiPiS9_iiiiii,comdat
	.protected	_ZN4vllm3moe17topkGatingSoftmaxItLi16ELi128ELi8ELi32ELb1ELi2ELNS0_23SharedExpertScoringFuncE1EEEvPKT_PKbPfiPiS9_iiiiii ; -- Begin function _ZN4vllm3moe17topkGatingSoftmaxItLi16ELi128ELi8ELi32ELb1ELi2ELNS0_23SharedExpertScoringFuncE1EEEvPKT_PKbPfiPiS9_iiiiii
	.globl	_ZN4vllm3moe17topkGatingSoftmaxItLi16ELi128ELi8ELi32ELb1ELi2ELNS0_23SharedExpertScoringFuncE1EEEvPKT_PKbPfiPiS9_iiiiii
	.p2align	8
	.type	_ZN4vllm3moe17topkGatingSoftmaxItLi16ELi128ELi8ELi32ELb1ELi2ELNS0_23SharedExpertScoringFuncE1EEEvPKT_PKbPfiPiS9_iiiiii,@function
_ZN4vllm3moe17topkGatingSoftmaxItLi16ELi128ELi8ELi32ELb1ELi2ELNS0_23SharedExpertScoringFuncE1EEEvPKT_PKbPfiPiS9_iiiiii: ; @_ZN4vllm3moe17topkGatingSoftmaxItLi16ELi128ELi8ELi32ELb1ELi2ELNS0_23SharedExpertScoringFuncE1EEEvPKT_PKbPfiPiS9_iiiiii
; %bb.0:
	s_load_b32 s16, s[0:1], 0x18
	v_bfe_u32 v1, v0, 10, 10
	v_and_b32_e32 v0, 0x3ff, v0
	s_lshl_b32 s18, s15, 5
	s_mov_b32 s2, exec_lo
	s_delay_alu instid0(VALU_DEP_2) | instskip(NEXT) | instid1(VALU_DEP_2)
	v_lshlrev_b32_e32 v42, 2, v1
	v_lshrrev_b32_e32 v43, 3, v0
	s_delay_alu instid0(VALU_DEP_1) | instskip(SKIP_1) | instid1(VALU_DEP_1)
	v_add3_u32 v8, s18, v42, v43
	s_waitcnt lgkmcnt(0)
	v_cmpx_gt_i32_e64 s16, v8
	s_cbranch_execz .LBB282_22
; %bb.1:
	s_clause 0x1
	s_load_b128 s[4:7], s[0:1], 0x0
	s_load_b64 s[12:13], s[0:1], 0x10
	s_waitcnt lgkmcnt(0)
	s_cmp_eq_u64 s[6:7], 0
	s_cbranch_scc1 .LBB282_3
; %bb.2:
	v_ashrrev_i32_e32 v2, 31, v8
	v_add_co_u32 v1, vcc_lo, s6, v8
	s_delay_alu instid0(VALU_DEP_2) | instskip(SKIP_3) | instid1(VALU_DEP_1)
	v_add_co_ci_u32_e32 v2, vcc_lo, s7, v2, vcc_lo
	global_load_u8 v1, v[1:2], off
	s_waitcnt vmcnt(0)
	v_and_b32_e32 v1, 1, v1
	v_cmp_eq_u32_e32 vcc_lo, 1, v1
	s_xor_b32 s2, vcc_lo, -1
	s_delay_alu instid0(SALU_CYCLE_1)
	s_or_not1_b32 s17, s2, exec_lo
	s_branch .LBB282_4
.LBB282_3:
	s_mov_b32 s17, -1
.LBB282_4:
	s_load_b64 s[14:15], s[0:1], 0x40
	v_and_b32_e32 v9, 7, v0
	s_mov_b32 s2, exec_lo
	s_delay_alu instid0(VALU_DEP_1) | instskip(SKIP_2) | instid1(VALU_DEP_1)
	v_dual_mov_b32 v11, 0 :: v_dual_lshlrev_b32 v10, 4, v9
	s_waitcnt lgkmcnt(0)
	v_mul_lo_u32 v1, v8, s15
	v_ashrrev_i32_e32 v2, 31, v1
	s_delay_alu instid0(VALU_DEP_1) | instskip(SKIP_1) | instid1(VALU_DEP_2)
	v_lshlrev_b64 v[0:1], 1, v[1:2]
	v_lshlrev_b32_e32 v2, 5, v9
	v_add_co_u32 v12, vcc_lo, s4, v0
	s_delay_alu instid0(VALU_DEP_3) | instskip(SKIP_1) | instid1(VALU_DEP_2)
	v_add_co_ci_u32_e32 v13, vcc_lo, s5, v1, vcc_lo
	s_load_b128 s[4:7], s[0:1], 0x30
	v_add_co_u32 v4, vcc_lo, v12, v2
	s_delay_alu instid0(VALU_DEP_2)
	v_add_co_ci_u32_e32 v5, vcc_lo, 0, v13, vcc_lo
	s_clause 0x1
	global_load_b128 v[0:3], v[4:5], off offset:16
	global_load_b128 v[4:7], v[4:5], off
	v_cmpx_gt_u32_e32 2, v9
	s_cbranch_execz .LBB282_6
; %bb.5:
	v_lshlrev_b32_e32 v14, 1, v9
	s_delay_alu instid0(VALU_DEP_1) | instskip(SKIP_4) | instid1(VALU_DEP_1)
	v_add_co_u32 v12, vcc_lo, v12, v14
	v_add_co_ci_u32_e32 v13, vcc_lo, 0, v13, vcc_lo
	global_load_u16 v12, v[12:13], off offset:256
	s_waitcnt vmcnt(0)
	v_cvt_f32_u32_e32 v12, v12
	v_mul_f32_e32 v13, 0xbfb8aa3b, v12
	v_cmp_nlt_f32_e32 vcc_lo, 0x42ce8ed0, v12
	s_delay_alu instid0(VALU_DEP_2) | instskip(SKIP_1) | instid1(VALU_DEP_1)
	v_fma_f32 v14, 0xbfb8aa3b, v12, -v13
	v_rndne_f32_e32 v15, v13
	v_dual_fmamk_f32 v14, v12, 0xb2a5705f, v14 :: v_dual_sub_f32 v13, v13, v15
	s_delay_alu instid0(VALU_DEP_1) | instskip(SKIP_1) | instid1(VALU_DEP_2)
	v_add_f32_e32 v13, v13, v14
	v_cvt_i32_f32_e32 v14, v15
	v_exp_f32_e32 v13, v13
	s_waitcnt_depctr 0xfff
	v_ldexp_f32 v13, v13, v14
	s_delay_alu instid0(VALU_DEP_1) | instskip(SKIP_1) | instid1(VALU_DEP_2)
	v_cndmask_b32_e32 v13, 0, v13, vcc_lo
	v_cmp_ngt_f32_e32 vcc_lo, 0xc2b17218, v12
	v_cndmask_b32_e32 v12, 0x7f800000, v13, vcc_lo
	s_delay_alu instid0(VALU_DEP_1) | instskip(NEXT) | instid1(VALU_DEP_1)
	v_add_f32_e32 v14, 1.0, v12
	v_div_scale_f32 v13, null, v14, v14, 1.0
	v_div_scale_f32 v16, vcc_lo, 1.0, v14, 1.0
	s_delay_alu instid0(VALU_DEP_2) | instskip(SKIP_2) | instid1(VALU_DEP_1)
	v_rcp_f32_e32 v15, v13
	s_waitcnt_depctr 0xfff
	v_fma_f32 v12, -v13, v15, 1.0
	v_fmac_f32_e32 v15, v12, v15
	s_waitcnt lgkmcnt(0)
	v_mul_lo_u32 v12, v8, s7
	s_delay_alu instid0(VALU_DEP_2) | instskip(NEXT) | instid1(VALU_DEP_2)
	v_mul_f32_e32 v17, v16, v15
	v_add3_u32 v12, v12, s4, v9
	s_delay_alu instid0(VALU_DEP_2) | instskip(NEXT) | instid1(VALU_DEP_1)
	v_fma_f32 v18, -v13, v17, v16
	v_fmac_f32_e32 v17, v18, v15
	s_delay_alu instid0(VALU_DEP_1) | instskip(NEXT) | instid1(VALU_DEP_4)
	v_fma_f32 v16, -v13, v17, v16
	v_ashrrev_i32_e32 v13, 31, v12
	s_delay_alu instid0(VALU_DEP_2) | instskip(NEXT) | instid1(VALU_DEP_2)
	v_div_fmas_f32 v15, v16, v15, v17
	v_lshlrev_b64 v[12:13], 2, v[12:13]
	s_delay_alu instid0(VALU_DEP_2) | instskip(NEXT) | instid1(VALU_DEP_2)
	v_div_fixup_f32 v14, v15, v14, 1.0
	v_add_co_u32 v12, vcc_lo, s12, v12
	s_delay_alu instid0(VALU_DEP_3)
	v_add_co_ci_u32_e32 v13, vcc_lo, s13, v13, vcc_lo
	global_store_b32 v[12:13], v14, off
.LBB282_6:
	s_or_b32 exec_lo, exec_lo, s2
	s_waitcnt vmcnt(0)
	v_and_b32_e32 v12, 0xffff, v4
	v_lshrrev_b32_e32 v4, 16, v4
	v_or_b32_e32 v14, 1, v10
	v_or_b32_e32 v16, 2, v10
	;; [unrolled: 1-line block ×3, first 2 shown]
	v_cvt_f32_u32_e32 v12, v12
	v_cvt_f32_u32_e32 v13, v4
	v_or_b32_e32 v22, 5, v10
	v_or_b32_e32 v25, 7, v10
	;; [unrolled: 1-line block ×4, first 2 shown]
	v_cmp_lt_f32_e32 vcc_lo, v12, v13
	v_or_b32_e32 v31, 10, v10
	v_or_b32_e32 v33, 11, v10
	;; [unrolled: 1-line block ×3, first 2 shown]
	v_dual_cndmask_b32 v18, v12, v13 :: v_dual_and_b32 v19, 0xffff, v6
	v_lshrrev_b32_e32 v6, 16, v6
	v_or_b32_e32 v37, 13, v10
	v_or_b32_e32 v39, 14, v10
	s_delay_alu instid0(VALU_DEP_4)
	v_cvt_f32_u32_e32 v19, v19
	v_and_b32_e32 v4, 0xffff, v5
	v_lshrrev_b32_e32 v5, 16, v5
	v_cvt_f32_u32_e32 v21, v6
	v_and_b32_e32 v6, 0xffff, v7
	v_or_b32_e32 v41, 15, v10
	v_cvt_f32_u32_e32 v15, v4
	v_cvt_f32_u32_e32 v17, v5
	v_cndmask_b32_e32 v4, v10, v14, vcc_lo
	v_cvt_f32_u32_e32 v23, v6
	v_lshrrev_b32_e32 v6, 16, v7
	v_cmp_lt_f32_e32 vcc_lo, v18, v15
	v_or_b32_e32 v7, 6, v10
	s_delay_alu instid0(VALU_DEP_3) | instskip(SKIP_4) | instid1(VALU_DEP_4)
	v_cvt_f32_u32_e32 v24, v6
	v_dual_cndmask_b32 v5, v18, v15 :: v_dual_cndmask_b32 v4, v4, v16
	v_or_b32_e32 v18, 3, v10
	v_and_b32_e32 v6, 0xffff, v0
	v_lshrrev_b32_e32 v0, 16, v0
	v_cmp_lt_f32_e32 vcc_lo, v5, v17
	s_delay_alu instid0(VALU_DEP_3) | instskip(NEXT) | instid1(VALU_DEP_3)
	v_cvt_f32_u32_e32 v26, v6
	v_cvt_f32_u32_e32 v28, v0
	v_dual_cndmask_b32 v5, v5, v17 :: v_dual_cndmask_b32 v4, v4, v18
	s_delay_alu instid0(VALU_DEP_1) | instskip(NEXT) | instid1(VALU_DEP_2)
	v_cmp_lt_f32_e32 vcc_lo, v5, v19
	v_dual_cndmask_b32 v5, v5, v19 :: v_dual_cndmask_b32 v4, v4, v20
	s_delay_alu instid0(VALU_DEP_1) | instskip(NEXT) | instid1(VALU_DEP_2)
	v_cmp_lt_f32_e32 vcc_lo, v5, v21
	v_dual_cndmask_b32 v5, v5, v21 :: v_dual_cndmask_b32 v4, v4, v22
	s_delay_alu instid0(VALU_DEP_1) | instskip(SKIP_1) | instid1(VALU_DEP_3)
	v_cmp_lt_f32_e32 vcc_lo, v5, v23
	v_cndmask_b32_e32 v5, v5, v23, vcc_lo
	v_cndmask_b32_e32 v4, v4, v7, vcc_lo
	s_delay_alu instid0(VALU_DEP_2) | instskip(NEXT) | instid1(VALU_DEP_2)
	v_cmp_lt_f32_e32 vcc_lo, v5, v24
	v_dual_cndmask_b32 v5, v5, v24 :: v_dual_cndmask_b32 v4, v4, v25
	s_delay_alu instid0(VALU_DEP_1) | instskip(NEXT) | instid1(VALU_DEP_2)
	v_cmp_lt_f32_e32 vcc_lo, v5, v26
	v_cndmask_b32_e32 v0, v4, v27, vcc_lo
	v_dual_cndmask_b32 v4, v5, v26 :: v_dual_and_b32 v5, 0xffff, v1
	v_lshrrev_b32_e32 v1, 16, v1
	s_delay_alu instid0(VALU_DEP_2) | instskip(NEXT) | instid1(VALU_DEP_3)
	v_cmp_lt_f32_e32 vcc_lo, v4, v28
	v_cvt_f32_u32_e32 v30, v5
	s_delay_alu instid0(VALU_DEP_3) | instskip(SKIP_2) | instid1(VALU_DEP_2)
	v_cvt_f32_u32_e32 v32, v1
	v_cndmask_b32_e32 v4, v4, v28, vcc_lo
	v_cndmask_b32_e32 v0, v0, v29, vcc_lo
	v_cmp_lt_f32_e32 vcc_lo, v4, v30
	v_cndmask_b32_e32 v1, v4, v30, vcc_lo
	s_delay_alu instid0(VALU_DEP_3) | instskip(SKIP_2) | instid1(VALU_DEP_4)
	v_cndmask_b32_e32 v0, v0, v31, vcc_lo
	v_and_b32_e32 v4, 0xffff, v2
	v_lshrrev_b32_e32 v2, 16, v2
	v_cmp_lt_f32_e32 vcc_lo, v1, v32
	s_delay_alu instid0(VALU_DEP_3) | instskip(NEXT) | instid1(VALU_DEP_3)
	v_cvt_f32_u32_e32 v34, v4
	v_cvt_f32_u32_e32 v36, v2
	v_dual_cndmask_b32 v1, v1, v32 :: v_dual_and_b32 v2, 0xffff, v3
	v_cndmask_b32_e32 v0, v0, v33, vcc_lo
	s_delay_alu instid0(VALU_DEP_2) | instskip(NEXT) | instid1(VALU_DEP_3)
	v_cvt_f32_u32_e32 v38, v2
	v_cmp_lt_f32_e32 vcc_lo, v1, v34
	v_lshrrev_b32_e32 v2, 16, v3
	s_delay_alu instid0(VALU_DEP_4) | instskip(NEXT) | instid1(VALU_DEP_2)
	v_dual_cndmask_b32 v1, v1, v34 :: v_dual_cndmask_b32 v0, v0, v35
	v_cvt_f32_u32_e32 v40, v2
	s_delay_alu instid0(VALU_DEP_2) | instskip(NEXT) | instid1(VALU_DEP_3)
	v_cmp_lt_f32_e32 vcc_lo, v1, v36
	v_dual_cndmask_b32 v1, v1, v36 :: v_dual_cndmask_b32 v0, v0, v37
	s_delay_alu instid0(VALU_DEP_1) | instskip(NEXT) | instid1(VALU_DEP_2)
	v_cmp_lt_f32_e32 vcc_lo, v1, v38
	v_dual_cndmask_b32 v1, v1, v38 :: v_dual_cndmask_b32 v0, v0, v39
	s_delay_alu instid0(VALU_DEP_1) | instskip(NEXT) | instid1(VALU_DEP_2)
	;; [unrolled: 3-line block ×3, first 2 shown]
	v_mov_b32_dpp v3, v1 quad_perm:[1,0,3,2] row_mask:0xf bank_mask:0xf
	v_mov_b32_dpp v2, v0 quad_perm:[1,0,3,2] row_mask:0xf bank_mask:0xf
	s_delay_alu instid0(VALU_DEP_2) | instskip(NEXT) | instid1(VALU_DEP_2)
	v_cmp_eq_f32_e64 s2, v1, v3
	v_cmp_lt_i32_e32 vcc_lo, v2, v0
	v_cmp_lt_f32_e64 s3, v1, v3
	s_delay_alu instid0(VALU_DEP_3)
	s_and_b32 s2, s2, vcc_lo
	s_delay_alu instid0(VALU_DEP_1) | instid1(SALU_CYCLE_1)
	s_or_b32 vcc_lo, s3, s2
	v_dual_cndmask_b32 v1, v1, v3 :: v_dual_cndmask_b32 v0, v0, v2
	s_delay_alu instid0(VALU_DEP_1) | instskip(NEXT) | instid1(VALU_DEP_2)
	v_mov_b32_dpp v2, v1 quad_perm:[2,3,0,1] row_mask:0xf bank_mask:0xf
	v_mov_b32_dpp v3, v0 quad_perm:[2,3,0,1] row_mask:0xf bank_mask:0xf
	s_delay_alu instid0(VALU_DEP_2) | instskip(NEXT) | instid1(VALU_DEP_2)
	v_cmp_eq_f32_e32 vcc_lo, v1, v2
	v_cmp_lt_i32_e64 s2, v3, v0
	v_cmp_lt_f32_e64 s3, v1, v2
	s_delay_alu instid0(VALU_DEP_2)
	s_and_b32 s2, vcc_lo, s2
	s_delay_alu instid0(VALU_DEP_1) | instid1(SALU_CYCLE_1)
	s_or_b32 vcc_lo, s3, s2
	s_waitcnt lgkmcnt(0)
	s_cmp_gt_i32 s4, 0
	v_cndmask_b32_e32 v2, v1, v2, vcc_lo
	v_cndmask_b32_e32 v0, v0, v3, vcc_lo
	v_cmp_eq_u32_e32 vcc_lo, 0, v9
	s_cselect_b32 s3, -1, 0
	s_cmp_lt_i32 s4, 1
	v_mov_b32_dpp v4, v2 row_half_mirror row_mask:0xf bank_mask:0xf
	v_mov_b32_dpp v6, v0 row_half_mirror row_mask:0xf bank_mask:0xf
	s_cbranch_scc1 .LBB282_18
; %bb.7:
	s_load_b128 s[8:11], s[0:1], 0x20
	s_delay_alu instid0(VALU_DEP_2) | instskip(NEXT) | instid1(VALU_DEP_2)
	v_cmp_eq_f32_e64 s0, v2, v4
	v_cmp_lt_i32_e64 s1, v6, v0
	v_cmp_lt_f32_e64 s2, v2, v4
	v_mul_lo_u32 v1, v8, s7
	v_mul_lo_u32 v3, v8, s14
	;; [unrolled: 1-line block ×3, first 2 shown]
	s_and_b32 s0, s0, s1
	v_mov_b32_e32 v11, 0
	s_or_b32 s0, s2, s0
	s_delay_alu instid0(SALU_CYCLE_1)
	v_cndmask_b32_e64 v0, v0, v6, s0
	v_cndmask_b32_e64 v44, v2, v4, s0
	s_and_saveexec_b32 s2, vcc_lo
	s_cbranch_execz .LBB282_9
; %bb.8:
	s_delay_alu instid0(VALU_DEP_1)
	v_sub_f32_e32 v11, v44, v44
	v_cmp_le_i32_e64 s0, s5, v0
	v_cmp_gt_i32_e64 s1, s6, v0
	v_subrev_nc_u32_e32 v51, s5, v0
	v_ashrrev_i32_e32 v6, 31, v5
	v_mul_f32_e32 v2, 0x3fb8aa3b, v11
	s_delay_alu instid0(VALU_DEP_4) | instskip(NEXT) | instid1(SALU_CYCLE_1)
	s_and_b32 s0, s0, s1
	s_and_b32 s0, s17, s0
	s_delay_alu instid0(VALU_DEP_1) | instskip(SKIP_2) | instid1(VALU_DEP_3)
	v_rndne_f32_e32 v47, v2
	v_fma_f32 v4, 0x3fb8aa3b, v11, -v2
	v_lshlrev_b64 v[49:50], 2, v[5:6]
	v_sub_f32_e32 v2, v2, v47
	s_delay_alu instid0(VALU_DEP_3) | instskip(NEXT) | instid1(VALU_DEP_1)
	v_fmamk_f32 v4, v11, 0x32a5705f, v4
	v_add_f32_e32 v4, v2, v4
	v_ashrrev_i32_e32 v2, 31, v1
	s_delay_alu instid0(VALU_DEP_2) | instskip(NEXT) | instid1(VALU_DEP_1)
	v_exp_f32_e32 v52, v4
	v_lshlrev_b64 v[45:46], 2, v[1:2]
	v_ashrrev_i32_e32 v4, 31, v3
	v_cvt_i32_f32_e32 v2, v47
	s_delay_alu instid0(VALU_DEP_2) | instskip(SKIP_2) | instid1(VALU_DEP_1)
	v_lshlrev_b64 v[47:48], 2, v[3:4]
	v_cndmask_b32_e64 v4, 0x80, v51, s0
	v_add_co_u32 v45, s0, s12, v45
	v_add_co_ci_u32_e64 v46, s0, s13, v46, s0
	s_delay_alu instid0(TRANS32_DEP_1) | instskip(SKIP_1) | instid1(VALU_DEP_1)
	v_ldexp_f32 v2, v52, v2
	v_cmp_ngt_f32_e64 s0, 0xc2ce8ed0, v11
	v_cndmask_b32_e64 v2, 0, v2, s0
	s_waitcnt lgkmcnt(0)
	v_add_co_u32 v47, s0, s8, v47
	s_delay_alu instid0(VALU_DEP_1) | instskip(SKIP_1) | instid1(VALU_DEP_1)
	v_add_co_ci_u32_e64 v48, s0, s9, v48, s0
	v_cmp_nlt_f32_e64 s0, 0x42b17218, v11
	v_cndmask_b32_e64 v11, 0x7f800000, v2, s0
	v_add_co_u32 v49, s0, s10, v49
	s_delay_alu instid0(VALU_DEP_1)
	v_add_co_ci_u32_e64 v50, s0, s11, v50, s0
	global_store_b32 v[47:48], v4, off
	global_store_b32 v[45:46], v11, off
	;; [unrolled: 1-line block ×3, first 2 shown]
.LBB282_9:
	s_or_b32 exec_lo, exec_lo, s2
	v_ashrrev_i32_e32 v4, 31, v0
	s_mov_b32 s1, exec_lo
	s_delay_alu instid0(VALU_DEP_1) | instskip(NEXT) | instid1(VALU_DEP_1)
	v_lshrrev_b32_e32 v2, 28, v4
	v_add_nc_u32_e32 v2, v0, v2
	s_delay_alu instid0(VALU_DEP_1) | instskip(NEXT) | instid1(VALU_DEP_1)
	v_ashrrev_i32_e32 v2, 4, v2
	v_lshrrev_b32_e32 v6, 29, v2
	s_delay_alu instid0(VALU_DEP_1) | instskip(NEXT) | instid1(VALU_DEP_1)
	v_add_nc_u32_e32 v6, v2, v6
	v_and_b32_e32 v6, -8, v6
	s_delay_alu instid0(VALU_DEP_1) | instskip(NEXT) | instid1(VALU_DEP_1)
	v_sub_nc_u32_e32 v6, v2, v6
	v_cmpx_eq_u32_e64 v9, v6
	s_cbranch_execz .LBB282_11
; %bb.10:
	v_lshrrev_b32_e32 v4, 25, v4
	v_lshlrev_b32_e32 v2, 4, v2
	s_delay_alu instid0(VALU_DEP_2) | instskip(NEXT) | instid1(VALU_DEP_2)
	v_add_nc_u32_e32 v4, v0, v4
	v_sub_nc_u32_e32 v0, v0, v2
	s_delay_alu instid0(VALU_DEP_2) | instskip(NEXT) | instid1(VALU_DEP_1)
	v_ashrrev_i32_e32 v2, 7, v4
	v_lshl_add_u32 v0, v2, 4, v0
	s_delay_alu instid0(VALU_DEP_1) | instskip(NEXT) | instid1(VALU_DEP_1)
	v_cmp_ne_u32_e64 s0, 15, v0
	v_cndmask_b32_e64 v40, 0xff800000, v40, s0
	v_cmp_ne_u32_e64 s0, 14, v0
	s_delay_alu instid0(VALU_DEP_1) | instskip(SKIP_1) | instid1(VALU_DEP_1)
	v_cndmask_b32_e64 v38, 0xff800000, v38, s0
	v_cmp_ne_u32_e64 s0, 13, v0
	v_cndmask_b32_e64 v36, 0xff800000, v36, s0
	v_cmp_ne_u32_e64 s0, 12, v0
	s_delay_alu instid0(VALU_DEP_1) | instskip(SKIP_1) | instid1(VALU_DEP_1)
	v_cndmask_b32_e64 v34, 0xff800000, v34, s0
	;; [unrolled: 5-line block ×7, first 2 shown]
	v_cmp_ne_u32_e64 s0, 1, v0
	v_cndmask_b32_e64 v13, 0xff800000, v13, s0
	v_cmp_ne_u32_e64 s0, 0, v0
	s_delay_alu instid0(VALU_DEP_1)
	v_cndmask_b32_e64 v12, 0xff800000, v12, s0
.LBB282_11:
	s_or_b32 exec_lo, exec_lo, s1
	s_cmp_eq_u32 s4, 1
	s_cbranch_scc1 .LBB282_18
; %bb.12:
	s_add_i32 s18, s18, s16
	v_add_nc_u32_e32 v0, 1, v5
	v_add3_u32 v6, s18, v43, v42
	v_add_nc_u32_e32 v2, 1, v3
	v_add_nc_u32_e32 v4, 1, v1
	s_add_i32 s14, s4, -1
	s_branch .LBB282_14
.LBB282_13:                             ;   in Loop: Header=BB282_14 Depth=1
	s_or_b32 exec_lo, exec_lo, s1
	v_add_nc_u32_e32 v6, s16, v6
	v_add_nc_u32_e32 v0, 1, v0
	;; [unrolled: 1-line block ×4, first 2 shown]
	s_add_i32 s14, s14, -1
	s_delay_alu instid0(SALU_CYCLE_1)
	s_cmp_eq_u32 s14, 0
	s_cbranch_scc1 .LBB282_18
.LBB282_14:                             ; =>This Inner Loop Header: Depth=1
	v_cmp_gt_f32_e64 s0, v13, v12
	s_delay_alu instid0(VALU_DEP_1) | instskip(SKIP_1) | instid1(VALU_DEP_2)
	v_cndmask_b32_e64 v3, v12, v13, s0
	v_cndmask_b32_e64 v1, v10, v14, s0
	v_cmp_gt_f32_e64 s0, v15, v3
	s_delay_alu instid0(VALU_DEP_1) | instskip(NEXT) | instid1(VALU_DEP_3)
	v_cndmask_b32_e64 v3, v3, v15, s0
	v_cndmask_b32_e64 v1, v1, v16, s0
	s_delay_alu instid0(VALU_DEP_2) | instskip(NEXT) | instid1(VALU_DEP_1)
	v_cmp_gt_f32_e64 s0, v17, v3
	v_cndmask_b32_e64 v3, v3, v17, s0
	s_delay_alu instid0(VALU_DEP_3) | instskip(NEXT) | instid1(VALU_DEP_2)
	v_cndmask_b32_e64 v1, v1, v18, s0
	v_cmp_gt_f32_e64 s0, v19, v3
	s_delay_alu instid0(VALU_DEP_1) | instskip(NEXT) | instid1(VALU_DEP_3)
	v_cndmask_b32_e64 v3, v3, v19, s0
	v_cndmask_b32_e64 v1, v1, v20, s0
	s_delay_alu instid0(VALU_DEP_2) | instskip(NEXT) | instid1(VALU_DEP_1)
	v_cmp_gt_f32_e64 s0, v21, v3
	v_cndmask_b32_e64 v3, v3, v21, s0
	s_delay_alu instid0(VALU_DEP_3) | instskip(NEXT) | instid1(VALU_DEP_2)
	;; [unrolled: 9-line block ×6, first 2 shown]
	v_cndmask_b32_e64 v1, v1, v37, s0
	v_cmp_gt_f32_e64 s0, v38, v3
	s_delay_alu instid0(VALU_DEP_1) | instskip(NEXT) | instid1(VALU_DEP_3)
	v_cndmask_b32_e64 v3, v3, v38, s0
	v_cndmask_b32_e64 v1, v1, v39, s0
	s_delay_alu instid0(VALU_DEP_2) | instskip(NEXT) | instid1(VALU_DEP_1)
	v_cmp_gt_f32_e64 s0, v40, v3
	v_cndmask_b32_e64 v1, v1, v41, s0
	v_cndmask_b32_e64 v3, v3, v40, s0
	s_delay_alu instid0(VALU_DEP_2) | instskip(NEXT) | instid1(VALU_DEP_2)
	v_mov_b32_dpp v5, v1 quad_perm:[1,0,3,2] row_mask:0xf bank_mask:0xf
	v_mov_b32_dpp v42, v3 quad_perm:[1,0,3,2] row_mask:0xf bank_mask:0xf
	s_delay_alu instid0(VALU_DEP_2) | instskip(NEXT) | instid1(VALU_DEP_2)
	v_cmp_lt_i32_e64 s0, v5, v1
	v_cmp_eq_f32_e64 s1, v3, v42
	v_cmp_lt_f32_e64 s2, v3, v42
	s_delay_alu instid0(VALU_DEP_2)
	s_and_b32 s0, s1, s0
	s_delay_alu instid0(VALU_DEP_1) | instid1(SALU_CYCLE_1)
	s_or_b32 s0, s2, s0
	s_delay_alu instid0(SALU_CYCLE_1) | instskip(SKIP_1) | instid1(VALU_DEP_2)
	v_cndmask_b32_e64 v3, v3, v42, s0
	v_cndmask_b32_e64 v5, v1, v5, s0
	v_mov_b32_dpp v1, v3 quad_perm:[2,3,0,1] row_mask:0xf bank_mask:0xf
	s_delay_alu instid0(VALU_DEP_2) | instskip(NEXT) | instid1(VALU_DEP_2)
	v_mov_b32_dpp v42, v5 quad_perm:[2,3,0,1] row_mask:0xf bank_mask:0xf
	v_cmp_eq_f32_e64 s0, v3, v1
	s_delay_alu instid0(VALU_DEP_2) | instskip(SKIP_1) | instid1(VALU_DEP_2)
	v_cmp_lt_i32_e64 s1, v42, v5
	v_cmp_lt_f32_e64 s2, v3, v1
	s_and_b32 s0, s0, s1
	s_delay_alu instid0(VALU_DEP_1) | instid1(SALU_CYCLE_1)
	s_or_b32 s0, s2, s0
	s_delay_alu instid0(SALU_CYCLE_1) | instskip(SKIP_1) | instid1(VALU_DEP_2)
	v_cndmask_b32_e64 v1, v3, v1, s0
	v_cndmask_b32_e64 v5, v5, v42, s0
	v_mov_b32_dpp v3, v1 row_half_mirror row_mask:0xf bank_mask:0xf
	s_delay_alu instid0(VALU_DEP_2) | instskip(NEXT) | instid1(VALU_DEP_2)
	v_mov_b32_dpp v42, v5 row_half_mirror row_mask:0xf bank_mask:0xf
	v_cmp_eq_f32_e64 s0, v1, v3
	s_delay_alu instid0(VALU_DEP_2) | instskip(SKIP_1) | instid1(VALU_DEP_2)
	v_cmp_lt_i32_e64 s1, v42, v5
	v_cmp_lt_f32_e64 s2, v1, v3
	s_and_b32 s0, s0, s1
	s_delay_alu instid0(VALU_DEP_1) | instid1(SALU_CYCLE_1)
	s_or_b32 s0, s2, s0
	s_delay_alu instid0(SALU_CYCLE_1)
	v_cndmask_b32_e64 v42, v5, v42, s0
	s_and_saveexec_b32 s2, vcc_lo
	s_cbranch_execz .LBB282_16
; %bb.15:                               ;   in Loop: Header=BB282_14 Depth=1
	v_cndmask_b32_e64 v1, v1, v3, s0
	s_delay_alu instid0(VALU_DEP_2) | instskip(SKIP_4) | instid1(VALU_DEP_4)
	v_cmp_le_i32_e64 s0, s5, v42
	v_cmp_gt_i32_e64 s1, s6, v42
	v_ashrrev_i32_e32 v5, 31, v4
	v_subrev_nc_u32_e32 v51, s5, v42
	v_sub_f32_e32 v43, v1, v44
	s_and_b32 s0, s0, s1
	s_delay_alu instid0(SALU_CYCLE_1) | instskip(NEXT) | instid1(VALU_DEP_1)
	s_and_b32 s0, s17, s0
	v_mul_f32_e32 v1, 0x3fb8aa3b, v43
	s_delay_alu instid0(VALU_DEP_1) | instskip(SKIP_1) | instid1(VALU_DEP_2)
	v_fma_f32 v3, 0x3fb8aa3b, v43, -v1
	v_rndne_f32_e32 v45, v1
	v_fmac_f32_e32 v3, 0x32a5705f, v43
	s_delay_alu instid0(VALU_DEP_2) | instskip(SKIP_2) | instid1(VALU_DEP_3)
	v_sub_f32_e32 v1, v1, v45
	v_cvt_i32_f32_e32 v50, v45
	v_lshlrev_b64 v[45:46], 2, v[4:5]
	v_add_f32_e32 v1, v1, v3
	v_ashrrev_i32_e32 v3, 31, v2
	s_delay_alu instid0(VALU_DEP_2) | instskip(SKIP_1) | instid1(VALU_DEP_2)
	v_exp_f32_e32 v49, v1
	v_ashrrev_i32_e32 v1, 31, v0
	v_lshlrev_b64 v[47:48], 2, v[2:3]
	s_waitcnt_depctr 0xfff
	v_ldexp_f32 v3, v49, v50
	v_lshlrev_b64 v[49:50], 2, v[0:1]
	v_cndmask_b32_e64 v1, 0x80, v51, s0
	v_cmp_ngt_f32_e64 s0, 0xc2ce8ed0, v43
	s_delay_alu instid0(VALU_DEP_1) | instskip(SKIP_1) | instid1(VALU_DEP_1)
	v_cndmask_b32_e64 v3, 0, v3, s0
	v_add_co_u32 v45, s0, s12, v45
	v_add_co_ci_u32_e64 v46, s0, s13, v46, s0
	v_cmp_nlt_f32_e64 s0, 0x42b17218, v43
	s_delay_alu instid0(VALU_DEP_1) | instskip(SKIP_2) | instid1(VALU_DEP_1)
	v_cndmask_b32_e64 v3, 0x7f800000, v3, s0
	s_waitcnt lgkmcnt(0)
	v_add_co_u32 v47, s0, s8, v47
	v_add_co_ci_u32_e64 v48, s0, s9, v48, s0
	v_add_co_u32 v49, s0, s10, v49
	v_add_f32_e32 v11, v11, v3
	v_add_co_ci_u32_e64 v50, s0, s11, v50, s0
	global_store_b32 v[45:46], v3, off
	global_store_b32 v[47:48], v1, off
	;; [unrolled: 1-line block ×3, first 2 shown]
.LBB282_16:                             ;   in Loop: Header=BB282_14 Depth=1
	s_or_b32 exec_lo, exec_lo, s2
	s_delay_alu instid0(VALU_DEP_1) | instskip(SKIP_1) | instid1(VALU_DEP_1)
	v_ashrrev_i32_e32 v3, 31, v42
	s_mov_b32 s1, exec_lo
	v_lshrrev_b32_e32 v1, 28, v3
	s_delay_alu instid0(VALU_DEP_1) | instskip(NEXT) | instid1(VALU_DEP_1)
	v_add_nc_u32_e32 v1, v42, v1
	v_ashrrev_i32_e32 v1, 4, v1
	s_delay_alu instid0(VALU_DEP_1) | instskip(NEXT) | instid1(VALU_DEP_1)
	v_lshrrev_b32_e32 v5, 29, v1
	v_add_nc_u32_e32 v5, v1, v5
	s_delay_alu instid0(VALU_DEP_1) | instskip(NEXT) | instid1(VALU_DEP_1)
	v_and_b32_e32 v5, -8, v5
	v_sub_nc_u32_e32 v5, v1, v5
	s_delay_alu instid0(VALU_DEP_1)
	v_cmpx_eq_u32_e64 v9, v5
	s_cbranch_execz .LBB282_13
; %bb.17:                               ;   in Loop: Header=BB282_14 Depth=1
	v_lshrrev_b32_e32 v3, 25, v3
	v_lshlrev_b32_e32 v1, 4, v1
	s_delay_alu instid0(VALU_DEP_2) | instskip(NEXT) | instid1(VALU_DEP_2)
	v_add_nc_u32_e32 v3, v42, v3
	v_sub_nc_u32_e32 v1, v42, v1
	s_delay_alu instid0(VALU_DEP_2) | instskip(NEXT) | instid1(VALU_DEP_1)
	v_ashrrev_i32_e32 v3, 7, v3
	v_lshl_add_u32 v1, v3, 4, v1
	s_delay_alu instid0(VALU_DEP_1) | instskip(NEXT) | instid1(VALU_DEP_1)
	v_cmp_ne_u32_e64 s0, 15, v1
	v_cndmask_b32_e64 v40, 0xff800000, v40, s0
	v_cmp_ne_u32_e64 s0, 14, v1
	s_delay_alu instid0(VALU_DEP_1) | instskip(SKIP_1) | instid1(VALU_DEP_1)
	v_cndmask_b32_e64 v38, 0xff800000, v38, s0
	v_cmp_ne_u32_e64 s0, 13, v1
	v_cndmask_b32_e64 v36, 0xff800000, v36, s0
	v_cmp_ne_u32_e64 s0, 12, v1
	s_delay_alu instid0(VALU_DEP_1) | instskip(SKIP_1) | instid1(VALU_DEP_1)
	v_cndmask_b32_e64 v34, 0xff800000, v34, s0
	;; [unrolled: 5-line block ×7, first 2 shown]
	v_cmp_ne_u32_e64 s0, 1, v1
	v_cndmask_b32_e64 v13, 0xff800000, v13, s0
	v_cmp_ne_u32_e64 s0, 0, v1
	s_delay_alu instid0(VALU_DEP_1)
	v_cndmask_b32_e64 v12, 0xff800000, v12, s0
	s_branch .LBB282_13
.LBB282_18:
	v_cmp_eq_u32_e32 vcc_lo, 0, v9
	v_cmp_neq_f32_e64 s0, 0, v11
	s_delay_alu instid0(VALU_DEP_1) | instskip(NEXT) | instid1(SALU_CYCLE_1)
	s_and_b32 s0, vcc_lo, s0
	s_and_b32 exec_lo, exec_lo, s0
	s_cbranch_execz .LBB282_22
; %bb.19:
	s_and_not1_b32 vcc_lo, exec_lo, s3
	s_cbranch_vccnz .LBB282_22
; %bb.20:
	v_div_scale_f32 v1, null, v11, v11, 1.0
	v_div_scale_f32 v3, vcc_lo, 1.0, v11, 1.0
	s_delay_alu instid0(VALU_DEP_2) | instskip(SKIP_2) | instid1(VALU_DEP_1)
	v_rcp_f32_e32 v2, v1
	s_waitcnt_depctr 0xfff
	v_fma_f32 v0, -v1, v2, 1.0
	v_fmac_f32_e32 v2, v0, v2
	v_mul_lo_u32 v0, v8, s7
	s_delay_alu instid0(VALU_DEP_2) | instskip(NEXT) | instid1(VALU_DEP_1)
	v_mul_f32_e32 v4, v3, v2
	v_fma_f32 v5, -v1, v4, v3
	s_delay_alu instid0(VALU_DEP_1) | instskip(NEXT) | instid1(VALU_DEP_1)
	v_fmac_f32_e32 v4, v5, v2
	v_fma_f32 v3, -v1, v4, v3
	v_ashrrev_i32_e32 v1, 31, v0
	s_delay_alu instid0(VALU_DEP_2) | instskip(NEXT) | instid1(VALU_DEP_2)
	v_div_fmas_f32 v2, v3, v2, v4
	v_lshlrev_b64 v[0:1], 2, v[0:1]
	s_delay_alu instid0(VALU_DEP_2) | instskip(NEXT) | instid1(VALU_DEP_2)
	v_div_fixup_f32 v2, v2, v11, 1.0
	v_add_co_u32 v0, vcc_lo, s12, v0
	s_delay_alu instid0(VALU_DEP_3)
	v_add_co_ci_u32_e32 v1, vcc_lo, s13, v1, vcc_lo
.LBB282_21:                             ; =>This Inner Loop Header: Depth=1
	global_load_b32 v3, v[0:1], off
	s_add_i32 s4, s4, -1
	s_delay_alu instid0(SALU_CYCLE_1)
	s_cmp_lg_u32 s4, 0
	s_waitcnt vmcnt(0)
	v_mul_f32_e32 v3, v2, v3
	global_store_b32 v[0:1], v3, off
	v_add_co_u32 v0, vcc_lo, v0, 4
	v_add_co_ci_u32_e32 v1, vcc_lo, 0, v1, vcc_lo
	s_cbranch_scc1 .LBB282_21
.LBB282_22:
	s_nop 0
	s_sendmsg sendmsg(MSG_DEALLOC_VGPRS)
	s_endpgm
	.section	.rodata,"a",@progbits
	.p2align	6, 0x0
	.amdhsa_kernel _ZN4vllm3moe17topkGatingSoftmaxItLi16ELi128ELi8ELi32ELb1ELi2ELNS0_23SharedExpertScoringFuncE1EEEvPKT_PKbPfiPiS9_iiiiii
		.amdhsa_group_segment_fixed_size 0
		.amdhsa_private_segment_fixed_size 0
		.amdhsa_kernarg_size 72
		.amdhsa_user_sgpr_count 15
		.amdhsa_user_sgpr_dispatch_ptr 0
		.amdhsa_user_sgpr_queue_ptr 0
		.amdhsa_user_sgpr_kernarg_segment_ptr 1
		.amdhsa_user_sgpr_dispatch_id 0
		.amdhsa_user_sgpr_private_segment_size 0
		.amdhsa_wavefront_size32 1
		.amdhsa_uses_dynamic_stack 0
		.amdhsa_enable_private_segment 0
		.amdhsa_system_sgpr_workgroup_id_x 1
		.amdhsa_system_sgpr_workgroup_id_y 0
		.amdhsa_system_sgpr_workgroup_id_z 0
		.amdhsa_system_sgpr_workgroup_info 0
		.amdhsa_system_vgpr_workitem_id 1
		.amdhsa_next_free_vgpr 53
		.amdhsa_next_free_sgpr 19
		.amdhsa_reserve_vcc 1
		.amdhsa_float_round_mode_32 0
		.amdhsa_float_round_mode_16_64 0
		.amdhsa_float_denorm_mode_32 3
		.amdhsa_float_denorm_mode_16_64 3
		.amdhsa_dx10_clamp 1
		.amdhsa_ieee_mode 1
		.amdhsa_fp16_overflow 0
		.amdhsa_workgroup_processor_mode 1
		.amdhsa_memory_ordered 1
		.amdhsa_forward_progress 0
		.amdhsa_shared_vgpr_count 0
		.amdhsa_exception_fp_ieee_invalid_op 0
		.amdhsa_exception_fp_denorm_src 0
		.amdhsa_exception_fp_ieee_div_zero 0
		.amdhsa_exception_fp_ieee_overflow 0
		.amdhsa_exception_fp_ieee_underflow 0
		.amdhsa_exception_fp_ieee_inexact 0
		.amdhsa_exception_int_div_zero 0
	.end_amdhsa_kernel
	.section	.text._ZN4vllm3moe17topkGatingSoftmaxItLi16ELi128ELi8ELi32ELb1ELi2ELNS0_23SharedExpertScoringFuncE1EEEvPKT_PKbPfiPiS9_iiiiii,"axG",@progbits,_ZN4vllm3moe17topkGatingSoftmaxItLi16ELi128ELi8ELi32ELb1ELi2ELNS0_23SharedExpertScoringFuncE1EEEvPKT_PKbPfiPiS9_iiiiii,comdat
.Lfunc_end282:
	.size	_ZN4vllm3moe17topkGatingSoftmaxItLi16ELi128ELi8ELi32ELb1ELi2ELNS0_23SharedExpertScoringFuncE1EEEvPKT_PKbPfiPiS9_iiiiii, .Lfunc_end282-_ZN4vllm3moe17topkGatingSoftmaxItLi16ELi128ELi8ELi32ELb1ELi2ELNS0_23SharedExpertScoringFuncE1EEEvPKT_PKbPfiPiS9_iiiiii
                                        ; -- End function
	.section	.AMDGPU.csdata,"",@progbits
; Kernel info:
; codeLenInByte = 3864
; NumSgprs: 21
; NumVgprs: 53
; ScratchSize: 0
; MemoryBound: 0
; FloatMode: 240
; IeeeMode: 1
; LDSByteSize: 0 bytes/workgroup (compile time only)
; SGPRBlocks: 2
; VGPRBlocks: 6
; NumSGPRsForWavesPerEU: 21
; NumVGPRsForWavesPerEU: 53
; Occupancy: 16
; WaveLimiterHint : 0
; COMPUTE_PGM_RSRC2:SCRATCH_EN: 0
; COMPUTE_PGM_RSRC2:USER_SGPR: 15
; COMPUTE_PGM_RSRC2:TRAP_HANDLER: 0
; COMPUTE_PGM_RSRC2:TGID_X_EN: 1
; COMPUTE_PGM_RSRC2:TGID_Y_EN: 0
; COMPUTE_PGM_RSRC2:TGID_Z_EN: 0
; COMPUTE_PGM_RSRC2:TIDIG_COMP_CNT: 1
	.section	.text._ZN4vllm3moe17topkGatingSoftmaxItLi16ELi128ELi8ELi32ELb0ELi2ELNS0_23SharedExpertScoringFuncE1EEEvPKT_PKbPfiPiS9_iiiiii,"axG",@progbits,_ZN4vllm3moe17topkGatingSoftmaxItLi16ELi128ELi8ELi32ELb0ELi2ELNS0_23SharedExpertScoringFuncE1EEEvPKT_PKbPfiPiS9_iiiiii,comdat
	.protected	_ZN4vllm3moe17topkGatingSoftmaxItLi16ELi128ELi8ELi32ELb0ELi2ELNS0_23SharedExpertScoringFuncE1EEEvPKT_PKbPfiPiS9_iiiiii ; -- Begin function _ZN4vllm3moe17topkGatingSoftmaxItLi16ELi128ELi8ELi32ELb0ELi2ELNS0_23SharedExpertScoringFuncE1EEEvPKT_PKbPfiPiS9_iiiiii
	.globl	_ZN4vllm3moe17topkGatingSoftmaxItLi16ELi128ELi8ELi32ELb0ELi2ELNS0_23SharedExpertScoringFuncE1EEEvPKT_PKbPfiPiS9_iiiiii
	.p2align	8
	.type	_ZN4vllm3moe17topkGatingSoftmaxItLi16ELi128ELi8ELi32ELb0ELi2ELNS0_23SharedExpertScoringFuncE1EEEvPKT_PKbPfiPiS9_iiiiii,@function
_ZN4vllm3moe17topkGatingSoftmaxItLi16ELi128ELi8ELi32ELb0ELi2ELNS0_23SharedExpertScoringFuncE1EEEvPKT_PKbPfiPiS9_iiiiii: ; @_ZN4vllm3moe17topkGatingSoftmaxItLi16ELi128ELi8ELi32ELb0ELi2ELNS0_23SharedExpertScoringFuncE1EEEvPKT_PKbPfiPiS9_iiiiii
; %bb.0:
	s_load_b32 s16, s[0:1], 0x18
	v_bfe_u32 v1, v0, 10, 10
	v_and_b32_e32 v0, 0x3ff, v0
	s_lshl_b32 s18, s15, 5
	s_mov_b32 s2, exec_lo
	s_delay_alu instid0(VALU_DEP_2) | instskip(NEXT) | instid1(VALU_DEP_2)
	v_lshlrev_b32_e32 v42, 2, v1
	v_lshrrev_b32_e32 v43, 3, v0
	s_delay_alu instid0(VALU_DEP_1) | instskip(SKIP_1) | instid1(VALU_DEP_1)
	v_add3_u32 v8, s18, v42, v43
	s_waitcnt lgkmcnt(0)
	v_cmpx_gt_i32_e64 s16, v8
	s_cbranch_execz .LBB283_23
; %bb.1:
	s_clause 0x1
	s_load_b128 s[4:7], s[0:1], 0x0
	s_load_b64 s[12:13], s[0:1], 0x10
	s_waitcnt lgkmcnt(0)
	s_cmp_eq_u64 s[6:7], 0
	s_cbranch_scc1 .LBB283_3
; %bb.2:
	v_ashrrev_i32_e32 v2, 31, v8
	v_add_co_u32 v1, vcc_lo, s6, v8
	s_delay_alu instid0(VALU_DEP_2) | instskip(SKIP_3) | instid1(VALU_DEP_1)
	v_add_co_ci_u32_e32 v2, vcc_lo, s7, v2, vcc_lo
	global_load_u8 v1, v[1:2], off
	s_waitcnt vmcnt(0)
	v_and_b32_e32 v1, 1, v1
	v_cmp_eq_u32_e32 vcc_lo, 1, v1
	s_xor_b32 s2, vcc_lo, -1
	s_delay_alu instid0(SALU_CYCLE_1)
	s_or_not1_b32 s17, s2, exec_lo
	s_branch .LBB283_4
.LBB283_3:
	s_mov_b32 s17, -1
.LBB283_4:
	s_load_b64 s[14:15], s[0:1], 0x40
	v_dual_mov_b32 v10, 0 :: v_dual_and_b32 v9, 7, v0
	s_mov_b32 s2, exec_lo
	s_delay_alu instid0(VALU_DEP_1) | instskip(SKIP_2) | instid1(VALU_DEP_1)
	v_lshlrev_b32_e32 v22, 4, v9
	s_waitcnt lgkmcnt(0)
	v_mul_lo_u32 v1, v8, s15
	v_ashrrev_i32_e32 v2, 31, v1
	s_delay_alu instid0(VALU_DEP_1) | instskip(SKIP_1) | instid1(VALU_DEP_2)
	v_lshlrev_b64 v[0:1], 1, v[1:2]
	v_lshlrev_b32_e32 v2, 5, v9
	v_add_co_u32 v11, vcc_lo, s4, v0
	s_delay_alu instid0(VALU_DEP_3) | instskip(SKIP_1) | instid1(VALU_DEP_2)
	v_add_co_ci_u32_e32 v12, vcc_lo, s5, v1, vcc_lo
	s_load_b128 s[4:7], s[0:1], 0x30
	v_add_co_u32 v4, vcc_lo, v11, v2
	s_delay_alu instid0(VALU_DEP_2)
	v_add_co_ci_u32_e32 v5, vcc_lo, 0, v12, vcc_lo
	s_clause 0x1
	global_load_b128 v[0:3], v[4:5], off offset:16
	global_load_b128 v[4:7], v[4:5], off
	v_cmpx_gt_u32_e32 2, v9
	s_cbranch_execz .LBB283_6
; %bb.5:
	v_lshlrev_b32_e32 v13, 1, v9
	s_delay_alu instid0(VALU_DEP_1) | instskip(SKIP_4) | instid1(VALU_DEP_1)
	v_add_co_u32 v11, vcc_lo, v11, v13
	v_add_co_ci_u32_e32 v12, vcc_lo, 0, v12, vcc_lo
	global_load_u16 v11, v[11:12], off offset:256
	s_waitcnt vmcnt(0)
	v_cvt_f32_u32_e32 v11, v11
	v_mul_f32_e32 v12, 0xbfb8aa3b, v11
	v_cmp_nlt_f32_e32 vcc_lo, 0x42ce8ed0, v11
	s_delay_alu instid0(VALU_DEP_2) | instskip(SKIP_1) | instid1(VALU_DEP_1)
	v_fma_f32 v13, 0xbfb8aa3b, v11, -v12
	v_rndne_f32_e32 v14, v12
	v_dual_fmamk_f32 v13, v11, 0xb2a5705f, v13 :: v_dual_sub_f32 v12, v12, v14
	s_delay_alu instid0(VALU_DEP_1) | instskip(SKIP_1) | instid1(VALU_DEP_2)
	v_add_f32_e32 v12, v12, v13
	v_cvt_i32_f32_e32 v13, v14
	v_exp_f32_e32 v12, v12
	s_waitcnt_depctr 0xfff
	v_ldexp_f32 v12, v12, v13
	s_delay_alu instid0(VALU_DEP_1) | instskip(SKIP_1) | instid1(VALU_DEP_2)
	v_cndmask_b32_e32 v12, 0, v12, vcc_lo
	v_cmp_ngt_f32_e32 vcc_lo, 0xc2b17218, v11
	v_cndmask_b32_e32 v11, 0x7f800000, v12, vcc_lo
	s_delay_alu instid0(VALU_DEP_1) | instskip(NEXT) | instid1(VALU_DEP_1)
	v_add_f32_e32 v13, 1.0, v11
	v_div_scale_f32 v12, null, v13, v13, 1.0
	v_div_scale_f32 v15, vcc_lo, 1.0, v13, 1.0
	s_delay_alu instid0(VALU_DEP_2) | instskip(SKIP_2) | instid1(VALU_DEP_1)
	v_rcp_f32_e32 v14, v12
	s_waitcnt_depctr 0xfff
	v_fma_f32 v11, -v12, v14, 1.0
	v_fmac_f32_e32 v14, v11, v14
	s_waitcnt lgkmcnt(0)
	v_mul_lo_u32 v11, v8, s7
	s_delay_alu instid0(VALU_DEP_2) | instskip(NEXT) | instid1(VALU_DEP_2)
	v_mul_f32_e32 v16, v15, v14
	v_add3_u32 v11, v11, s4, v9
	s_delay_alu instid0(VALU_DEP_2) | instskip(NEXT) | instid1(VALU_DEP_1)
	v_fma_f32 v17, -v12, v16, v15
	v_fmac_f32_e32 v16, v17, v14
	s_delay_alu instid0(VALU_DEP_1) | instskip(NEXT) | instid1(VALU_DEP_4)
	v_fma_f32 v15, -v12, v16, v15
	v_ashrrev_i32_e32 v12, 31, v11
	s_delay_alu instid0(VALU_DEP_2) | instskip(NEXT) | instid1(VALU_DEP_2)
	v_div_fmas_f32 v14, v15, v14, v16
	v_lshlrev_b64 v[11:12], 2, v[11:12]
	s_delay_alu instid0(VALU_DEP_2) | instskip(NEXT) | instid1(VALU_DEP_2)
	v_div_fixup_f32 v13, v14, v13, 1.0
	v_add_co_u32 v11, vcc_lo, s12, v11
	s_delay_alu instid0(VALU_DEP_3)
	v_add_co_ci_u32_e32 v12, vcc_lo, s13, v12, vcc_lo
	global_store_b32 v[11:12], v13, off
.LBB283_6:
	s_or_b32 exec_lo, exec_lo, s2
	v_or_b32_e32 v29, 2, v22
	s_waitcnt vmcnt(0)
	v_and_b32_e32 v11, 0xffff, v4
	v_lshrrev_b32_e32 v4, 16, v4
	v_or_b32_e32 v28, 1, v22
	v_or_b32_e32 v30, 3, v22
	;; [unrolled: 1-line block ×3, first 2 shown]
	v_cvt_f32_u32_e32 v25, v11
	v_cvt_f32_u32_e32 v23, v4
	v_or_b32_e32 v32, 5, v22
	v_or_b32_e32 v33, 6, v22
	;; [unrolled: 1-line block ×4, first 2 shown]
	v_cmp_lt_f32_e32 vcc_lo, v25, v23
	v_and_b32_e32 v4, 0xffff, v5
	v_lshrrev_b32_e32 v5, 16, v5
	v_or_b32_e32 v36, 9, v22
	v_or_b32_e32 v37, 10, v22
	v_cndmask_b32_e32 v11, v25, v23, vcc_lo
	v_cvt_f32_u32_e32 v27, v4
	v_cndmask_b32_e32 v4, v22, v28, vcc_lo
	v_cvt_f32_u32_e32 v26, v5
	v_or_b32_e32 v38, 11, v22
	v_or_b32_e32 v39, 12, v22
	v_cmp_lt_f32_e32 vcc_lo, v11, v27
	v_or_b32_e32 v40, 13, v22
	v_or_b32_e32 v41, 14, v22
	;; [unrolled: 1-line block ×3, first 2 shown]
	v_dual_cndmask_b32 v5, v11, v27 :: v_dual_cndmask_b32 v4, v4, v29
	s_delay_alu instid0(VALU_DEP_1) | instskip(SKIP_1) | instid1(VALU_DEP_3)
	v_cmp_lt_f32_e32 vcc_lo, v5, v26
	v_cndmask_b32_e32 v5, v5, v26, vcc_lo
	v_cndmask_b32_e32 v4, v4, v30, vcc_lo
	v_and_b32_e32 v11, 0xffff, v6
	v_lshrrev_b32_e32 v6, 16, v6
	s_delay_alu instid0(VALU_DEP_2) | instskip(NEXT) | instid1(VALU_DEP_2)
	v_cvt_f32_u32_e32 v24, v11
	v_cvt_f32_u32_e32 v21, v6
	v_and_b32_e32 v6, 0xffff, v7
	s_delay_alu instid0(VALU_DEP_3) | instskip(NEXT) | instid1(VALU_DEP_2)
	v_cmp_lt_f32_e32 vcc_lo, v5, v24
	v_cvt_f32_u32_e32 v20, v6
	v_lshrrev_b32_e32 v6, 16, v7
	v_dual_cndmask_b32 v5, v5, v24 :: v_dual_cndmask_b32 v4, v4, v31
	s_delay_alu instid0(VALU_DEP_2) | instskip(NEXT) | instid1(VALU_DEP_2)
	v_cvt_f32_u32_e32 v19, v6
	v_cmp_lt_f32_e32 vcc_lo, v5, v21
	s_delay_alu instid0(VALU_DEP_3) | instskip(NEXT) | instid1(VALU_DEP_1)
	v_dual_cndmask_b32 v4, v4, v32 :: v_dual_cndmask_b32 v5, v5, v21
	v_cmp_lt_f32_e32 vcc_lo, v5, v20
	s_delay_alu instid0(VALU_DEP_2) | instskip(NEXT) | instid1(VALU_DEP_1)
	v_dual_cndmask_b32 v4, v4, v33 :: v_dual_cndmask_b32 v5, v5, v20
	v_cmp_lt_f32_e32 vcc_lo, v5, v19
	v_and_b32_e32 v6, 0xffff, v0
	v_lshrrev_b32_e32 v0, 16, v0
	v_cndmask_b32_e32 v5, v5, v19, vcc_lo
	s_delay_alu instid0(VALU_DEP_3) | instskip(SKIP_1) | instid1(VALU_DEP_4)
	v_cvt_f32_u32_e32 v18, v6
	v_cndmask_b32_e32 v4, v4, v34, vcc_lo
	v_cvt_f32_u32_e32 v17, v0
	s_delay_alu instid0(VALU_DEP_3) | instskip(NEXT) | instid1(VALU_DEP_3)
	v_cmp_lt_f32_e32 vcc_lo, v5, v18
	v_cndmask_b32_e32 v0, v4, v35, vcc_lo
	v_dual_cndmask_b32 v4, v5, v18 :: v_dual_and_b32 v5, 0xffff, v1
	v_lshrrev_b32_e32 v1, 16, v1
	s_delay_alu instid0(VALU_DEP_2) | instskip(NEXT) | instid1(VALU_DEP_3)
	v_cmp_lt_f32_e32 vcc_lo, v4, v17
	v_cvt_f32_u32_e32 v16, v5
	s_delay_alu instid0(VALU_DEP_3) | instskip(SKIP_2) | instid1(VALU_DEP_2)
	v_cvt_f32_u32_e32 v15, v1
	v_cndmask_b32_e32 v4, v4, v17, vcc_lo
	v_cndmask_b32_e32 v0, v0, v36, vcc_lo
	v_cmp_lt_f32_e32 vcc_lo, v4, v16
	v_dual_cndmask_b32 v1, v4, v16 :: v_dual_and_b32 v4, 0xffff, v2
	v_lshrrev_b32_e32 v2, 16, v2
	s_delay_alu instid0(VALU_DEP_2) | instskip(NEXT) | instid1(VALU_DEP_2)
	v_cvt_f32_u32_e32 v13, v4
	v_cvt_f32_u32_e32 v12, v2
	v_and_b32_e32 v2, 0xffff, v3
	s_delay_alu instid0(VALU_DEP_1) | instskip(SKIP_4) | instid1(VALU_DEP_2)
	v_cvt_f32_u32_e32 v11, v2
	v_cndmask_b32_e32 v0, v0, v37, vcc_lo
	v_cmp_lt_f32_e32 vcc_lo, v1, v15
	v_lshrrev_b32_e32 v2, 16, v3
	v_cndmask_b32_e32 v1, v1, v15, vcc_lo
	v_cvt_f32_u32_e32 v7, v2
	v_cndmask_b32_e32 v0, v0, v38, vcc_lo
	s_delay_alu instid0(VALU_DEP_3) | instskip(NEXT) | instid1(VALU_DEP_2)
	v_cmp_lt_f32_e32 vcc_lo, v1, v13
	v_dual_cndmask_b32 v1, v1, v13 :: v_dual_cndmask_b32 v0, v0, v39
	s_delay_alu instid0(VALU_DEP_1) | instskip(SKIP_1) | instid1(VALU_DEP_3)
	v_cmp_lt_f32_e32 vcc_lo, v1, v12
	v_cndmask_b32_e32 v1, v1, v12, vcc_lo
	v_cndmask_b32_e32 v0, v0, v40, vcc_lo
	s_delay_alu instid0(VALU_DEP_2) | instskip(NEXT) | instid1(VALU_DEP_2)
	v_cmp_lt_f32_e32 vcc_lo, v1, v11
	v_dual_cndmask_b32 v1, v1, v11 :: v_dual_cndmask_b32 v0, v0, v41
	s_delay_alu instid0(VALU_DEP_1) | instskip(NEXT) | instid1(VALU_DEP_2)
	v_cmp_lt_f32_e32 vcc_lo, v1, v7
	v_dual_cndmask_b32 v0, v0, v44 :: v_dual_cndmask_b32 v1, v1, v7
	s_delay_alu instid0(VALU_DEP_1) | instskip(NEXT) | instid1(VALU_DEP_2)
	v_mov_b32_dpp v2, v0 quad_perm:[1,0,3,2] row_mask:0xf bank_mask:0xf
	v_mov_b32_dpp v3, v1 quad_perm:[1,0,3,2] row_mask:0xf bank_mask:0xf
	s_delay_alu instid0(VALU_DEP_2) | instskip(NEXT) | instid1(VALU_DEP_2)
	v_cmp_lt_i32_e32 vcc_lo, v2, v0
	v_cmp_eq_f32_e64 s2, v1, v3
	v_cmp_lt_f32_e64 s3, v1, v3
	s_delay_alu instid0(VALU_DEP_2)
	s_and_b32 s2, s2, vcc_lo
	s_delay_alu instid0(VALU_DEP_1) | instid1(SALU_CYCLE_1)
	s_or_b32 vcc_lo, s3, s2
	v_dual_cndmask_b32 v1, v1, v3 :: v_dual_cndmask_b32 v0, v0, v2
	s_delay_alu instid0(VALU_DEP_1) | instskip(NEXT) | instid1(VALU_DEP_2)
	v_mov_b32_dpp v2, v1 quad_perm:[2,3,0,1] row_mask:0xf bank_mask:0xf
	v_mov_b32_dpp v3, v0 quad_perm:[2,3,0,1] row_mask:0xf bank_mask:0xf
	s_delay_alu instid0(VALU_DEP_2) | instskip(NEXT) | instid1(VALU_DEP_2)
	v_cmp_eq_f32_e32 vcc_lo, v1, v2
	v_cmp_lt_i32_e64 s2, v3, v0
	v_cmp_lt_f32_e64 s3, v1, v2
	s_delay_alu instid0(VALU_DEP_2)
	s_and_b32 s2, vcc_lo, s2
	s_delay_alu instid0(VALU_DEP_1) | instid1(SALU_CYCLE_1)
	s_or_b32 vcc_lo, s3, s2
	v_dual_cndmask_b32 v1, v1, v2 :: v_dual_cndmask_b32 v0, v0, v3
	s_delay_alu instid0(VALU_DEP_1) | instskip(NEXT) | instid1(VALU_DEP_2)
	v_mov_b32_dpp v3, v1 row_half_mirror row_mask:0xf bank_mask:0xf
	v_mov_b32_dpp v2, v0 row_half_mirror row_mask:0xf bank_mask:0xf
	s_delay_alu instid0(VALU_DEP_2) | instskip(NEXT) | instid1(VALU_DEP_2)
	v_cmp_eq_f32_e32 vcc_lo, v1, v3
	v_cmp_lt_i32_e64 s2, v2, v0
	v_cmp_lt_f32_e64 s3, v1, v3
	s_delay_alu instid0(VALU_DEP_2) | instskip(SKIP_1) | instid1(VALU_DEP_2)
	s_and_b32 s2, vcc_lo, s2
	v_cmp_eq_u32_e32 vcc_lo, 0, v9
	s_or_b32 s2, s3, s2
	s_waitcnt lgkmcnt(0)
	s_cmp_gt_i32 s4, 0
	v_cndmask_b32_e64 v14, v1, v3, s2
	s_cselect_b32 s3, -1, 0
	s_cmp_lt_i32 s4, 1
	s_cbranch_scc1 .LBB283_18
; %bb.7:
	s_load_b128 s[8:11], s[0:1], 0x20
	v_mul_lo_u32 v1, v8, s7
	v_mul_lo_u32 v3, v8, s14
	;; [unrolled: 1-line block ×3, first 2 shown]
	v_cndmask_b32_e64 v0, v0, v2, s2
	v_mov_b32_e32 v10, 0
	s_and_saveexec_b32 s2, vcc_lo
	s_cbranch_execz .LBB283_9
; %bb.8:
	v_sub_f32_e32 v10, v14, v14
	v_cmp_le_i32_e64 s0, s5, v0
	v_cmp_gt_i32_e64 s1, s6, v0
	v_subrev_nc_u32_e32 v51, s5, v0
	v_ashrrev_i32_e32 v6, 31, v5
	v_mul_f32_e32 v2, 0x3fb8aa3b, v10
	s_delay_alu instid0(VALU_DEP_4) | instskip(NEXT) | instid1(SALU_CYCLE_1)
	s_and_b32 s0, s0, s1
	s_and_b32 s0, s17, s0
	s_delay_alu instid0(VALU_DEP_1) | instskip(SKIP_2) | instid1(VALU_DEP_3)
	v_rndne_f32_e32 v47, v2
	v_fma_f32 v4, 0x3fb8aa3b, v10, -v2
	v_lshlrev_b64 v[49:50], 2, v[5:6]
	v_sub_f32_e32 v2, v2, v47
	s_delay_alu instid0(VALU_DEP_3) | instskip(NEXT) | instid1(VALU_DEP_1)
	v_fmamk_f32 v4, v10, 0x32a5705f, v4
	v_add_f32_e32 v4, v2, v4
	v_ashrrev_i32_e32 v2, 31, v1
	s_delay_alu instid0(VALU_DEP_2) | instskip(NEXT) | instid1(VALU_DEP_1)
	v_exp_f32_e32 v52, v4
	v_lshlrev_b64 v[45:46], 2, v[1:2]
	v_ashrrev_i32_e32 v4, 31, v3
	v_cvt_i32_f32_e32 v2, v47
	s_delay_alu instid0(VALU_DEP_2) | instskip(SKIP_2) | instid1(VALU_DEP_1)
	v_lshlrev_b64 v[47:48], 2, v[3:4]
	v_cndmask_b32_e64 v4, 0x80, v51, s0
	v_add_co_u32 v45, s0, s12, v45
	v_add_co_ci_u32_e64 v46, s0, s13, v46, s0
	s_delay_alu instid0(TRANS32_DEP_1) | instskip(SKIP_1) | instid1(VALU_DEP_1)
	v_ldexp_f32 v2, v52, v2
	v_cmp_ngt_f32_e64 s0, 0xc2ce8ed0, v10
	v_cndmask_b32_e64 v2, 0, v2, s0
	s_waitcnt lgkmcnt(0)
	v_add_co_u32 v47, s0, s8, v47
	s_delay_alu instid0(VALU_DEP_1) | instskip(SKIP_1) | instid1(VALU_DEP_1)
	v_add_co_ci_u32_e64 v48, s0, s9, v48, s0
	v_cmp_nlt_f32_e64 s0, 0x42b17218, v10
	v_cndmask_b32_e64 v10, 0x7f800000, v2, s0
	v_add_co_u32 v49, s0, s10, v49
	s_delay_alu instid0(VALU_DEP_1)
	v_add_co_ci_u32_e64 v50, s0, s11, v50, s0
	global_store_b32 v[47:48], v4, off
	global_store_b32 v[45:46], v10, off
	global_store_b32 v[49:50], v8, off
.LBB283_9:
	s_or_b32 exec_lo, exec_lo, s2
	v_ashrrev_i32_e32 v4, 31, v0
	s_mov_b32 s1, exec_lo
	s_delay_alu instid0(VALU_DEP_1) | instskip(NEXT) | instid1(VALU_DEP_1)
	v_lshrrev_b32_e32 v2, 28, v4
	v_add_nc_u32_e32 v2, v0, v2
	s_delay_alu instid0(VALU_DEP_1) | instskip(NEXT) | instid1(VALU_DEP_1)
	v_ashrrev_i32_e32 v2, 4, v2
	v_lshrrev_b32_e32 v6, 29, v2
	s_delay_alu instid0(VALU_DEP_1) | instskip(NEXT) | instid1(VALU_DEP_1)
	v_add_nc_u32_e32 v6, v2, v6
	v_and_b32_e32 v6, -8, v6
	s_delay_alu instid0(VALU_DEP_1) | instskip(NEXT) | instid1(VALU_DEP_1)
	v_sub_nc_u32_e32 v6, v2, v6
	v_cmpx_eq_u32_e64 v9, v6
	s_cbranch_execz .LBB283_11
; %bb.10:
	v_lshrrev_b32_e32 v4, 25, v4
	v_lshlrev_b32_e32 v2, 4, v2
	s_delay_alu instid0(VALU_DEP_2) | instskip(NEXT) | instid1(VALU_DEP_2)
	v_add_nc_u32_e32 v4, v0, v4
	v_sub_nc_u32_e32 v0, v0, v2
	s_delay_alu instid0(VALU_DEP_2) | instskip(NEXT) | instid1(VALU_DEP_1)
	v_ashrrev_i32_e32 v2, 7, v4
	v_lshl_add_u32 v0, v2, 4, v0
	s_delay_alu instid0(VALU_DEP_1) | instskip(NEXT) | instid1(VALU_DEP_1)
	v_cmp_ne_u32_e64 s0, 15, v0
	v_cndmask_b32_e64 v7, 0xff800000, v7, s0
	v_cmp_ne_u32_e64 s0, 14, v0
	s_delay_alu instid0(VALU_DEP_1) | instskip(SKIP_1) | instid1(VALU_DEP_1)
	v_cndmask_b32_e64 v11, 0xff800000, v11, s0
	v_cmp_ne_u32_e64 s0, 13, v0
	v_cndmask_b32_e64 v12, 0xff800000, v12, s0
	v_cmp_ne_u32_e64 s0, 12, v0
	s_delay_alu instid0(VALU_DEP_1) | instskip(SKIP_1) | instid1(VALU_DEP_1)
	v_cndmask_b32_e64 v13, 0xff800000, v13, s0
	;; [unrolled: 5-line block ×7, first 2 shown]
	v_cmp_ne_u32_e64 s0, 1, v0
	v_cndmask_b32_e64 v23, 0xff800000, v23, s0
	v_cmp_ne_u32_e64 s0, 0, v0
	s_delay_alu instid0(VALU_DEP_1)
	v_cndmask_b32_e64 v25, 0xff800000, v25, s0
.LBB283_11:
	s_or_b32 exec_lo, exec_lo, s1
	s_cmp_eq_u32 s4, 1
	s_cbranch_scc1 .LBB283_18
; %bb.12:
	s_add_i32 s18, s18, s16
	v_add_nc_u32_e32 v0, 1, v5
	v_add3_u32 v6, s18, v43, v42
	v_add_nc_u32_e32 v2, 1, v3
	v_add_nc_u32_e32 v4, 1, v1
	s_add_i32 s14, s4, -1
	s_branch .LBB283_14
.LBB283_13:                             ;   in Loop: Header=BB283_14 Depth=1
	s_or_b32 exec_lo, exec_lo, s1
	v_add_nc_u32_e32 v6, s16, v6
	v_add_nc_u32_e32 v0, 1, v0
	;; [unrolled: 1-line block ×4, first 2 shown]
	s_add_i32 s14, s14, -1
	s_delay_alu instid0(SALU_CYCLE_1)
	s_cmp_eq_u32 s14, 0
	s_cbranch_scc1 .LBB283_18
.LBB283_14:                             ; =>This Inner Loop Header: Depth=1
	v_cmp_gt_f32_e64 s0, v23, v25
	s_delay_alu instid0(VALU_DEP_1) | instskip(SKIP_1) | instid1(VALU_DEP_2)
	v_cndmask_b32_e64 v3, v25, v23, s0
	v_cndmask_b32_e64 v1, v22, v28, s0
	v_cmp_gt_f32_e64 s0, v27, v3
	s_delay_alu instid0(VALU_DEP_1) | instskip(NEXT) | instid1(VALU_DEP_3)
	v_cndmask_b32_e64 v3, v3, v27, s0
	v_cndmask_b32_e64 v1, v1, v29, s0
	s_delay_alu instid0(VALU_DEP_2) | instskip(NEXT) | instid1(VALU_DEP_1)
	v_cmp_gt_f32_e64 s0, v26, v3
	v_cndmask_b32_e64 v3, v3, v26, s0
	s_delay_alu instid0(VALU_DEP_3) | instskip(NEXT) | instid1(VALU_DEP_2)
	v_cndmask_b32_e64 v1, v1, v30, s0
	v_cmp_gt_f32_e64 s0, v24, v3
	s_delay_alu instid0(VALU_DEP_1) | instskip(NEXT) | instid1(VALU_DEP_3)
	v_cndmask_b32_e64 v3, v3, v24, s0
	v_cndmask_b32_e64 v1, v1, v31, s0
	s_delay_alu instid0(VALU_DEP_2) | instskip(NEXT) | instid1(VALU_DEP_1)
	v_cmp_gt_f32_e64 s0, v21, v3
	v_cndmask_b32_e64 v3, v3, v21, s0
	s_delay_alu instid0(VALU_DEP_3) | instskip(NEXT) | instid1(VALU_DEP_2)
	;; [unrolled: 9-line block ×6, first 2 shown]
	v_cndmask_b32_e64 v1, v1, v40, s0
	v_cmp_gt_f32_e64 s0, v11, v3
	s_delay_alu instid0(VALU_DEP_1) | instskip(NEXT) | instid1(VALU_DEP_3)
	v_cndmask_b32_e64 v3, v3, v11, s0
	v_cndmask_b32_e64 v1, v1, v41, s0
	s_delay_alu instid0(VALU_DEP_2) | instskip(NEXT) | instid1(VALU_DEP_1)
	v_cmp_gt_f32_e64 s0, v7, v3
	v_cndmask_b32_e64 v1, v1, v44, s0
	v_cndmask_b32_e64 v3, v3, v7, s0
	s_delay_alu instid0(VALU_DEP_2) | instskip(NEXT) | instid1(VALU_DEP_2)
	v_mov_b32_dpp v5, v1 quad_perm:[1,0,3,2] row_mask:0xf bank_mask:0xf
	v_mov_b32_dpp v42, v3 quad_perm:[1,0,3,2] row_mask:0xf bank_mask:0xf
	s_delay_alu instid0(VALU_DEP_2) | instskip(NEXT) | instid1(VALU_DEP_2)
	v_cmp_lt_i32_e64 s0, v5, v1
	v_cmp_eq_f32_e64 s1, v3, v42
	v_cmp_lt_f32_e64 s2, v3, v42
	s_delay_alu instid0(VALU_DEP_2)
	s_and_b32 s0, s1, s0
	s_delay_alu instid0(VALU_DEP_1) | instid1(SALU_CYCLE_1)
	s_or_b32 s0, s2, s0
	s_delay_alu instid0(SALU_CYCLE_1) | instskip(SKIP_1) | instid1(VALU_DEP_2)
	v_cndmask_b32_e64 v3, v3, v42, s0
	v_cndmask_b32_e64 v5, v1, v5, s0
	v_mov_b32_dpp v1, v3 quad_perm:[2,3,0,1] row_mask:0xf bank_mask:0xf
	s_delay_alu instid0(VALU_DEP_2) | instskip(NEXT) | instid1(VALU_DEP_2)
	v_mov_b32_dpp v42, v5 quad_perm:[2,3,0,1] row_mask:0xf bank_mask:0xf
	v_cmp_eq_f32_e64 s0, v3, v1
	s_delay_alu instid0(VALU_DEP_2) | instskip(SKIP_1) | instid1(VALU_DEP_2)
	v_cmp_lt_i32_e64 s1, v42, v5
	v_cmp_lt_f32_e64 s2, v3, v1
	s_and_b32 s0, s0, s1
	s_delay_alu instid0(VALU_DEP_1) | instid1(SALU_CYCLE_1)
	s_or_b32 s0, s2, s0
	s_delay_alu instid0(SALU_CYCLE_1) | instskip(SKIP_1) | instid1(VALU_DEP_2)
	v_cndmask_b32_e64 v1, v3, v1, s0
	v_cndmask_b32_e64 v5, v5, v42, s0
	v_mov_b32_dpp v3, v1 row_half_mirror row_mask:0xf bank_mask:0xf
	s_delay_alu instid0(VALU_DEP_2) | instskip(NEXT) | instid1(VALU_DEP_2)
	v_mov_b32_dpp v42, v5 row_half_mirror row_mask:0xf bank_mask:0xf
	v_cmp_eq_f32_e64 s0, v1, v3
	s_delay_alu instid0(VALU_DEP_2) | instskip(SKIP_1) | instid1(VALU_DEP_2)
	v_cmp_lt_i32_e64 s1, v42, v5
	v_cmp_lt_f32_e64 s2, v1, v3
	s_and_b32 s0, s0, s1
	s_delay_alu instid0(VALU_DEP_1) | instid1(SALU_CYCLE_1)
	s_or_b32 s0, s2, s0
	s_delay_alu instid0(SALU_CYCLE_1)
	v_cndmask_b32_e64 v42, v5, v42, s0
	s_and_saveexec_b32 s2, vcc_lo
	s_cbranch_execz .LBB283_16
; %bb.15:                               ;   in Loop: Header=BB283_14 Depth=1
	v_cndmask_b32_e64 v1, v1, v3, s0
	s_delay_alu instid0(VALU_DEP_2) | instskip(SKIP_4) | instid1(VALU_DEP_4)
	v_cmp_le_i32_e64 s0, s5, v42
	v_cmp_gt_i32_e64 s1, s6, v42
	v_ashrrev_i32_e32 v5, 31, v4
	v_subrev_nc_u32_e32 v51, s5, v42
	v_sub_f32_e32 v43, v1, v14
	s_and_b32 s0, s0, s1
	s_delay_alu instid0(SALU_CYCLE_1) | instskip(NEXT) | instid1(VALU_DEP_1)
	s_and_b32 s0, s17, s0
	v_mul_f32_e32 v1, 0x3fb8aa3b, v43
	s_delay_alu instid0(VALU_DEP_1) | instskip(SKIP_1) | instid1(VALU_DEP_2)
	v_fma_f32 v3, 0x3fb8aa3b, v43, -v1
	v_rndne_f32_e32 v45, v1
	v_fmac_f32_e32 v3, 0x32a5705f, v43
	s_delay_alu instid0(VALU_DEP_2) | instskip(SKIP_2) | instid1(VALU_DEP_3)
	v_sub_f32_e32 v1, v1, v45
	v_cvt_i32_f32_e32 v50, v45
	v_lshlrev_b64 v[45:46], 2, v[4:5]
	v_add_f32_e32 v1, v1, v3
	v_ashrrev_i32_e32 v3, 31, v2
	s_delay_alu instid0(VALU_DEP_2) | instskip(SKIP_1) | instid1(VALU_DEP_2)
	v_exp_f32_e32 v49, v1
	v_ashrrev_i32_e32 v1, 31, v0
	v_lshlrev_b64 v[47:48], 2, v[2:3]
	s_waitcnt_depctr 0xfff
	v_ldexp_f32 v3, v49, v50
	v_lshlrev_b64 v[49:50], 2, v[0:1]
	v_cndmask_b32_e64 v1, 0x80, v51, s0
	v_cmp_ngt_f32_e64 s0, 0xc2ce8ed0, v43
	s_delay_alu instid0(VALU_DEP_1) | instskip(SKIP_1) | instid1(VALU_DEP_1)
	v_cndmask_b32_e64 v3, 0, v3, s0
	v_add_co_u32 v45, s0, s12, v45
	v_add_co_ci_u32_e64 v46, s0, s13, v46, s0
	v_cmp_nlt_f32_e64 s0, 0x42b17218, v43
	s_delay_alu instid0(VALU_DEP_1) | instskip(SKIP_2) | instid1(VALU_DEP_1)
	v_cndmask_b32_e64 v3, 0x7f800000, v3, s0
	s_waitcnt lgkmcnt(0)
	v_add_co_u32 v47, s0, s8, v47
	v_add_co_ci_u32_e64 v48, s0, s9, v48, s0
	s_delay_alu instid0(VALU_DEP_3) | instskip(SKIP_1) | instid1(VALU_DEP_1)
	v_add_f32_e32 v10, v10, v3
	v_add_co_u32 v49, s0, s10, v49
	v_add_co_ci_u32_e64 v50, s0, s11, v50, s0
	global_store_b32 v[45:46], v3, off
	global_store_b32 v[47:48], v1, off
	;; [unrolled: 1-line block ×3, first 2 shown]
.LBB283_16:                             ;   in Loop: Header=BB283_14 Depth=1
	s_or_b32 exec_lo, exec_lo, s2
	s_delay_alu instid0(VALU_DEP_1) | instskip(SKIP_1) | instid1(VALU_DEP_1)
	v_ashrrev_i32_e32 v3, 31, v42
	s_mov_b32 s1, exec_lo
	v_lshrrev_b32_e32 v1, 28, v3
	s_delay_alu instid0(VALU_DEP_1) | instskip(NEXT) | instid1(VALU_DEP_1)
	v_add_nc_u32_e32 v1, v42, v1
	v_ashrrev_i32_e32 v1, 4, v1
	s_delay_alu instid0(VALU_DEP_1) | instskip(NEXT) | instid1(VALU_DEP_1)
	v_lshrrev_b32_e32 v5, 29, v1
	v_add_nc_u32_e32 v5, v1, v5
	s_delay_alu instid0(VALU_DEP_1) | instskip(NEXT) | instid1(VALU_DEP_1)
	v_and_b32_e32 v5, -8, v5
	v_sub_nc_u32_e32 v5, v1, v5
	s_delay_alu instid0(VALU_DEP_1)
	v_cmpx_eq_u32_e64 v9, v5
	s_cbranch_execz .LBB283_13
; %bb.17:                               ;   in Loop: Header=BB283_14 Depth=1
	v_lshrrev_b32_e32 v3, 25, v3
	v_lshlrev_b32_e32 v1, 4, v1
	s_delay_alu instid0(VALU_DEP_2) | instskip(NEXT) | instid1(VALU_DEP_2)
	v_add_nc_u32_e32 v3, v42, v3
	v_sub_nc_u32_e32 v1, v42, v1
	s_delay_alu instid0(VALU_DEP_2) | instskip(NEXT) | instid1(VALU_DEP_1)
	v_ashrrev_i32_e32 v3, 7, v3
	v_lshl_add_u32 v1, v3, 4, v1
	s_delay_alu instid0(VALU_DEP_1) | instskip(NEXT) | instid1(VALU_DEP_1)
	v_cmp_ne_u32_e64 s0, 15, v1
	v_cndmask_b32_e64 v7, 0xff800000, v7, s0
	v_cmp_ne_u32_e64 s0, 14, v1
	s_delay_alu instid0(VALU_DEP_1) | instskip(SKIP_1) | instid1(VALU_DEP_1)
	v_cndmask_b32_e64 v11, 0xff800000, v11, s0
	v_cmp_ne_u32_e64 s0, 13, v1
	v_cndmask_b32_e64 v12, 0xff800000, v12, s0
	v_cmp_ne_u32_e64 s0, 12, v1
	s_delay_alu instid0(VALU_DEP_1) | instskip(SKIP_1) | instid1(VALU_DEP_1)
	v_cndmask_b32_e64 v13, 0xff800000, v13, s0
	;; [unrolled: 5-line block ×7, first 2 shown]
	v_cmp_ne_u32_e64 s0, 1, v1
	v_cndmask_b32_e64 v23, 0xff800000, v23, s0
	v_cmp_ne_u32_e64 s0, 0, v1
	s_delay_alu instid0(VALU_DEP_1)
	v_cndmask_b32_e64 v25, 0xff800000, v25, s0
	s_branch .LBB283_13
.LBB283_18:
	s_delay_alu instid0(VALU_DEP_1)
	v_sub_f32_e32 v3, v27, v14
	v_sub_f32_e32 v5, v26, v14
	;; [unrolled: 1-line block ×6, first 2 shown]
	v_mul_f32_e32 v27, 0x3fb8aa3b, v5
	v_dual_sub_f32 v1, v23, v14 :: v_dual_mul_f32 v2, 0x3fb8aa3b, v0
	v_cmp_ngt_f32_e32 vcc_lo, 0xc2ce8ed0, v0
	v_sub_f32_e32 v19, v19, v14
	s_delay_alu instid0(VALU_DEP_4) | instskip(NEXT) | instid1(VALU_DEP_4)
	v_rndne_f32_e32 v30, v27
	v_mul_f32_e32 v4, 0x3fb8aa3b, v1
	v_fma_f32 v22, 0x3fb8aa3b, v0, -v2
	v_rndne_f32_e32 v23, v2
	v_mul_f32_e32 v26, 0x3fb8aa3b, v3
	v_fma_f32 v29, 0x3fb8aa3b, v5, -v27
	v_sub_f32_e32 v6, v24, v14
	v_fma_f32 v24, 0x3fb8aa3b, v1, -v4
	v_rndne_f32_e32 v25, v4
	s_delay_alu instid0(VALU_DEP_4) | instskip(SKIP_1) | instid1(VALU_DEP_4)
	v_dual_fmac_f32 v22, 0x32a5705f, v0 :: v_dual_fmac_f32 v29, 0x32a5705f, v5
	v_sub_f32_e32 v2, v2, v23
	v_fmac_f32_e32 v24, 0x32a5705f, v1
	s_delay_alu instid0(VALU_DEP_4)
	v_sub_f32_e32 v4, v4, v25
	v_cvt_i32_f32_e32 v23, v23
	v_cvt_i32_f32_e32 v25, v25
	v_add_f32_e32 v2, v2, v22
	v_fma_f32 v22, 0x3fb8aa3b, v3, -v26
	v_add_f32_e32 v4, v4, v24
	v_rndne_f32_e32 v24, v26
	v_sub_f32_e32 v15, v15, v14
	v_exp_f32_e32 v2, v2
	v_fmac_f32_e32 v22, 0x32a5705f, v3
	v_exp_f32_e32 v4, v4
	v_sub_f32_e32 v26, v26, v24
	v_cvt_i32_f32_e32 v24, v24
	v_sub_f32_e32 v11, v11, v14
	s_delay_alu instid0(VALU_DEP_3) | instskip(NEXT) | instid1(TRANS32_DEP_2)
	v_add_f32_e32 v22, v26, v22
	v_ldexp_f32 v2, v2, v23
	v_sub_f32_e32 v23, v27, v30
	s_delay_alu instid0(TRANS32_DEP_1) | instskip(NEXT) | instid1(VALU_DEP_4)
	v_ldexp_f32 v4, v4, v25
	v_exp_f32_e32 v22, v22
	s_delay_alu instid0(VALU_DEP_3) | instskip(SKIP_1) | instid1(VALU_DEP_3)
	v_cndmask_b32_e32 v2, 0, v2, vcc_lo
	v_cmp_ngt_f32_e32 vcc_lo, 0xc2ce8ed0, v1
	v_dual_add_f32 v23, v23, v29 :: v_dual_cndmask_b32 v4, 0, v4
	v_cmp_nlt_f32_e32 vcc_lo, 0x42b17218, v0
	s_delay_alu instid0(VALU_DEP_2) | instskip(SKIP_3) | instid1(TRANS32_DEP_2)
	v_exp_f32_e32 v23, v23
	v_cndmask_b32_e32 v0, 0x7f800000, v2, vcc_lo
	v_cmp_nlt_f32_e32 vcc_lo, 0x42b17218, v1
	v_cndmask_b32_e32 v1, 0x7f800000, v4, vcc_lo
	v_ldexp_f32 v4, v22, v24
	v_cmp_ngt_f32_e32 vcc_lo, 0xc2ce8ed0, v3
	s_delay_alu instid0(VALU_DEP_2)
	v_dual_add_f32 v0, v0, v1 :: v_dual_cndmask_b32 v1, 0, v4
	v_cvt_i32_f32_e32 v4, v30
	v_cmp_nlt_f32_e32 vcc_lo, 0x42b17218, v3
	s_delay_alu instid0(TRANS32_DEP_1) | instid1(VALU_DEP_2)
	v_ldexp_f32 v3, v23, v4
	s_delay_alu instid0(VALU_DEP_4) | instskip(SKIP_3) | instid1(VALU_DEP_4)
	v_cndmask_b32_e32 v1, 0x7f800000, v1, vcc_lo
	v_cmp_ngt_f32_e32 vcc_lo, 0xc2ce8ed0, v5
	v_mul_f32_e32 v28, 0x3fb8aa3b, v6
	v_mul_f32_e32 v4, 0x3fb8aa3b, v21
	v_dual_add_f32 v0, v0, v1 :: v_dual_cndmask_b32 v1, 0, v3
	s_delay_alu instid0(VALU_DEP_3) | instskip(SKIP_1) | instid1(VALU_DEP_4)
	v_fma_f32 v2, 0x3fb8aa3b, v6, -v28
	v_rndne_f32_e32 v22, v28
	v_fma_f32 v3, 0x3fb8aa3b, v21, -v4
	v_rndne_f32_e32 v23, v4
	v_cmp_nlt_f32_e32 vcc_lo, 0x42b17218, v5
	v_fmac_f32_e32 v2, 0x32a5705f, v6
	v_sub_f32_e32 v24, v28, v22
	v_cvt_i32_f32_e32 v5, v22
	v_fmac_f32_e32 v3, 0x32a5705f, v21
	v_dual_cndmask_b32 v1, 0x7f800000, v1 :: v_dual_sub_f32 v4, v4, v23
	s_delay_alu instid0(VALU_DEP_4) | instskip(SKIP_1) | instid1(VALU_DEP_3)
	v_add_f32_e32 v2, v24, v2
	v_cmp_ngt_f32_e32 vcc_lo, 0xc2ce8ed0, v6
	v_add_f32_e32 v0, v0, v1
	s_delay_alu instid0(VALU_DEP_3) | instskip(SKIP_2) | instid1(VALU_DEP_1)
	v_exp_f32_e32 v2, v2
	s_waitcnt_depctr 0xfff
	v_ldexp_f32 v1, v2, v5
	v_dual_add_f32 v2, v4, v3 :: v_dual_cndmask_b32 v1, 0, v1
	s_delay_alu instid0(VALU_DEP_1) | instskip(SKIP_2) | instid1(VALU_DEP_3)
	v_exp_f32_e32 v2, v2
	v_cmp_nlt_f32_e32 vcc_lo, 0x42b17218, v6
	v_cvt_i32_f32_e32 v6, v23
	v_cndmask_b32_e32 v1, 0x7f800000, v1, vcc_lo
	v_cmp_ngt_f32_e32 vcc_lo, 0xc2ce8ed0, v21
	s_delay_alu instid0(VALU_DEP_2) | instskip(SKIP_2) | instid1(VALU_DEP_1)
	v_add_f32_e32 v0, v0, v1
	s_waitcnt_depctr 0xfff
	v_ldexp_f32 v1, v2, v6
	v_cndmask_b32_e32 v1, 0, v1, vcc_lo
	v_cmp_nlt_f32_e32 vcc_lo, 0x42b17218, v21
	v_mul_f32_e32 v21, 0x3fb8aa3b, v15
	s_delay_alu instid0(VALU_DEP_3) | instskip(SKIP_2) | instid1(VALU_DEP_3)
	v_cndmask_b32_e32 v1, 0x7f800000, v1, vcc_lo
	v_mul_f32_e32 v22, 0x3fb8aa3b, v20
	v_cmp_ngt_f32_e32 vcc_lo, 0xc2ce8ed0, v20
	v_add_f32_e32 v0, v0, v1
	s_delay_alu instid0(VALU_DEP_3) | instskip(SKIP_1) | instid1(VALU_DEP_2)
	v_fma_f32 v3, 0x3fb8aa3b, v20, -v22
	v_rndne_f32_e32 v4, v22
	v_fmac_f32_e32 v3, 0x32a5705f, v20
	s_delay_alu instid0(VALU_DEP_2) | instskip(SKIP_1) | instid1(VALU_DEP_2)
	v_sub_f32_e32 v5, v22, v4
	v_cvt_i32_f32_e32 v4, v4
	v_add_f32_e32 v3, v5, v3
	v_mul_f32_e32 v5, 0x3fb8aa3b, v19
	s_delay_alu instid0(VALU_DEP_2) | instskip(NEXT) | instid1(VALU_DEP_1)
	v_exp_f32_e32 v2, v3
	v_fma_f32 v3, 0x3fb8aa3b, v19, -v5
	v_rndne_f32_e32 v6, v5
	s_delay_alu instid0(VALU_DEP_2) | instskip(NEXT) | instid1(VALU_DEP_2)
	v_fmac_f32_e32 v3, 0x32a5705f, v19
	v_sub_f32_e32 v5, v5, v6
	v_cvt_i32_f32_e32 v6, v6
	s_waitcnt_depctr 0xfff
	v_ldexp_f32 v2, v2, v4
	v_add_f32_e32 v3, v5, v3
	v_sub_f32_e32 v5, v17, v14
	v_sub_f32_e32 v16, v16, v14
	s_delay_alu instid0(VALU_DEP_4)
	v_cndmask_b32_e32 v1, 0, v2, vcc_lo
	v_cmp_nlt_f32_e32 vcc_lo, 0x42b17218, v20
	v_sub_f32_e32 v4, v18, v14
	v_exp_f32_e32 v2, v3
	v_mul_f32_e32 v20, 0x3fb8aa3b, v5
	v_cndmask_b32_e32 v1, 0x7f800000, v1, vcc_lo
	s_delay_alu instid0(VALU_DEP_3) | instskip(SKIP_1) | instid1(VALU_DEP_3)
	v_mul_f32_e32 v3, 0x3fb8aa3b, v4
	v_cmp_ngt_f32_e32 vcc_lo, 0xc2ce8ed0, v19
	v_add_f32_e32 v0, v0, v1
	s_delay_alu instid0(VALU_DEP_3) | instskip(SKIP_1) | instid1(TRANS32_DEP_1)
	v_fma_f32 v17, 0x3fb8aa3b, v4, -v3
	v_rndne_f32_e32 v18, v3
	v_ldexp_f32 v1, v2, v6
	v_rndne_f32_e32 v6, v20
	s_delay_alu instid0(VALU_DEP_3) | instskip(NEXT) | instid1(VALU_DEP_3)
	v_dual_fmac_f32 v17, 0x32a5705f, v4 :: v_dual_sub_f32 v2, v3, v18
	v_cndmask_b32_e32 v1, 0, v1, vcc_lo
	v_fma_f32 v3, 0x3fb8aa3b, v5, -v20
	v_cmp_nlt_f32_e32 vcc_lo, 0x42b17218, v19
	v_cvt_i32_f32_e32 v18, v18
	v_dual_add_f32 v2, v2, v17 :: v_dual_sub_f32 v17, v20, v6
	s_delay_alu instid0(VALU_DEP_4) | instskip(SKIP_1) | instid1(VALU_DEP_3)
	v_fmac_f32_e32 v3, 0x32a5705f, v5
	v_mul_f32_e32 v20, 0x3fb8aa3b, v16
	v_exp_f32_e32 v2, v2
	s_delay_alu instid0(VALU_DEP_2) | instskip(NEXT) | instid1(VALU_DEP_2)
	v_add_f32_e32 v3, v17, v3
	v_fma_f32 v17, 0x3fb8aa3b, v16, -v20
	v_rndne_f32_e32 v19, v20
	v_cndmask_b32_e32 v1, 0x7f800000, v1, vcc_lo
	v_cmp_ngt_f32_e32 vcc_lo, 0xc2ce8ed0, v4
	v_exp_f32_e32 v3, v3
	s_delay_alu instid0(VALU_DEP_3) | instskip(NEXT) | instid1(VALU_DEP_3)
	v_dual_fmac_f32 v17, 0x32a5705f, v16 :: v_dual_sub_f32 v20, v20, v19
	v_add_f32_e32 v0, v0, v1
	s_delay_alu instid0(TRANS32_DEP_2)
	v_ldexp_f32 v1, v2, v18
	v_cvt_i32_f32_e32 v2, v6
	v_rndne_f32_e32 v18, v21
	v_add_f32_e32 v6, v20, v17
	v_fma_f32 v17, 0x3fb8aa3b, v15, -v21
	v_cndmask_b32_e32 v1, 0, v1, vcc_lo
	s_delay_alu instid0(TRANS32_DEP_1)
	v_ldexp_f32 v2, v3, v2
	v_cmp_nlt_f32_e32 vcc_lo, 0x42b17218, v4
	v_exp_f32_e32 v3, v6
	v_sub_f32_e32 v6, v21, v18
	v_cvt_i32_f32_e32 v4, v19
	v_fmac_f32_e32 v17, 0x32a5705f, v15
	v_cndmask_b32_e32 v1, 0x7f800000, v1, vcc_lo
	v_cmp_ngt_f32_e32 vcc_lo, 0xc2ce8ed0, v5
	s_delay_alu instid0(VALU_DEP_2) | instskip(NEXT) | instid1(TRANS32_DEP_1)
	v_add_f32_e32 v0, v0, v1
	v_ldexp_f32 v1, v3, v4
	v_cndmask_b32_e32 v2, 0, v2, vcc_lo
	v_cmp_nlt_f32_e32 vcc_lo, 0x42b17218, v5
	v_dual_sub_f32 v4, v13, v14 :: v_dual_mul_f32 v13, 0x3fb8aa3b, v11
	s_delay_alu instid0(VALU_DEP_3) | instskip(SKIP_1) | instid1(VALU_DEP_3)
	v_cndmask_b32_e32 v2, 0x7f800000, v2, vcc_lo
	v_cmp_ngt_f32_e32 vcc_lo, 0xc2ce8ed0, v16
	v_mul_f32_e32 v5, 0x3fb8aa3b, v4
	v_cndmask_b32_e32 v1, 0, v1, vcc_lo
	v_cmp_nlt_f32_e32 vcc_lo, 0x42b17218, v16
	v_add_f32_e32 v0, v0, v2
	v_cvt_i32_f32_e32 v2, v18
	s_delay_alu instid0(VALU_DEP_4) | instskip(SKIP_1) | instid1(VALU_DEP_2)
	v_cndmask_b32_e32 v1, 0x7f800000, v1, vcc_lo
	v_cmp_ngt_f32_e32 vcc_lo, 0xc2ce8ed0, v15
	v_add_f32_e32 v0, v0, v1
	v_fma_f32 v1, 0x3fb8aa3b, v4, -v5
	s_delay_alu instid0(VALU_DEP_1) | instskip(NEXT) | instid1(VALU_DEP_1)
	v_dual_add_f32 v6, v6, v17 :: v_dual_fmac_f32 v1, 0x32a5705f, v4
	v_exp_f32_e32 v3, v6
	v_sub_f32_e32 v6, v12, v14
	v_fma_f32 v14, 0x3fb8aa3b, v11, -v13
	s_delay_alu instid0(VALU_DEP_1) | instskip(SKIP_3) | instid1(VALU_DEP_1)
	v_fmac_f32_e32 v14, 0x32a5705f, v11
	s_waitcnt_depctr 0xfff
	v_ldexp_f32 v2, v3, v2
	v_rndne_f32_e32 v3, v5
	v_dual_cndmask_b32 v2, 0, v2 :: v_dual_sub_f32 v5, v5, v3
	v_cmp_nlt_f32_e32 vcc_lo, 0x42b17218, v15
	v_cvt_i32_f32_e32 v3, v3
	v_rndne_f32_e32 v15, v13
	s_delay_alu instid0(VALU_DEP_4) | instskip(SKIP_1) | instid1(VALU_DEP_2)
	v_dual_add_f32 v1, v5, v1 :: v_dual_cndmask_b32 v2, 0x7f800000, v2
	v_cmp_ngt_f32_e32 vcc_lo, 0xc2ce8ed0, v4
	v_exp_f32_e32 v1, v1
	s_waitcnt_depctr 0xfff
	v_ldexp_f32 v1, v1, v3
	s_delay_alu instid0(VALU_DEP_1) | instskip(NEXT) | instid1(VALU_DEP_1)
	v_dual_mul_f32 v12, 0x3fb8aa3b, v6 :: v_dual_cndmask_b32 v1, 0, v1
	v_rndne_f32_e32 v5, v12
	v_cmp_nlt_f32_e32 vcc_lo, 0x42b17218, v4
	v_add_f32_e32 v0, v0, v2
	v_fma_f32 v2, 0x3fb8aa3b, v6, -v12
	v_cvt_i32_f32_e32 v4, v15
	v_sub_f32_e32 v12, v12, v5
	v_cndmask_b32_e32 v1, 0x7f800000, v1, vcc_lo
	v_cvt_i32_f32_e32 v5, v5
	v_fmac_f32_e32 v2, 0x32a5705f, v6
	s_delay_alu instid0(VALU_DEP_3) | instskip(NEXT) | instid1(VALU_DEP_2)
	v_add_f32_e32 v0, v0, v1
	v_add_f32_e32 v2, v12, v2
	v_sub_f32_e32 v12, v13, v15
	v_mul_f32_e32 v16, 0x3fb8aa3b, v7
	s_delay_alu instid0(VALU_DEP_3) | instskip(NEXT) | instid1(VALU_DEP_2)
	v_exp_f32_e32 v2, v2
	v_add_f32_e32 v3, v12, v14
	s_delay_alu instid0(VALU_DEP_2) | instskip(SKIP_1) | instid1(VALU_DEP_3)
	v_fma_f32 v13, 0x3fb8aa3b, v7, -v16
	v_rndne_f32_e32 v17, v16
	v_exp_f32_e32 v3, v3
	s_delay_alu instid0(VALU_DEP_1) | instskip(SKIP_1) | instid1(TRANS32_DEP_2)
	v_dual_fmac_f32 v13, 0x32a5705f, v7 :: v_dual_sub_f32 v12, v16, v17
	v_cmp_ngt_f32_e32 vcc_lo, 0xc2ce8ed0, v6
	v_ldexp_f32 v2, v2, v5
	s_delay_alu instid0(VALU_DEP_3) | instskip(NEXT) | instid1(VALU_DEP_2)
	v_add_f32_e32 v12, v12, v13
	v_cndmask_b32_e32 v2, 0, v2, vcc_lo
	v_cmp_nlt_f32_e32 vcc_lo, 0x42b17218, v6
	s_delay_alu instid0(TRANS32_DEP_1) | instskip(NEXT) | instid1(VALU_DEP_4)
	v_ldexp_f32 v1, v3, v4
	v_exp_f32_e32 v5, v12
	v_cvt_i32_f32_e32 v3, v17
	v_cndmask_b32_e32 v2, 0x7f800000, v2, vcc_lo
	v_cmp_ngt_f32_e32 vcc_lo, 0xc2ce8ed0, v11
	s_delay_alu instid0(VALU_DEP_2)
	v_dual_add_f32 v0, v0, v2 :: v_dual_cndmask_b32 v1, 0, v1
	v_cmp_nlt_f32_e32 vcc_lo, 0x42b17218, v11
	s_waitcnt_depctr 0xfff
	v_ldexp_f32 v3, v5, v3
	v_cndmask_b32_e32 v1, 0x7f800000, v1, vcc_lo
	v_cmp_ngt_f32_e32 vcc_lo, 0xc2ce8ed0, v7
	s_delay_alu instid0(VALU_DEP_2) | instskip(NEXT) | instid1(VALU_DEP_4)
	v_add_f32_e32 v0, v0, v1
	v_cndmask_b32_e32 v2, 0, v3, vcc_lo
	v_cmp_nlt_f32_e32 vcc_lo, 0x42b17218, v7
	s_delay_alu instid0(VALU_DEP_2) | instskip(SKIP_1) | instid1(VALU_DEP_2)
	v_cndmask_b32_e32 v1, 0x7f800000, v2, vcc_lo
	v_cmp_eq_u32_e32 vcc_lo, 0, v9
	v_add_f32_e32 v0, v0, v1
	s_delay_alu instid0(VALU_DEP_1) | instskip(NEXT) | instid1(VALU_DEP_1)
	v_mov_b32_dpp v1, v0 quad_perm:[1,0,3,2] row_mask:0xf bank_mask:0xf
	v_add_f32_e32 v0, v0, v1
	s_delay_alu instid0(VALU_DEP_1) | instskip(NEXT) | instid1(VALU_DEP_1)
	v_mov_b32_dpp v1, v0 quad_perm:[2,3,0,1] row_mask:0xf bank_mask:0xf
	v_add_f32_e32 v0, v0, v1
	s_delay_alu instid0(VALU_DEP_1)
	v_mov_b32_dpp v1, v0 row_half_mirror row_mask:0xf bank_mask:0xf
	s_and_b32 exec_lo, exec_lo, vcc_lo
	s_cbranch_execz .LBB283_23
; %bb.19:
	s_delay_alu instid0(VALU_DEP_1) | instskip(NEXT) | instid1(VALU_DEP_1)
	v_add_f32_e32 v0, v0, v1
	v_add_f32_e32 v0, v10, v0
	s_delay_alu instid0(VALU_DEP_1)
	v_cmp_neq_f32_e32 vcc_lo, 0, v0
	s_and_b32 exec_lo, exec_lo, vcc_lo
	s_cbranch_execz .LBB283_23
; %bb.20:
	s_and_not1_b32 vcc_lo, exec_lo, s3
	s_cbranch_vccnz .LBB283_23
; %bb.21:
	v_div_scale_f32 v2, null, v0, v0, 1.0
	v_div_scale_f32 v4, vcc_lo, 1.0, v0, 1.0
	s_delay_alu instid0(VALU_DEP_2) | instskip(SKIP_2) | instid1(VALU_DEP_1)
	v_rcp_f32_e32 v3, v2
	s_waitcnt_depctr 0xfff
	v_fma_f32 v1, -v2, v3, 1.0
	v_fmac_f32_e32 v3, v1, v3
	v_mul_lo_u32 v1, v8, s7
	s_delay_alu instid0(VALU_DEP_2) | instskip(NEXT) | instid1(VALU_DEP_1)
	v_mul_f32_e32 v5, v4, v3
	v_fma_f32 v6, -v2, v5, v4
	s_delay_alu instid0(VALU_DEP_1) | instskip(NEXT) | instid1(VALU_DEP_1)
	v_fmac_f32_e32 v5, v6, v3
	v_fma_f32 v4, -v2, v5, v4
	v_ashrrev_i32_e32 v2, 31, v1
	s_delay_alu instid0(VALU_DEP_2) | instskip(NEXT) | instid1(VALU_DEP_2)
	v_div_fmas_f32 v5, v4, v3, v5
	v_lshlrev_b64 v[3:4], 2, v[1:2]
	s_delay_alu instid0(VALU_DEP_2) | instskip(NEXT) | instid1(VALU_DEP_2)
	v_div_fixup_f32 v2, v5, v0, 1.0
	v_add_co_u32 v0, vcc_lo, s12, v3
	s_delay_alu instid0(VALU_DEP_3)
	v_add_co_ci_u32_e32 v1, vcc_lo, s13, v4, vcc_lo
.LBB283_22:                             ; =>This Inner Loop Header: Depth=1
	global_load_b32 v3, v[0:1], off
	s_add_i32 s4, s4, -1
	s_delay_alu instid0(SALU_CYCLE_1)
	s_cmp_lg_u32 s4, 0
	s_waitcnt vmcnt(0)
	v_mul_f32_e32 v3, v2, v3
	global_store_b32 v[0:1], v3, off
	v_add_co_u32 v0, vcc_lo, v0, 4
	v_add_co_ci_u32_e32 v1, vcc_lo, 0, v1, vcc_lo
	s_cbranch_scc1 .LBB283_22
.LBB283_23:
	s_nop 0
	s_sendmsg sendmsg(MSG_DEALLOC_VGPRS)
	s_endpgm
	.section	.rodata,"a",@progbits
	.p2align	6, 0x0
	.amdhsa_kernel _ZN4vllm3moe17topkGatingSoftmaxItLi16ELi128ELi8ELi32ELb0ELi2ELNS0_23SharedExpertScoringFuncE1EEEvPKT_PKbPfiPiS9_iiiiii
		.amdhsa_group_segment_fixed_size 0
		.amdhsa_private_segment_fixed_size 0
		.amdhsa_kernarg_size 72
		.amdhsa_user_sgpr_count 15
		.amdhsa_user_sgpr_dispatch_ptr 0
		.amdhsa_user_sgpr_queue_ptr 0
		.amdhsa_user_sgpr_kernarg_segment_ptr 1
		.amdhsa_user_sgpr_dispatch_id 0
		.amdhsa_user_sgpr_private_segment_size 0
		.amdhsa_wavefront_size32 1
		.amdhsa_uses_dynamic_stack 0
		.amdhsa_enable_private_segment 0
		.amdhsa_system_sgpr_workgroup_id_x 1
		.amdhsa_system_sgpr_workgroup_id_y 0
		.amdhsa_system_sgpr_workgroup_id_z 0
		.amdhsa_system_sgpr_workgroup_info 0
		.amdhsa_system_vgpr_workitem_id 1
		.amdhsa_next_free_vgpr 53
		.amdhsa_next_free_sgpr 19
		.amdhsa_reserve_vcc 1
		.amdhsa_float_round_mode_32 0
		.amdhsa_float_round_mode_16_64 0
		.amdhsa_float_denorm_mode_32 3
		.amdhsa_float_denorm_mode_16_64 3
		.amdhsa_dx10_clamp 1
		.amdhsa_ieee_mode 1
		.amdhsa_fp16_overflow 0
		.amdhsa_workgroup_processor_mode 1
		.amdhsa_memory_ordered 1
		.amdhsa_forward_progress 0
		.amdhsa_shared_vgpr_count 0
		.amdhsa_exception_fp_ieee_invalid_op 0
		.amdhsa_exception_fp_denorm_src 0
		.amdhsa_exception_fp_ieee_div_zero 0
		.amdhsa_exception_fp_ieee_overflow 0
		.amdhsa_exception_fp_ieee_underflow 0
		.amdhsa_exception_fp_ieee_inexact 0
		.amdhsa_exception_int_div_zero 0
	.end_amdhsa_kernel
	.section	.text._ZN4vllm3moe17topkGatingSoftmaxItLi16ELi128ELi8ELi32ELb0ELi2ELNS0_23SharedExpertScoringFuncE1EEEvPKT_PKbPfiPiS9_iiiiii,"axG",@progbits,_ZN4vllm3moe17topkGatingSoftmaxItLi16ELi128ELi8ELi32ELb0ELi2ELNS0_23SharedExpertScoringFuncE1EEEvPKT_PKbPfiPiS9_iiiiii,comdat
.Lfunc_end283:
	.size	_ZN4vllm3moe17topkGatingSoftmaxItLi16ELi128ELi8ELi32ELb0ELi2ELNS0_23SharedExpertScoringFuncE1EEEvPKT_PKbPfiPiS9_iiiiii, .Lfunc_end283-_ZN4vllm3moe17topkGatingSoftmaxItLi16ELi128ELi8ELi32ELb0ELi2ELNS0_23SharedExpertScoringFuncE1EEEvPKT_PKbPfiPiS9_iiiiii
                                        ; -- End function
	.section	.AMDGPU.csdata,"",@progbits
; Kernel info:
; codeLenInByte = 5588
; NumSgprs: 21
; NumVgprs: 53
; ScratchSize: 0
; MemoryBound: 0
; FloatMode: 240
; IeeeMode: 1
; LDSByteSize: 0 bytes/workgroup (compile time only)
; SGPRBlocks: 2
; VGPRBlocks: 6
; NumSGPRsForWavesPerEU: 21
; NumVGPRsForWavesPerEU: 53
; Occupancy: 16
; WaveLimiterHint : 0
; COMPUTE_PGM_RSRC2:SCRATCH_EN: 0
; COMPUTE_PGM_RSRC2:USER_SGPR: 15
; COMPUTE_PGM_RSRC2:TRAP_HANDLER: 0
; COMPUTE_PGM_RSRC2:TGID_X_EN: 1
; COMPUTE_PGM_RSRC2:TGID_Y_EN: 0
; COMPUTE_PGM_RSRC2:TGID_Z_EN: 0
; COMPUTE_PGM_RSRC2:TIDIG_COMP_CNT: 1
	.section	.text._ZN4vllm3moe17topkGatingSoftmaxItLi16ELi128ELi8ELi32ELb1ELi4ELNS0_23SharedExpertScoringFuncE1EEEvPKT_PKbPfiPiS9_iiiiii,"axG",@progbits,_ZN4vllm3moe17topkGatingSoftmaxItLi16ELi128ELi8ELi32ELb1ELi4ELNS0_23SharedExpertScoringFuncE1EEEvPKT_PKbPfiPiS9_iiiiii,comdat
	.protected	_ZN4vllm3moe17topkGatingSoftmaxItLi16ELi128ELi8ELi32ELb1ELi4ELNS0_23SharedExpertScoringFuncE1EEEvPKT_PKbPfiPiS9_iiiiii ; -- Begin function _ZN4vllm3moe17topkGatingSoftmaxItLi16ELi128ELi8ELi32ELb1ELi4ELNS0_23SharedExpertScoringFuncE1EEEvPKT_PKbPfiPiS9_iiiiii
	.globl	_ZN4vllm3moe17topkGatingSoftmaxItLi16ELi128ELi8ELi32ELb1ELi4ELNS0_23SharedExpertScoringFuncE1EEEvPKT_PKbPfiPiS9_iiiiii
	.p2align	8
	.type	_ZN4vllm3moe17topkGatingSoftmaxItLi16ELi128ELi8ELi32ELb1ELi4ELNS0_23SharedExpertScoringFuncE1EEEvPKT_PKbPfiPiS9_iiiiii,@function
_ZN4vllm3moe17topkGatingSoftmaxItLi16ELi128ELi8ELi32ELb1ELi4ELNS0_23SharedExpertScoringFuncE1EEEvPKT_PKbPfiPiS9_iiiiii: ; @_ZN4vllm3moe17topkGatingSoftmaxItLi16ELi128ELi8ELi32ELb1ELi4ELNS0_23SharedExpertScoringFuncE1EEEvPKT_PKbPfiPiS9_iiiiii
; %bb.0:
	s_load_b32 s16, s[0:1], 0x18
	v_bfe_u32 v1, v0, 10, 10
	v_and_b32_e32 v0, 0x3ff, v0
	s_lshl_b32 s18, s15, 5
	s_mov_b32 s2, exec_lo
	s_delay_alu instid0(VALU_DEP_2) | instskip(NEXT) | instid1(VALU_DEP_2)
	v_lshlrev_b32_e32 v42, 2, v1
	v_lshrrev_b32_e32 v43, 3, v0
	s_delay_alu instid0(VALU_DEP_1) | instskip(SKIP_1) | instid1(VALU_DEP_1)
	v_add3_u32 v8, s18, v42, v43
	s_waitcnt lgkmcnt(0)
	v_cmpx_gt_i32_e64 s16, v8
	s_cbranch_execz .LBB284_22
; %bb.1:
	s_clause 0x1
	s_load_b128 s[4:7], s[0:1], 0x0
	s_load_b64 s[12:13], s[0:1], 0x10
	s_waitcnt lgkmcnt(0)
	s_cmp_eq_u64 s[6:7], 0
	s_cbranch_scc1 .LBB284_3
; %bb.2:
	v_ashrrev_i32_e32 v2, 31, v8
	v_add_co_u32 v1, vcc_lo, s6, v8
	s_delay_alu instid0(VALU_DEP_2) | instskip(SKIP_3) | instid1(VALU_DEP_1)
	v_add_co_ci_u32_e32 v2, vcc_lo, s7, v2, vcc_lo
	global_load_u8 v1, v[1:2], off
	s_waitcnt vmcnt(0)
	v_and_b32_e32 v1, 1, v1
	v_cmp_eq_u32_e32 vcc_lo, 1, v1
	s_xor_b32 s2, vcc_lo, -1
	s_delay_alu instid0(SALU_CYCLE_1)
	s_or_not1_b32 s17, s2, exec_lo
	s_branch .LBB284_4
.LBB284_3:
	s_mov_b32 s17, -1
.LBB284_4:
	s_load_b64 s[14:15], s[0:1], 0x40
	v_and_b32_e32 v9, 7, v0
	s_mov_b32 s2, exec_lo
	s_delay_alu instid0(VALU_DEP_1) | instskip(SKIP_2) | instid1(VALU_DEP_1)
	v_dual_mov_b32 v11, 0 :: v_dual_lshlrev_b32 v10, 4, v9
	s_waitcnt lgkmcnt(0)
	v_mul_lo_u32 v1, v8, s15
	v_ashrrev_i32_e32 v2, 31, v1
	s_delay_alu instid0(VALU_DEP_1) | instskip(SKIP_1) | instid1(VALU_DEP_2)
	v_lshlrev_b64 v[0:1], 1, v[1:2]
	v_lshlrev_b32_e32 v2, 5, v9
	v_add_co_u32 v12, vcc_lo, s4, v0
	s_delay_alu instid0(VALU_DEP_3) | instskip(SKIP_1) | instid1(VALU_DEP_2)
	v_add_co_ci_u32_e32 v13, vcc_lo, s5, v1, vcc_lo
	s_load_b128 s[4:7], s[0:1], 0x30
	v_add_co_u32 v4, vcc_lo, v12, v2
	s_delay_alu instid0(VALU_DEP_2)
	v_add_co_ci_u32_e32 v5, vcc_lo, 0, v13, vcc_lo
	s_clause 0x1
	global_load_b128 v[0:3], v[4:5], off offset:16
	global_load_b128 v[4:7], v[4:5], off
	v_cmpx_gt_u32_e32 4, v9
	s_cbranch_execz .LBB284_6
; %bb.5:
	v_lshlrev_b32_e32 v14, 1, v9
	s_delay_alu instid0(VALU_DEP_1) | instskip(SKIP_4) | instid1(VALU_DEP_1)
	v_add_co_u32 v12, vcc_lo, v12, v14
	v_add_co_ci_u32_e32 v13, vcc_lo, 0, v13, vcc_lo
	global_load_u16 v12, v[12:13], off offset:256
	s_waitcnt vmcnt(0)
	v_cvt_f32_u32_e32 v12, v12
	v_mul_f32_e32 v13, 0xbfb8aa3b, v12
	v_cmp_nlt_f32_e32 vcc_lo, 0x42ce8ed0, v12
	s_delay_alu instid0(VALU_DEP_2) | instskip(SKIP_1) | instid1(VALU_DEP_1)
	v_fma_f32 v14, 0xbfb8aa3b, v12, -v13
	v_rndne_f32_e32 v15, v13
	v_dual_fmamk_f32 v14, v12, 0xb2a5705f, v14 :: v_dual_sub_f32 v13, v13, v15
	s_delay_alu instid0(VALU_DEP_1) | instskip(SKIP_1) | instid1(VALU_DEP_2)
	v_add_f32_e32 v13, v13, v14
	v_cvt_i32_f32_e32 v14, v15
	v_exp_f32_e32 v13, v13
	s_waitcnt_depctr 0xfff
	v_ldexp_f32 v13, v13, v14
	s_delay_alu instid0(VALU_DEP_1) | instskip(SKIP_1) | instid1(VALU_DEP_2)
	v_cndmask_b32_e32 v13, 0, v13, vcc_lo
	v_cmp_ngt_f32_e32 vcc_lo, 0xc2b17218, v12
	v_cndmask_b32_e32 v12, 0x7f800000, v13, vcc_lo
	s_delay_alu instid0(VALU_DEP_1) | instskip(NEXT) | instid1(VALU_DEP_1)
	v_add_f32_e32 v14, 1.0, v12
	v_div_scale_f32 v13, null, v14, v14, 1.0
	v_div_scale_f32 v16, vcc_lo, 1.0, v14, 1.0
	s_delay_alu instid0(VALU_DEP_2) | instskip(SKIP_2) | instid1(VALU_DEP_1)
	v_rcp_f32_e32 v15, v13
	s_waitcnt_depctr 0xfff
	v_fma_f32 v12, -v13, v15, 1.0
	v_fmac_f32_e32 v15, v12, v15
	s_waitcnt lgkmcnt(0)
	v_mul_lo_u32 v12, v8, s7
	s_delay_alu instid0(VALU_DEP_2) | instskip(NEXT) | instid1(VALU_DEP_2)
	v_mul_f32_e32 v17, v16, v15
	v_add3_u32 v12, v12, s4, v9
	s_delay_alu instid0(VALU_DEP_2) | instskip(NEXT) | instid1(VALU_DEP_1)
	v_fma_f32 v18, -v13, v17, v16
	v_fmac_f32_e32 v17, v18, v15
	s_delay_alu instid0(VALU_DEP_1) | instskip(NEXT) | instid1(VALU_DEP_4)
	v_fma_f32 v16, -v13, v17, v16
	v_ashrrev_i32_e32 v13, 31, v12
	s_delay_alu instid0(VALU_DEP_2) | instskip(NEXT) | instid1(VALU_DEP_2)
	v_div_fmas_f32 v15, v16, v15, v17
	v_lshlrev_b64 v[12:13], 2, v[12:13]
	s_delay_alu instid0(VALU_DEP_2) | instskip(NEXT) | instid1(VALU_DEP_2)
	v_div_fixup_f32 v14, v15, v14, 1.0
	v_add_co_u32 v12, vcc_lo, s12, v12
	s_delay_alu instid0(VALU_DEP_3)
	v_add_co_ci_u32_e32 v13, vcc_lo, s13, v13, vcc_lo
	global_store_b32 v[12:13], v14, off
.LBB284_6:
	s_or_b32 exec_lo, exec_lo, s2
	s_waitcnt vmcnt(0)
	v_and_b32_e32 v12, 0xffff, v4
	v_lshrrev_b32_e32 v4, 16, v4
	v_or_b32_e32 v14, 1, v10
	v_or_b32_e32 v16, 2, v10
	;; [unrolled: 1-line block ×3, first 2 shown]
	v_cvt_f32_u32_e32 v12, v12
	v_cvt_f32_u32_e32 v13, v4
	v_or_b32_e32 v22, 5, v10
	v_or_b32_e32 v25, 7, v10
	;; [unrolled: 1-line block ×4, first 2 shown]
	v_cmp_lt_f32_e32 vcc_lo, v12, v13
	v_or_b32_e32 v31, 10, v10
	v_or_b32_e32 v33, 11, v10
	;; [unrolled: 1-line block ×3, first 2 shown]
	v_dual_cndmask_b32 v18, v12, v13 :: v_dual_and_b32 v19, 0xffff, v6
	v_lshrrev_b32_e32 v6, 16, v6
	v_or_b32_e32 v37, 13, v10
	v_or_b32_e32 v39, 14, v10
	s_delay_alu instid0(VALU_DEP_4)
	v_cvt_f32_u32_e32 v19, v19
	v_and_b32_e32 v4, 0xffff, v5
	v_lshrrev_b32_e32 v5, 16, v5
	v_cvt_f32_u32_e32 v21, v6
	v_and_b32_e32 v6, 0xffff, v7
	v_or_b32_e32 v41, 15, v10
	v_cvt_f32_u32_e32 v15, v4
	v_cvt_f32_u32_e32 v17, v5
	v_cndmask_b32_e32 v4, v10, v14, vcc_lo
	v_cvt_f32_u32_e32 v23, v6
	v_lshrrev_b32_e32 v6, 16, v7
	v_cmp_lt_f32_e32 vcc_lo, v18, v15
	v_or_b32_e32 v7, 6, v10
	s_delay_alu instid0(VALU_DEP_3) | instskip(SKIP_4) | instid1(VALU_DEP_4)
	v_cvt_f32_u32_e32 v24, v6
	v_dual_cndmask_b32 v5, v18, v15 :: v_dual_cndmask_b32 v4, v4, v16
	v_or_b32_e32 v18, 3, v10
	v_and_b32_e32 v6, 0xffff, v0
	v_lshrrev_b32_e32 v0, 16, v0
	v_cmp_lt_f32_e32 vcc_lo, v5, v17
	s_delay_alu instid0(VALU_DEP_3) | instskip(NEXT) | instid1(VALU_DEP_3)
	v_cvt_f32_u32_e32 v26, v6
	v_cvt_f32_u32_e32 v28, v0
	v_dual_cndmask_b32 v5, v5, v17 :: v_dual_cndmask_b32 v4, v4, v18
	s_delay_alu instid0(VALU_DEP_1) | instskip(NEXT) | instid1(VALU_DEP_2)
	v_cmp_lt_f32_e32 vcc_lo, v5, v19
	v_dual_cndmask_b32 v5, v5, v19 :: v_dual_cndmask_b32 v4, v4, v20
	s_delay_alu instid0(VALU_DEP_1) | instskip(NEXT) | instid1(VALU_DEP_2)
	v_cmp_lt_f32_e32 vcc_lo, v5, v21
	v_dual_cndmask_b32 v5, v5, v21 :: v_dual_cndmask_b32 v4, v4, v22
	s_delay_alu instid0(VALU_DEP_1) | instskip(SKIP_1) | instid1(VALU_DEP_3)
	v_cmp_lt_f32_e32 vcc_lo, v5, v23
	v_cndmask_b32_e32 v5, v5, v23, vcc_lo
	v_cndmask_b32_e32 v4, v4, v7, vcc_lo
	s_delay_alu instid0(VALU_DEP_2) | instskip(NEXT) | instid1(VALU_DEP_2)
	v_cmp_lt_f32_e32 vcc_lo, v5, v24
	v_dual_cndmask_b32 v5, v5, v24 :: v_dual_cndmask_b32 v4, v4, v25
	s_delay_alu instid0(VALU_DEP_1) | instskip(NEXT) | instid1(VALU_DEP_2)
	v_cmp_lt_f32_e32 vcc_lo, v5, v26
	v_cndmask_b32_e32 v0, v4, v27, vcc_lo
	v_dual_cndmask_b32 v4, v5, v26 :: v_dual_and_b32 v5, 0xffff, v1
	v_lshrrev_b32_e32 v1, 16, v1
	s_delay_alu instid0(VALU_DEP_2) | instskip(NEXT) | instid1(VALU_DEP_3)
	v_cmp_lt_f32_e32 vcc_lo, v4, v28
	v_cvt_f32_u32_e32 v30, v5
	s_delay_alu instid0(VALU_DEP_3) | instskip(SKIP_2) | instid1(VALU_DEP_2)
	v_cvt_f32_u32_e32 v32, v1
	v_cndmask_b32_e32 v4, v4, v28, vcc_lo
	v_cndmask_b32_e32 v0, v0, v29, vcc_lo
	v_cmp_lt_f32_e32 vcc_lo, v4, v30
	v_cndmask_b32_e32 v1, v4, v30, vcc_lo
	s_delay_alu instid0(VALU_DEP_3) | instskip(SKIP_2) | instid1(VALU_DEP_4)
	v_cndmask_b32_e32 v0, v0, v31, vcc_lo
	v_and_b32_e32 v4, 0xffff, v2
	v_lshrrev_b32_e32 v2, 16, v2
	v_cmp_lt_f32_e32 vcc_lo, v1, v32
	s_delay_alu instid0(VALU_DEP_3) | instskip(NEXT) | instid1(VALU_DEP_3)
	v_cvt_f32_u32_e32 v34, v4
	v_cvt_f32_u32_e32 v36, v2
	v_dual_cndmask_b32 v1, v1, v32 :: v_dual_and_b32 v2, 0xffff, v3
	v_cndmask_b32_e32 v0, v0, v33, vcc_lo
	s_delay_alu instid0(VALU_DEP_2) | instskip(NEXT) | instid1(VALU_DEP_3)
	v_cvt_f32_u32_e32 v38, v2
	v_cmp_lt_f32_e32 vcc_lo, v1, v34
	v_lshrrev_b32_e32 v2, 16, v3
	s_delay_alu instid0(VALU_DEP_4) | instskip(NEXT) | instid1(VALU_DEP_2)
	v_dual_cndmask_b32 v1, v1, v34 :: v_dual_cndmask_b32 v0, v0, v35
	v_cvt_f32_u32_e32 v40, v2
	s_delay_alu instid0(VALU_DEP_2) | instskip(NEXT) | instid1(VALU_DEP_3)
	v_cmp_lt_f32_e32 vcc_lo, v1, v36
	v_dual_cndmask_b32 v1, v1, v36 :: v_dual_cndmask_b32 v0, v0, v37
	s_delay_alu instid0(VALU_DEP_1) | instskip(NEXT) | instid1(VALU_DEP_2)
	v_cmp_lt_f32_e32 vcc_lo, v1, v38
	v_dual_cndmask_b32 v1, v1, v38 :: v_dual_cndmask_b32 v0, v0, v39
	s_delay_alu instid0(VALU_DEP_1) | instskip(NEXT) | instid1(VALU_DEP_2)
	;; [unrolled: 3-line block ×3, first 2 shown]
	v_mov_b32_dpp v3, v1 quad_perm:[1,0,3,2] row_mask:0xf bank_mask:0xf
	v_mov_b32_dpp v2, v0 quad_perm:[1,0,3,2] row_mask:0xf bank_mask:0xf
	s_delay_alu instid0(VALU_DEP_2) | instskip(NEXT) | instid1(VALU_DEP_2)
	v_cmp_eq_f32_e64 s2, v1, v3
	v_cmp_lt_i32_e32 vcc_lo, v2, v0
	v_cmp_lt_f32_e64 s3, v1, v3
	s_delay_alu instid0(VALU_DEP_3)
	s_and_b32 s2, s2, vcc_lo
	s_delay_alu instid0(VALU_DEP_1) | instid1(SALU_CYCLE_1)
	s_or_b32 vcc_lo, s3, s2
	v_dual_cndmask_b32 v1, v1, v3 :: v_dual_cndmask_b32 v0, v0, v2
	s_delay_alu instid0(VALU_DEP_1) | instskip(NEXT) | instid1(VALU_DEP_2)
	v_mov_b32_dpp v2, v1 quad_perm:[2,3,0,1] row_mask:0xf bank_mask:0xf
	v_mov_b32_dpp v3, v0 quad_perm:[2,3,0,1] row_mask:0xf bank_mask:0xf
	s_delay_alu instid0(VALU_DEP_2) | instskip(NEXT) | instid1(VALU_DEP_2)
	v_cmp_eq_f32_e32 vcc_lo, v1, v2
	v_cmp_lt_i32_e64 s2, v3, v0
	v_cmp_lt_f32_e64 s3, v1, v2
	s_delay_alu instid0(VALU_DEP_2)
	s_and_b32 s2, vcc_lo, s2
	s_delay_alu instid0(VALU_DEP_1) | instid1(SALU_CYCLE_1)
	s_or_b32 vcc_lo, s3, s2
	s_waitcnt lgkmcnt(0)
	s_cmp_gt_i32 s4, 0
	v_cndmask_b32_e32 v2, v1, v2, vcc_lo
	v_cndmask_b32_e32 v0, v0, v3, vcc_lo
	v_cmp_eq_u32_e32 vcc_lo, 0, v9
	s_cselect_b32 s3, -1, 0
	s_cmp_lt_i32 s4, 1
	v_mov_b32_dpp v4, v2 row_half_mirror row_mask:0xf bank_mask:0xf
	v_mov_b32_dpp v6, v0 row_half_mirror row_mask:0xf bank_mask:0xf
	s_cbranch_scc1 .LBB284_18
; %bb.7:
	s_load_b128 s[8:11], s[0:1], 0x20
	s_delay_alu instid0(VALU_DEP_2) | instskip(NEXT) | instid1(VALU_DEP_2)
	v_cmp_eq_f32_e64 s0, v2, v4
	v_cmp_lt_i32_e64 s1, v6, v0
	v_cmp_lt_f32_e64 s2, v2, v4
	v_mul_lo_u32 v1, v8, s7
	v_mul_lo_u32 v3, v8, s14
	;; [unrolled: 1-line block ×3, first 2 shown]
	s_and_b32 s0, s0, s1
	v_mov_b32_e32 v11, 0
	s_or_b32 s0, s2, s0
	s_delay_alu instid0(SALU_CYCLE_1)
	v_cndmask_b32_e64 v0, v0, v6, s0
	v_cndmask_b32_e64 v44, v2, v4, s0
	s_and_saveexec_b32 s2, vcc_lo
	s_cbranch_execz .LBB284_9
; %bb.8:
	s_delay_alu instid0(VALU_DEP_1)
	v_sub_f32_e32 v11, v44, v44
	v_cmp_le_i32_e64 s0, s5, v0
	v_cmp_gt_i32_e64 s1, s6, v0
	v_subrev_nc_u32_e32 v51, s5, v0
	v_ashrrev_i32_e32 v6, 31, v5
	v_mul_f32_e32 v2, 0x3fb8aa3b, v11
	s_delay_alu instid0(VALU_DEP_4) | instskip(NEXT) | instid1(SALU_CYCLE_1)
	s_and_b32 s0, s0, s1
	s_and_b32 s0, s17, s0
	s_delay_alu instid0(VALU_DEP_1) | instskip(SKIP_2) | instid1(VALU_DEP_3)
	v_rndne_f32_e32 v47, v2
	v_fma_f32 v4, 0x3fb8aa3b, v11, -v2
	v_lshlrev_b64 v[49:50], 2, v[5:6]
	v_sub_f32_e32 v2, v2, v47
	s_delay_alu instid0(VALU_DEP_3) | instskip(NEXT) | instid1(VALU_DEP_1)
	v_fmamk_f32 v4, v11, 0x32a5705f, v4
	v_add_f32_e32 v4, v2, v4
	v_ashrrev_i32_e32 v2, 31, v1
	s_delay_alu instid0(VALU_DEP_2) | instskip(NEXT) | instid1(VALU_DEP_1)
	v_exp_f32_e32 v52, v4
	v_lshlrev_b64 v[45:46], 2, v[1:2]
	v_ashrrev_i32_e32 v4, 31, v3
	v_cvt_i32_f32_e32 v2, v47
	s_delay_alu instid0(VALU_DEP_2) | instskip(SKIP_2) | instid1(VALU_DEP_1)
	v_lshlrev_b64 v[47:48], 2, v[3:4]
	v_cndmask_b32_e64 v4, 0x80, v51, s0
	v_add_co_u32 v45, s0, s12, v45
	v_add_co_ci_u32_e64 v46, s0, s13, v46, s0
	s_delay_alu instid0(TRANS32_DEP_1) | instskip(SKIP_1) | instid1(VALU_DEP_1)
	v_ldexp_f32 v2, v52, v2
	v_cmp_ngt_f32_e64 s0, 0xc2ce8ed0, v11
	v_cndmask_b32_e64 v2, 0, v2, s0
	s_waitcnt lgkmcnt(0)
	v_add_co_u32 v47, s0, s8, v47
	s_delay_alu instid0(VALU_DEP_1) | instskip(SKIP_1) | instid1(VALU_DEP_1)
	v_add_co_ci_u32_e64 v48, s0, s9, v48, s0
	v_cmp_nlt_f32_e64 s0, 0x42b17218, v11
	v_cndmask_b32_e64 v11, 0x7f800000, v2, s0
	v_add_co_u32 v49, s0, s10, v49
	s_delay_alu instid0(VALU_DEP_1)
	v_add_co_ci_u32_e64 v50, s0, s11, v50, s0
	global_store_b32 v[47:48], v4, off
	global_store_b32 v[45:46], v11, off
	;; [unrolled: 1-line block ×3, first 2 shown]
.LBB284_9:
	s_or_b32 exec_lo, exec_lo, s2
	v_ashrrev_i32_e32 v4, 31, v0
	s_mov_b32 s1, exec_lo
	s_delay_alu instid0(VALU_DEP_1) | instskip(NEXT) | instid1(VALU_DEP_1)
	v_lshrrev_b32_e32 v2, 28, v4
	v_add_nc_u32_e32 v2, v0, v2
	s_delay_alu instid0(VALU_DEP_1) | instskip(NEXT) | instid1(VALU_DEP_1)
	v_ashrrev_i32_e32 v2, 4, v2
	v_lshrrev_b32_e32 v6, 29, v2
	s_delay_alu instid0(VALU_DEP_1) | instskip(NEXT) | instid1(VALU_DEP_1)
	v_add_nc_u32_e32 v6, v2, v6
	v_and_b32_e32 v6, -8, v6
	s_delay_alu instid0(VALU_DEP_1) | instskip(NEXT) | instid1(VALU_DEP_1)
	v_sub_nc_u32_e32 v6, v2, v6
	v_cmpx_eq_u32_e64 v9, v6
	s_cbranch_execz .LBB284_11
; %bb.10:
	v_lshrrev_b32_e32 v4, 25, v4
	v_lshlrev_b32_e32 v2, 4, v2
	s_delay_alu instid0(VALU_DEP_2) | instskip(NEXT) | instid1(VALU_DEP_2)
	v_add_nc_u32_e32 v4, v0, v4
	v_sub_nc_u32_e32 v0, v0, v2
	s_delay_alu instid0(VALU_DEP_2) | instskip(NEXT) | instid1(VALU_DEP_1)
	v_ashrrev_i32_e32 v2, 7, v4
	v_lshl_add_u32 v0, v2, 4, v0
	s_delay_alu instid0(VALU_DEP_1) | instskip(NEXT) | instid1(VALU_DEP_1)
	v_cmp_ne_u32_e64 s0, 15, v0
	v_cndmask_b32_e64 v40, 0xff800000, v40, s0
	v_cmp_ne_u32_e64 s0, 14, v0
	s_delay_alu instid0(VALU_DEP_1) | instskip(SKIP_1) | instid1(VALU_DEP_1)
	v_cndmask_b32_e64 v38, 0xff800000, v38, s0
	v_cmp_ne_u32_e64 s0, 13, v0
	v_cndmask_b32_e64 v36, 0xff800000, v36, s0
	v_cmp_ne_u32_e64 s0, 12, v0
	s_delay_alu instid0(VALU_DEP_1) | instskip(SKIP_1) | instid1(VALU_DEP_1)
	v_cndmask_b32_e64 v34, 0xff800000, v34, s0
	;; [unrolled: 5-line block ×7, first 2 shown]
	v_cmp_ne_u32_e64 s0, 1, v0
	v_cndmask_b32_e64 v13, 0xff800000, v13, s0
	v_cmp_ne_u32_e64 s0, 0, v0
	s_delay_alu instid0(VALU_DEP_1)
	v_cndmask_b32_e64 v12, 0xff800000, v12, s0
.LBB284_11:
	s_or_b32 exec_lo, exec_lo, s1
	s_cmp_eq_u32 s4, 1
	s_cbranch_scc1 .LBB284_18
; %bb.12:
	s_add_i32 s18, s18, s16
	v_add_nc_u32_e32 v0, 1, v5
	v_add3_u32 v6, s18, v43, v42
	v_add_nc_u32_e32 v2, 1, v3
	v_add_nc_u32_e32 v4, 1, v1
	s_add_i32 s14, s4, -1
	s_branch .LBB284_14
.LBB284_13:                             ;   in Loop: Header=BB284_14 Depth=1
	s_or_b32 exec_lo, exec_lo, s1
	v_add_nc_u32_e32 v6, s16, v6
	v_add_nc_u32_e32 v0, 1, v0
	v_add_nc_u32_e32 v2, 1, v2
	v_add_nc_u32_e32 v4, 1, v4
	s_add_i32 s14, s14, -1
	s_delay_alu instid0(SALU_CYCLE_1)
	s_cmp_eq_u32 s14, 0
	s_cbranch_scc1 .LBB284_18
.LBB284_14:                             ; =>This Inner Loop Header: Depth=1
	v_cmp_gt_f32_e64 s0, v13, v12
	s_delay_alu instid0(VALU_DEP_1) | instskip(SKIP_1) | instid1(VALU_DEP_2)
	v_cndmask_b32_e64 v3, v12, v13, s0
	v_cndmask_b32_e64 v1, v10, v14, s0
	v_cmp_gt_f32_e64 s0, v15, v3
	s_delay_alu instid0(VALU_DEP_1) | instskip(NEXT) | instid1(VALU_DEP_3)
	v_cndmask_b32_e64 v3, v3, v15, s0
	v_cndmask_b32_e64 v1, v1, v16, s0
	s_delay_alu instid0(VALU_DEP_2) | instskip(NEXT) | instid1(VALU_DEP_1)
	v_cmp_gt_f32_e64 s0, v17, v3
	v_cndmask_b32_e64 v3, v3, v17, s0
	s_delay_alu instid0(VALU_DEP_3) | instskip(NEXT) | instid1(VALU_DEP_2)
	v_cndmask_b32_e64 v1, v1, v18, s0
	v_cmp_gt_f32_e64 s0, v19, v3
	s_delay_alu instid0(VALU_DEP_1) | instskip(NEXT) | instid1(VALU_DEP_3)
	v_cndmask_b32_e64 v3, v3, v19, s0
	v_cndmask_b32_e64 v1, v1, v20, s0
	s_delay_alu instid0(VALU_DEP_2) | instskip(NEXT) | instid1(VALU_DEP_1)
	v_cmp_gt_f32_e64 s0, v21, v3
	v_cndmask_b32_e64 v3, v3, v21, s0
	s_delay_alu instid0(VALU_DEP_3) | instskip(NEXT) | instid1(VALU_DEP_2)
	;; [unrolled: 9-line block ×6, first 2 shown]
	v_cndmask_b32_e64 v1, v1, v37, s0
	v_cmp_gt_f32_e64 s0, v38, v3
	s_delay_alu instid0(VALU_DEP_1) | instskip(NEXT) | instid1(VALU_DEP_3)
	v_cndmask_b32_e64 v3, v3, v38, s0
	v_cndmask_b32_e64 v1, v1, v39, s0
	s_delay_alu instid0(VALU_DEP_2) | instskip(NEXT) | instid1(VALU_DEP_1)
	v_cmp_gt_f32_e64 s0, v40, v3
	v_cndmask_b32_e64 v1, v1, v41, s0
	v_cndmask_b32_e64 v3, v3, v40, s0
	s_delay_alu instid0(VALU_DEP_2) | instskip(NEXT) | instid1(VALU_DEP_2)
	v_mov_b32_dpp v5, v1 quad_perm:[1,0,3,2] row_mask:0xf bank_mask:0xf
	v_mov_b32_dpp v42, v3 quad_perm:[1,0,3,2] row_mask:0xf bank_mask:0xf
	s_delay_alu instid0(VALU_DEP_2) | instskip(NEXT) | instid1(VALU_DEP_2)
	v_cmp_lt_i32_e64 s0, v5, v1
	v_cmp_eq_f32_e64 s1, v3, v42
	v_cmp_lt_f32_e64 s2, v3, v42
	s_delay_alu instid0(VALU_DEP_2)
	s_and_b32 s0, s1, s0
	s_delay_alu instid0(VALU_DEP_1) | instid1(SALU_CYCLE_1)
	s_or_b32 s0, s2, s0
	s_delay_alu instid0(SALU_CYCLE_1) | instskip(SKIP_1) | instid1(VALU_DEP_2)
	v_cndmask_b32_e64 v3, v3, v42, s0
	v_cndmask_b32_e64 v5, v1, v5, s0
	v_mov_b32_dpp v1, v3 quad_perm:[2,3,0,1] row_mask:0xf bank_mask:0xf
	s_delay_alu instid0(VALU_DEP_2) | instskip(NEXT) | instid1(VALU_DEP_2)
	v_mov_b32_dpp v42, v5 quad_perm:[2,3,0,1] row_mask:0xf bank_mask:0xf
	v_cmp_eq_f32_e64 s0, v3, v1
	s_delay_alu instid0(VALU_DEP_2) | instskip(SKIP_1) | instid1(VALU_DEP_2)
	v_cmp_lt_i32_e64 s1, v42, v5
	v_cmp_lt_f32_e64 s2, v3, v1
	s_and_b32 s0, s0, s1
	s_delay_alu instid0(VALU_DEP_1) | instid1(SALU_CYCLE_1)
	s_or_b32 s0, s2, s0
	s_delay_alu instid0(SALU_CYCLE_1) | instskip(SKIP_1) | instid1(VALU_DEP_2)
	v_cndmask_b32_e64 v1, v3, v1, s0
	v_cndmask_b32_e64 v5, v5, v42, s0
	v_mov_b32_dpp v3, v1 row_half_mirror row_mask:0xf bank_mask:0xf
	s_delay_alu instid0(VALU_DEP_2) | instskip(NEXT) | instid1(VALU_DEP_2)
	v_mov_b32_dpp v42, v5 row_half_mirror row_mask:0xf bank_mask:0xf
	v_cmp_eq_f32_e64 s0, v1, v3
	s_delay_alu instid0(VALU_DEP_2) | instskip(SKIP_1) | instid1(VALU_DEP_2)
	v_cmp_lt_i32_e64 s1, v42, v5
	v_cmp_lt_f32_e64 s2, v1, v3
	s_and_b32 s0, s0, s1
	s_delay_alu instid0(VALU_DEP_1) | instid1(SALU_CYCLE_1)
	s_or_b32 s0, s2, s0
	s_delay_alu instid0(SALU_CYCLE_1)
	v_cndmask_b32_e64 v42, v5, v42, s0
	s_and_saveexec_b32 s2, vcc_lo
	s_cbranch_execz .LBB284_16
; %bb.15:                               ;   in Loop: Header=BB284_14 Depth=1
	v_cndmask_b32_e64 v1, v1, v3, s0
	s_delay_alu instid0(VALU_DEP_2) | instskip(SKIP_4) | instid1(VALU_DEP_4)
	v_cmp_le_i32_e64 s0, s5, v42
	v_cmp_gt_i32_e64 s1, s6, v42
	v_ashrrev_i32_e32 v5, 31, v4
	v_subrev_nc_u32_e32 v51, s5, v42
	v_sub_f32_e32 v43, v1, v44
	s_and_b32 s0, s0, s1
	s_delay_alu instid0(SALU_CYCLE_1) | instskip(NEXT) | instid1(VALU_DEP_1)
	s_and_b32 s0, s17, s0
	v_mul_f32_e32 v1, 0x3fb8aa3b, v43
	s_delay_alu instid0(VALU_DEP_1) | instskip(SKIP_1) | instid1(VALU_DEP_2)
	v_fma_f32 v3, 0x3fb8aa3b, v43, -v1
	v_rndne_f32_e32 v45, v1
	v_fmac_f32_e32 v3, 0x32a5705f, v43
	s_delay_alu instid0(VALU_DEP_2) | instskip(SKIP_2) | instid1(VALU_DEP_3)
	v_sub_f32_e32 v1, v1, v45
	v_cvt_i32_f32_e32 v50, v45
	v_lshlrev_b64 v[45:46], 2, v[4:5]
	v_add_f32_e32 v1, v1, v3
	v_ashrrev_i32_e32 v3, 31, v2
	s_delay_alu instid0(VALU_DEP_2) | instskip(SKIP_1) | instid1(VALU_DEP_2)
	v_exp_f32_e32 v49, v1
	v_ashrrev_i32_e32 v1, 31, v0
	v_lshlrev_b64 v[47:48], 2, v[2:3]
	s_waitcnt_depctr 0xfff
	v_ldexp_f32 v3, v49, v50
	v_lshlrev_b64 v[49:50], 2, v[0:1]
	v_cndmask_b32_e64 v1, 0x80, v51, s0
	v_cmp_ngt_f32_e64 s0, 0xc2ce8ed0, v43
	s_delay_alu instid0(VALU_DEP_1) | instskip(SKIP_1) | instid1(VALU_DEP_1)
	v_cndmask_b32_e64 v3, 0, v3, s0
	v_add_co_u32 v45, s0, s12, v45
	v_add_co_ci_u32_e64 v46, s0, s13, v46, s0
	v_cmp_nlt_f32_e64 s0, 0x42b17218, v43
	s_delay_alu instid0(VALU_DEP_1) | instskip(SKIP_2) | instid1(VALU_DEP_1)
	v_cndmask_b32_e64 v3, 0x7f800000, v3, s0
	s_waitcnt lgkmcnt(0)
	v_add_co_u32 v47, s0, s8, v47
	v_add_co_ci_u32_e64 v48, s0, s9, v48, s0
	v_add_co_u32 v49, s0, s10, v49
	v_add_f32_e32 v11, v11, v3
	v_add_co_ci_u32_e64 v50, s0, s11, v50, s0
	global_store_b32 v[45:46], v3, off
	global_store_b32 v[47:48], v1, off
	;; [unrolled: 1-line block ×3, first 2 shown]
.LBB284_16:                             ;   in Loop: Header=BB284_14 Depth=1
	s_or_b32 exec_lo, exec_lo, s2
	s_delay_alu instid0(VALU_DEP_1) | instskip(SKIP_1) | instid1(VALU_DEP_1)
	v_ashrrev_i32_e32 v3, 31, v42
	s_mov_b32 s1, exec_lo
	v_lshrrev_b32_e32 v1, 28, v3
	s_delay_alu instid0(VALU_DEP_1) | instskip(NEXT) | instid1(VALU_DEP_1)
	v_add_nc_u32_e32 v1, v42, v1
	v_ashrrev_i32_e32 v1, 4, v1
	s_delay_alu instid0(VALU_DEP_1) | instskip(NEXT) | instid1(VALU_DEP_1)
	v_lshrrev_b32_e32 v5, 29, v1
	v_add_nc_u32_e32 v5, v1, v5
	s_delay_alu instid0(VALU_DEP_1) | instskip(NEXT) | instid1(VALU_DEP_1)
	v_and_b32_e32 v5, -8, v5
	v_sub_nc_u32_e32 v5, v1, v5
	s_delay_alu instid0(VALU_DEP_1)
	v_cmpx_eq_u32_e64 v9, v5
	s_cbranch_execz .LBB284_13
; %bb.17:                               ;   in Loop: Header=BB284_14 Depth=1
	v_lshrrev_b32_e32 v3, 25, v3
	v_lshlrev_b32_e32 v1, 4, v1
	s_delay_alu instid0(VALU_DEP_2) | instskip(NEXT) | instid1(VALU_DEP_2)
	v_add_nc_u32_e32 v3, v42, v3
	v_sub_nc_u32_e32 v1, v42, v1
	s_delay_alu instid0(VALU_DEP_2) | instskip(NEXT) | instid1(VALU_DEP_1)
	v_ashrrev_i32_e32 v3, 7, v3
	v_lshl_add_u32 v1, v3, 4, v1
	s_delay_alu instid0(VALU_DEP_1) | instskip(NEXT) | instid1(VALU_DEP_1)
	v_cmp_ne_u32_e64 s0, 15, v1
	v_cndmask_b32_e64 v40, 0xff800000, v40, s0
	v_cmp_ne_u32_e64 s0, 14, v1
	s_delay_alu instid0(VALU_DEP_1) | instskip(SKIP_1) | instid1(VALU_DEP_1)
	v_cndmask_b32_e64 v38, 0xff800000, v38, s0
	v_cmp_ne_u32_e64 s0, 13, v1
	v_cndmask_b32_e64 v36, 0xff800000, v36, s0
	v_cmp_ne_u32_e64 s0, 12, v1
	s_delay_alu instid0(VALU_DEP_1) | instskip(SKIP_1) | instid1(VALU_DEP_1)
	v_cndmask_b32_e64 v34, 0xff800000, v34, s0
	;; [unrolled: 5-line block ×7, first 2 shown]
	v_cmp_ne_u32_e64 s0, 1, v1
	v_cndmask_b32_e64 v13, 0xff800000, v13, s0
	v_cmp_ne_u32_e64 s0, 0, v1
	s_delay_alu instid0(VALU_DEP_1)
	v_cndmask_b32_e64 v12, 0xff800000, v12, s0
	s_branch .LBB284_13
.LBB284_18:
	v_cmp_eq_u32_e32 vcc_lo, 0, v9
	v_cmp_neq_f32_e64 s0, 0, v11
	s_delay_alu instid0(VALU_DEP_1) | instskip(NEXT) | instid1(SALU_CYCLE_1)
	s_and_b32 s0, vcc_lo, s0
	s_and_b32 exec_lo, exec_lo, s0
	s_cbranch_execz .LBB284_22
; %bb.19:
	s_and_not1_b32 vcc_lo, exec_lo, s3
	s_cbranch_vccnz .LBB284_22
; %bb.20:
	v_div_scale_f32 v1, null, v11, v11, 1.0
	v_div_scale_f32 v3, vcc_lo, 1.0, v11, 1.0
	s_delay_alu instid0(VALU_DEP_2) | instskip(SKIP_2) | instid1(VALU_DEP_1)
	v_rcp_f32_e32 v2, v1
	s_waitcnt_depctr 0xfff
	v_fma_f32 v0, -v1, v2, 1.0
	v_fmac_f32_e32 v2, v0, v2
	v_mul_lo_u32 v0, v8, s7
	s_delay_alu instid0(VALU_DEP_2) | instskip(NEXT) | instid1(VALU_DEP_1)
	v_mul_f32_e32 v4, v3, v2
	v_fma_f32 v5, -v1, v4, v3
	s_delay_alu instid0(VALU_DEP_1) | instskip(NEXT) | instid1(VALU_DEP_1)
	v_fmac_f32_e32 v4, v5, v2
	v_fma_f32 v3, -v1, v4, v3
	v_ashrrev_i32_e32 v1, 31, v0
	s_delay_alu instid0(VALU_DEP_2) | instskip(NEXT) | instid1(VALU_DEP_2)
	v_div_fmas_f32 v2, v3, v2, v4
	v_lshlrev_b64 v[0:1], 2, v[0:1]
	s_delay_alu instid0(VALU_DEP_2) | instskip(NEXT) | instid1(VALU_DEP_2)
	v_div_fixup_f32 v2, v2, v11, 1.0
	v_add_co_u32 v0, vcc_lo, s12, v0
	s_delay_alu instid0(VALU_DEP_3)
	v_add_co_ci_u32_e32 v1, vcc_lo, s13, v1, vcc_lo
.LBB284_21:                             ; =>This Inner Loop Header: Depth=1
	global_load_b32 v3, v[0:1], off
	s_add_i32 s4, s4, -1
	s_delay_alu instid0(SALU_CYCLE_1)
	s_cmp_lg_u32 s4, 0
	s_waitcnt vmcnt(0)
	v_mul_f32_e32 v3, v2, v3
	global_store_b32 v[0:1], v3, off
	v_add_co_u32 v0, vcc_lo, v0, 4
	v_add_co_ci_u32_e32 v1, vcc_lo, 0, v1, vcc_lo
	s_cbranch_scc1 .LBB284_21
.LBB284_22:
	s_nop 0
	s_sendmsg sendmsg(MSG_DEALLOC_VGPRS)
	s_endpgm
	.section	.rodata,"a",@progbits
	.p2align	6, 0x0
	.amdhsa_kernel _ZN4vllm3moe17topkGatingSoftmaxItLi16ELi128ELi8ELi32ELb1ELi4ELNS0_23SharedExpertScoringFuncE1EEEvPKT_PKbPfiPiS9_iiiiii
		.amdhsa_group_segment_fixed_size 0
		.amdhsa_private_segment_fixed_size 0
		.amdhsa_kernarg_size 72
		.amdhsa_user_sgpr_count 15
		.amdhsa_user_sgpr_dispatch_ptr 0
		.amdhsa_user_sgpr_queue_ptr 0
		.amdhsa_user_sgpr_kernarg_segment_ptr 1
		.amdhsa_user_sgpr_dispatch_id 0
		.amdhsa_user_sgpr_private_segment_size 0
		.amdhsa_wavefront_size32 1
		.amdhsa_uses_dynamic_stack 0
		.amdhsa_enable_private_segment 0
		.amdhsa_system_sgpr_workgroup_id_x 1
		.amdhsa_system_sgpr_workgroup_id_y 0
		.amdhsa_system_sgpr_workgroup_id_z 0
		.amdhsa_system_sgpr_workgroup_info 0
		.amdhsa_system_vgpr_workitem_id 1
		.amdhsa_next_free_vgpr 53
		.amdhsa_next_free_sgpr 19
		.amdhsa_reserve_vcc 1
		.amdhsa_float_round_mode_32 0
		.amdhsa_float_round_mode_16_64 0
		.amdhsa_float_denorm_mode_32 3
		.amdhsa_float_denorm_mode_16_64 3
		.amdhsa_dx10_clamp 1
		.amdhsa_ieee_mode 1
		.amdhsa_fp16_overflow 0
		.amdhsa_workgroup_processor_mode 1
		.amdhsa_memory_ordered 1
		.amdhsa_forward_progress 0
		.amdhsa_shared_vgpr_count 0
		.amdhsa_exception_fp_ieee_invalid_op 0
		.amdhsa_exception_fp_denorm_src 0
		.amdhsa_exception_fp_ieee_div_zero 0
		.amdhsa_exception_fp_ieee_overflow 0
		.amdhsa_exception_fp_ieee_underflow 0
		.amdhsa_exception_fp_ieee_inexact 0
		.amdhsa_exception_int_div_zero 0
	.end_amdhsa_kernel
	.section	.text._ZN4vllm3moe17topkGatingSoftmaxItLi16ELi128ELi8ELi32ELb1ELi4ELNS0_23SharedExpertScoringFuncE1EEEvPKT_PKbPfiPiS9_iiiiii,"axG",@progbits,_ZN4vllm3moe17topkGatingSoftmaxItLi16ELi128ELi8ELi32ELb1ELi4ELNS0_23SharedExpertScoringFuncE1EEEvPKT_PKbPfiPiS9_iiiiii,comdat
.Lfunc_end284:
	.size	_ZN4vllm3moe17topkGatingSoftmaxItLi16ELi128ELi8ELi32ELb1ELi4ELNS0_23SharedExpertScoringFuncE1EEEvPKT_PKbPfiPiS9_iiiiii, .Lfunc_end284-_ZN4vllm3moe17topkGatingSoftmaxItLi16ELi128ELi8ELi32ELb1ELi4ELNS0_23SharedExpertScoringFuncE1EEEvPKT_PKbPfiPiS9_iiiiii
                                        ; -- End function
	.section	.AMDGPU.csdata,"",@progbits
; Kernel info:
; codeLenInByte = 3864
; NumSgprs: 21
; NumVgprs: 53
; ScratchSize: 0
; MemoryBound: 0
; FloatMode: 240
; IeeeMode: 1
; LDSByteSize: 0 bytes/workgroup (compile time only)
; SGPRBlocks: 2
; VGPRBlocks: 6
; NumSGPRsForWavesPerEU: 21
; NumVGPRsForWavesPerEU: 53
; Occupancy: 16
; WaveLimiterHint : 0
; COMPUTE_PGM_RSRC2:SCRATCH_EN: 0
; COMPUTE_PGM_RSRC2:USER_SGPR: 15
; COMPUTE_PGM_RSRC2:TRAP_HANDLER: 0
; COMPUTE_PGM_RSRC2:TGID_X_EN: 1
; COMPUTE_PGM_RSRC2:TGID_Y_EN: 0
; COMPUTE_PGM_RSRC2:TGID_Z_EN: 0
; COMPUTE_PGM_RSRC2:TIDIG_COMP_CNT: 1
	.section	.text._ZN4vllm3moe17topkGatingSoftmaxItLi16ELi128ELi8ELi32ELb0ELi4ELNS0_23SharedExpertScoringFuncE1EEEvPKT_PKbPfiPiS9_iiiiii,"axG",@progbits,_ZN4vllm3moe17topkGatingSoftmaxItLi16ELi128ELi8ELi32ELb0ELi4ELNS0_23SharedExpertScoringFuncE1EEEvPKT_PKbPfiPiS9_iiiiii,comdat
	.protected	_ZN4vllm3moe17topkGatingSoftmaxItLi16ELi128ELi8ELi32ELb0ELi4ELNS0_23SharedExpertScoringFuncE1EEEvPKT_PKbPfiPiS9_iiiiii ; -- Begin function _ZN4vllm3moe17topkGatingSoftmaxItLi16ELi128ELi8ELi32ELb0ELi4ELNS0_23SharedExpertScoringFuncE1EEEvPKT_PKbPfiPiS9_iiiiii
	.globl	_ZN4vllm3moe17topkGatingSoftmaxItLi16ELi128ELi8ELi32ELb0ELi4ELNS0_23SharedExpertScoringFuncE1EEEvPKT_PKbPfiPiS9_iiiiii
	.p2align	8
	.type	_ZN4vllm3moe17topkGatingSoftmaxItLi16ELi128ELi8ELi32ELb0ELi4ELNS0_23SharedExpertScoringFuncE1EEEvPKT_PKbPfiPiS9_iiiiii,@function
_ZN4vllm3moe17topkGatingSoftmaxItLi16ELi128ELi8ELi32ELb0ELi4ELNS0_23SharedExpertScoringFuncE1EEEvPKT_PKbPfiPiS9_iiiiii: ; @_ZN4vllm3moe17topkGatingSoftmaxItLi16ELi128ELi8ELi32ELb0ELi4ELNS0_23SharedExpertScoringFuncE1EEEvPKT_PKbPfiPiS9_iiiiii
; %bb.0:
	s_load_b32 s16, s[0:1], 0x18
	v_bfe_u32 v1, v0, 10, 10
	v_and_b32_e32 v0, 0x3ff, v0
	s_lshl_b32 s18, s15, 5
	s_mov_b32 s2, exec_lo
	s_delay_alu instid0(VALU_DEP_2) | instskip(NEXT) | instid1(VALU_DEP_2)
	v_lshlrev_b32_e32 v42, 2, v1
	v_lshrrev_b32_e32 v43, 3, v0
	s_delay_alu instid0(VALU_DEP_1) | instskip(SKIP_1) | instid1(VALU_DEP_1)
	v_add3_u32 v8, s18, v42, v43
	s_waitcnt lgkmcnt(0)
	v_cmpx_gt_i32_e64 s16, v8
	s_cbranch_execz .LBB285_23
; %bb.1:
	s_clause 0x1
	s_load_b128 s[4:7], s[0:1], 0x0
	s_load_b64 s[12:13], s[0:1], 0x10
	s_waitcnt lgkmcnt(0)
	s_cmp_eq_u64 s[6:7], 0
	s_cbranch_scc1 .LBB285_3
; %bb.2:
	v_ashrrev_i32_e32 v2, 31, v8
	v_add_co_u32 v1, vcc_lo, s6, v8
	s_delay_alu instid0(VALU_DEP_2) | instskip(SKIP_3) | instid1(VALU_DEP_1)
	v_add_co_ci_u32_e32 v2, vcc_lo, s7, v2, vcc_lo
	global_load_u8 v1, v[1:2], off
	s_waitcnt vmcnt(0)
	v_and_b32_e32 v1, 1, v1
	v_cmp_eq_u32_e32 vcc_lo, 1, v1
	s_xor_b32 s2, vcc_lo, -1
	s_delay_alu instid0(SALU_CYCLE_1)
	s_or_not1_b32 s17, s2, exec_lo
	s_branch .LBB285_4
.LBB285_3:
	s_mov_b32 s17, -1
.LBB285_4:
	s_load_b64 s[14:15], s[0:1], 0x40
	v_dual_mov_b32 v10, 0 :: v_dual_and_b32 v9, 7, v0
	s_mov_b32 s2, exec_lo
	s_delay_alu instid0(VALU_DEP_1) | instskip(SKIP_2) | instid1(VALU_DEP_1)
	v_lshlrev_b32_e32 v22, 4, v9
	s_waitcnt lgkmcnt(0)
	v_mul_lo_u32 v1, v8, s15
	v_ashrrev_i32_e32 v2, 31, v1
	s_delay_alu instid0(VALU_DEP_1) | instskip(SKIP_1) | instid1(VALU_DEP_2)
	v_lshlrev_b64 v[0:1], 1, v[1:2]
	v_lshlrev_b32_e32 v2, 5, v9
	v_add_co_u32 v11, vcc_lo, s4, v0
	s_delay_alu instid0(VALU_DEP_3) | instskip(SKIP_1) | instid1(VALU_DEP_2)
	v_add_co_ci_u32_e32 v12, vcc_lo, s5, v1, vcc_lo
	s_load_b128 s[4:7], s[0:1], 0x30
	v_add_co_u32 v4, vcc_lo, v11, v2
	s_delay_alu instid0(VALU_DEP_2)
	v_add_co_ci_u32_e32 v5, vcc_lo, 0, v12, vcc_lo
	s_clause 0x1
	global_load_b128 v[0:3], v[4:5], off offset:16
	global_load_b128 v[4:7], v[4:5], off
	v_cmpx_gt_u32_e32 4, v9
	s_cbranch_execz .LBB285_6
; %bb.5:
	v_lshlrev_b32_e32 v13, 1, v9
	s_delay_alu instid0(VALU_DEP_1) | instskip(SKIP_4) | instid1(VALU_DEP_1)
	v_add_co_u32 v11, vcc_lo, v11, v13
	v_add_co_ci_u32_e32 v12, vcc_lo, 0, v12, vcc_lo
	global_load_u16 v11, v[11:12], off offset:256
	s_waitcnt vmcnt(0)
	v_cvt_f32_u32_e32 v11, v11
	v_mul_f32_e32 v12, 0xbfb8aa3b, v11
	v_cmp_nlt_f32_e32 vcc_lo, 0x42ce8ed0, v11
	s_delay_alu instid0(VALU_DEP_2) | instskip(SKIP_1) | instid1(VALU_DEP_1)
	v_fma_f32 v13, 0xbfb8aa3b, v11, -v12
	v_rndne_f32_e32 v14, v12
	v_dual_fmamk_f32 v13, v11, 0xb2a5705f, v13 :: v_dual_sub_f32 v12, v12, v14
	s_delay_alu instid0(VALU_DEP_1) | instskip(SKIP_1) | instid1(VALU_DEP_2)
	v_add_f32_e32 v12, v12, v13
	v_cvt_i32_f32_e32 v13, v14
	v_exp_f32_e32 v12, v12
	s_waitcnt_depctr 0xfff
	v_ldexp_f32 v12, v12, v13
	s_delay_alu instid0(VALU_DEP_1) | instskip(SKIP_1) | instid1(VALU_DEP_2)
	v_cndmask_b32_e32 v12, 0, v12, vcc_lo
	v_cmp_ngt_f32_e32 vcc_lo, 0xc2b17218, v11
	v_cndmask_b32_e32 v11, 0x7f800000, v12, vcc_lo
	s_delay_alu instid0(VALU_DEP_1) | instskip(NEXT) | instid1(VALU_DEP_1)
	v_add_f32_e32 v13, 1.0, v11
	v_div_scale_f32 v12, null, v13, v13, 1.0
	v_div_scale_f32 v15, vcc_lo, 1.0, v13, 1.0
	s_delay_alu instid0(VALU_DEP_2) | instskip(SKIP_2) | instid1(VALU_DEP_1)
	v_rcp_f32_e32 v14, v12
	s_waitcnt_depctr 0xfff
	v_fma_f32 v11, -v12, v14, 1.0
	v_fmac_f32_e32 v14, v11, v14
	s_waitcnt lgkmcnt(0)
	v_mul_lo_u32 v11, v8, s7
	s_delay_alu instid0(VALU_DEP_2) | instskip(NEXT) | instid1(VALU_DEP_2)
	v_mul_f32_e32 v16, v15, v14
	v_add3_u32 v11, v11, s4, v9
	s_delay_alu instid0(VALU_DEP_2) | instskip(NEXT) | instid1(VALU_DEP_1)
	v_fma_f32 v17, -v12, v16, v15
	v_fmac_f32_e32 v16, v17, v14
	s_delay_alu instid0(VALU_DEP_1) | instskip(NEXT) | instid1(VALU_DEP_4)
	v_fma_f32 v15, -v12, v16, v15
	v_ashrrev_i32_e32 v12, 31, v11
	s_delay_alu instid0(VALU_DEP_2) | instskip(NEXT) | instid1(VALU_DEP_2)
	v_div_fmas_f32 v14, v15, v14, v16
	v_lshlrev_b64 v[11:12], 2, v[11:12]
	s_delay_alu instid0(VALU_DEP_2) | instskip(NEXT) | instid1(VALU_DEP_2)
	v_div_fixup_f32 v13, v14, v13, 1.0
	v_add_co_u32 v11, vcc_lo, s12, v11
	s_delay_alu instid0(VALU_DEP_3)
	v_add_co_ci_u32_e32 v12, vcc_lo, s13, v12, vcc_lo
	global_store_b32 v[11:12], v13, off
.LBB285_6:
	s_or_b32 exec_lo, exec_lo, s2
	v_or_b32_e32 v29, 2, v22
	s_waitcnt vmcnt(0)
	v_and_b32_e32 v11, 0xffff, v4
	v_lshrrev_b32_e32 v4, 16, v4
	v_or_b32_e32 v28, 1, v22
	v_or_b32_e32 v30, 3, v22
	;; [unrolled: 1-line block ×3, first 2 shown]
	v_cvt_f32_u32_e32 v25, v11
	v_cvt_f32_u32_e32 v23, v4
	v_or_b32_e32 v32, 5, v22
	v_or_b32_e32 v33, 6, v22
	;; [unrolled: 1-line block ×4, first 2 shown]
	v_cmp_lt_f32_e32 vcc_lo, v25, v23
	v_and_b32_e32 v4, 0xffff, v5
	v_lshrrev_b32_e32 v5, 16, v5
	v_or_b32_e32 v36, 9, v22
	v_or_b32_e32 v37, 10, v22
	v_cndmask_b32_e32 v11, v25, v23, vcc_lo
	v_cvt_f32_u32_e32 v27, v4
	v_cndmask_b32_e32 v4, v22, v28, vcc_lo
	v_cvt_f32_u32_e32 v26, v5
	v_or_b32_e32 v38, 11, v22
	v_or_b32_e32 v39, 12, v22
	v_cmp_lt_f32_e32 vcc_lo, v11, v27
	v_or_b32_e32 v40, 13, v22
	v_or_b32_e32 v41, 14, v22
	;; [unrolled: 1-line block ×3, first 2 shown]
	v_dual_cndmask_b32 v5, v11, v27 :: v_dual_cndmask_b32 v4, v4, v29
	s_delay_alu instid0(VALU_DEP_1) | instskip(SKIP_1) | instid1(VALU_DEP_3)
	v_cmp_lt_f32_e32 vcc_lo, v5, v26
	v_cndmask_b32_e32 v5, v5, v26, vcc_lo
	v_cndmask_b32_e32 v4, v4, v30, vcc_lo
	v_and_b32_e32 v11, 0xffff, v6
	v_lshrrev_b32_e32 v6, 16, v6
	s_delay_alu instid0(VALU_DEP_2) | instskip(NEXT) | instid1(VALU_DEP_2)
	v_cvt_f32_u32_e32 v24, v11
	v_cvt_f32_u32_e32 v21, v6
	v_and_b32_e32 v6, 0xffff, v7
	s_delay_alu instid0(VALU_DEP_3) | instskip(NEXT) | instid1(VALU_DEP_2)
	v_cmp_lt_f32_e32 vcc_lo, v5, v24
	v_cvt_f32_u32_e32 v20, v6
	v_lshrrev_b32_e32 v6, 16, v7
	v_dual_cndmask_b32 v5, v5, v24 :: v_dual_cndmask_b32 v4, v4, v31
	s_delay_alu instid0(VALU_DEP_2) | instskip(NEXT) | instid1(VALU_DEP_2)
	v_cvt_f32_u32_e32 v19, v6
	v_cmp_lt_f32_e32 vcc_lo, v5, v21
	s_delay_alu instid0(VALU_DEP_3) | instskip(NEXT) | instid1(VALU_DEP_1)
	v_dual_cndmask_b32 v4, v4, v32 :: v_dual_cndmask_b32 v5, v5, v21
	v_cmp_lt_f32_e32 vcc_lo, v5, v20
	s_delay_alu instid0(VALU_DEP_2) | instskip(NEXT) | instid1(VALU_DEP_1)
	v_dual_cndmask_b32 v4, v4, v33 :: v_dual_cndmask_b32 v5, v5, v20
	v_cmp_lt_f32_e32 vcc_lo, v5, v19
	v_and_b32_e32 v6, 0xffff, v0
	v_lshrrev_b32_e32 v0, 16, v0
	v_cndmask_b32_e32 v5, v5, v19, vcc_lo
	s_delay_alu instid0(VALU_DEP_3) | instskip(SKIP_1) | instid1(VALU_DEP_4)
	v_cvt_f32_u32_e32 v18, v6
	v_cndmask_b32_e32 v4, v4, v34, vcc_lo
	v_cvt_f32_u32_e32 v17, v0
	s_delay_alu instid0(VALU_DEP_3) | instskip(NEXT) | instid1(VALU_DEP_3)
	v_cmp_lt_f32_e32 vcc_lo, v5, v18
	v_cndmask_b32_e32 v0, v4, v35, vcc_lo
	v_dual_cndmask_b32 v4, v5, v18 :: v_dual_and_b32 v5, 0xffff, v1
	v_lshrrev_b32_e32 v1, 16, v1
	s_delay_alu instid0(VALU_DEP_2) | instskip(NEXT) | instid1(VALU_DEP_3)
	v_cmp_lt_f32_e32 vcc_lo, v4, v17
	v_cvt_f32_u32_e32 v16, v5
	s_delay_alu instid0(VALU_DEP_3) | instskip(SKIP_2) | instid1(VALU_DEP_2)
	v_cvt_f32_u32_e32 v15, v1
	v_cndmask_b32_e32 v4, v4, v17, vcc_lo
	v_cndmask_b32_e32 v0, v0, v36, vcc_lo
	v_cmp_lt_f32_e32 vcc_lo, v4, v16
	v_dual_cndmask_b32 v1, v4, v16 :: v_dual_and_b32 v4, 0xffff, v2
	v_lshrrev_b32_e32 v2, 16, v2
	s_delay_alu instid0(VALU_DEP_2) | instskip(NEXT) | instid1(VALU_DEP_2)
	v_cvt_f32_u32_e32 v13, v4
	v_cvt_f32_u32_e32 v12, v2
	v_and_b32_e32 v2, 0xffff, v3
	s_delay_alu instid0(VALU_DEP_1) | instskip(SKIP_4) | instid1(VALU_DEP_2)
	v_cvt_f32_u32_e32 v11, v2
	v_cndmask_b32_e32 v0, v0, v37, vcc_lo
	v_cmp_lt_f32_e32 vcc_lo, v1, v15
	v_lshrrev_b32_e32 v2, 16, v3
	v_cndmask_b32_e32 v1, v1, v15, vcc_lo
	v_cvt_f32_u32_e32 v7, v2
	v_cndmask_b32_e32 v0, v0, v38, vcc_lo
	s_delay_alu instid0(VALU_DEP_3) | instskip(NEXT) | instid1(VALU_DEP_2)
	v_cmp_lt_f32_e32 vcc_lo, v1, v13
	v_dual_cndmask_b32 v1, v1, v13 :: v_dual_cndmask_b32 v0, v0, v39
	s_delay_alu instid0(VALU_DEP_1) | instskip(SKIP_1) | instid1(VALU_DEP_3)
	v_cmp_lt_f32_e32 vcc_lo, v1, v12
	v_cndmask_b32_e32 v1, v1, v12, vcc_lo
	v_cndmask_b32_e32 v0, v0, v40, vcc_lo
	s_delay_alu instid0(VALU_DEP_2) | instskip(NEXT) | instid1(VALU_DEP_2)
	v_cmp_lt_f32_e32 vcc_lo, v1, v11
	v_dual_cndmask_b32 v1, v1, v11 :: v_dual_cndmask_b32 v0, v0, v41
	s_delay_alu instid0(VALU_DEP_1) | instskip(NEXT) | instid1(VALU_DEP_2)
	v_cmp_lt_f32_e32 vcc_lo, v1, v7
	v_dual_cndmask_b32 v0, v0, v44 :: v_dual_cndmask_b32 v1, v1, v7
	s_delay_alu instid0(VALU_DEP_1) | instskip(NEXT) | instid1(VALU_DEP_2)
	v_mov_b32_dpp v2, v0 quad_perm:[1,0,3,2] row_mask:0xf bank_mask:0xf
	v_mov_b32_dpp v3, v1 quad_perm:[1,0,3,2] row_mask:0xf bank_mask:0xf
	s_delay_alu instid0(VALU_DEP_2) | instskip(NEXT) | instid1(VALU_DEP_2)
	v_cmp_lt_i32_e32 vcc_lo, v2, v0
	v_cmp_eq_f32_e64 s2, v1, v3
	v_cmp_lt_f32_e64 s3, v1, v3
	s_delay_alu instid0(VALU_DEP_2)
	s_and_b32 s2, s2, vcc_lo
	s_delay_alu instid0(VALU_DEP_1) | instid1(SALU_CYCLE_1)
	s_or_b32 vcc_lo, s3, s2
	v_dual_cndmask_b32 v1, v1, v3 :: v_dual_cndmask_b32 v0, v0, v2
	s_delay_alu instid0(VALU_DEP_1) | instskip(NEXT) | instid1(VALU_DEP_2)
	v_mov_b32_dpp v2, v1 quad_perm:[2,3,0,1] row_mask:0xf bank_mask:0xf
	v_mov_b32_dpp v3, v0 quad_perm:[2,3,0,1] row_mask:0xf bank_mask:0xf
	s_delay_alu instid0(VALU_DEP_2) | instskip(NEXT) | instid1(VALU_DEP_2)
	v_cmp_eq_f32_e32 vcc_lo, v1, v2
	v_cmp_lt_i32_e64 s2, v3, v0
	v_cmp_lt_f32_e64 s3, v1, v2
	s_delay_alu instid0(VALU_DEP_2)
	s_and_b32 s2, vcc_lo, s2
	s_delay_alu instid0(VALU_DEP_1) | instid1(SALU_CYCLE_1)
	s_or_b32 vcc_lo, s3, s2
	v_dual_cndmask_b32 v1, v1, v2 :: v_dual_cndmask_b32 v0, v0, v3
	s_delay_alu instid0(VALU_DEP_1) | instskip(NEXT) | instid1(VALU_DEP_2)
	v_mov_b32_dpp v3, v1 row_half_mirror row_mask:0xf bank_mask:0xf
	v_mov_b32_dpp v2, v0 row_half_mirror row_mask:0xf bank_mask:0xf
	s_delay_alu instid0(VALU_DEP_2) | instskip(NEXT) | instid1(VALU_DEP_2)
	v_cmp_eq_f32_e32 vcc_lo, v1, v3
	v_cmp_lt_i32_e64 s2, v2, v0
	v_cmp_lt_f32_e64 s3, v1, v3
	s_delay_alu instid0(VALU_DEP_2) | instskip(SKIP_1) | instid1(VALU_DEP_2)
	s_and_b32 s2, vcc_lo, s2
	v_cmp_eq_u32_e32 vcc_lo, 0, v9
	s_or_b32 s2, s3, s2
	s_waitcnt lgkmcnt(0)
	s_cmp_gt_i32 s4, 0
	v_cndmask_b32_e64 v14, v1, v3, s2
	s_cselect_b32 s3, -1, 0
	s_cmp_lt_i32 s4, 1
	s_cbranch_scc1 .LBB285_18
; %bb.7:
	s_load_b128 s[8:11], s[0:1], 0x20
	v_mul_lo_u32 v1, v8, s7
	v_mul_lo_u32 v3, v8, s14
	;; [unrolled: 1-line block ×3, first 2 shown]
	v_cndmask_b32_e64 v0, v0, v2, s2
	v_mov_b32_e32 v10, 0
	s_and_saveexec_b32 s2, vcc_lo
	s_cbranch_execz .LBB285_9
; %bb.8:
	v_sub_f32_e32 v10, v14, v14
	v_cmp_le_i32_e64 s0, s5, v0
	v_cmp_gt_i32_e64 s1, s6, v0
	v_subrev_nc_u32_e32 v51, s5, v0
	v_ashrrev_i32_e32 v6, 31, v5
	v_mul_f32_e32 v2, 0x3fb8aa3b, v10
	s_delay_alu instid0(VALU_DEP_4) | instskip(NEXT) | instid1(SALU_CYCLE_1)
	s_and_b32 s0, s0, s1
	s_and_b32 s0, s17, s0
	s_delay_alu instid0(VALU_DEP_1) | instskip(SKIP_2) | instid1(VALU_DEP_3)
	v_rndne_f32_e32 v47, v2
	v_fma_f32 v4, 0x3fb8aa3b, v10, -v2
	v_lshlrev_b64 v[49:50], 2, v[5:6]
	v_sub_f32_e32 v2, v2, v47
	s_delay_alu instid0(VALU_DEP_3) | instskip(NEXT) | instid1(VALU_DEP_1)
	v_fmamk_f32 v4, v10, 0x32a5705f, v4
	v_add_f32_e32 v4, v2, v4
	v_ashrrev_i32_e32 v2, 31, v1
	s_delay_alu instid0(VALU_DEP_2) | instskip(NEXT) | instid1(VALU_DEP_1)
	v_exp_f32_e32 v52, v4
	v_lshlrev_b64 v[45:46], 2, v[1:2]
	v_ashrrev_i32_e32 v4, 31, v3
	v_cvt_i32_f32_e32 v2, v47
	s_delay_alu instid0(VALU_DEP_2) | instskip(SKIP_2) | instid1(VALU_DEP_1)
	v_lshlrev_b64 v[47:48], 2, v[3:4]
	v_cndmask_b32_e64 v4, 0x80, v51, s0
	v_add_co_u32 v45, s0, s12, v45
	v_add_co_ci_u32_e64 v46, s0, s13, v46, s0
	s_delay_alu instid0(TRANS32_DEP_1) | instskip(SKIP_1) | instid1(VALU_DEP_1)
	v_ldexp_f32 v2, v52, v2
	v_cmp_ngt_f32_e64 s0, 0xc2ce8ed0, v10
	v_cndmask_b32_e64 v2, 0, v2, s0
	s_waitcnt lgkmcnt(0)
	v_add_co_u32 v47, s0, s8, v47
	s_delay_alu instid0(VALU_DEP_1) | instskip(SKIP_1) | instid1(VALU_DEP_1)
	v_add_co_ci_u32_e64 v48, s0, s9, v48, s0
	v_cmp_nlt_f32_e64 s0, 0x42b17218, v10
	v_cndmask_b32_e64 v10, 0x7f800000, v2, s0
	v_add_co_u32 v49, s0, s10, v49
	s_delay_alu instid0(VALU_DEP_1)
	v_add_co_ci_u32_e64 v50, s0, s11, v50, s0
	global_store_b32 v[47:48], v4, off
	global_store_b32 v[45:46], v10, off
	;; [unrolled: 1-line block ×3, first 2 shown]
.LBB285_9:
	s_or_b32 exec_lo, exec_lo, s2
	v_ashrrev_i32_e32 v4, 31, v0
	s_mov_b32 s1, exec_lo
	s_delay_alu instid0(VALU_DEP_1) | instskip(NEXT) | instid1(VALU_DEP_1)
	v_lshrrev_b32_e32 v2, 28, v4
	v_add_nc_u32_e32 v2, v0, v2
	s_delay_alu instid0(VALU_DEP_1) | instskip(NEXT) | instid1(VALU_DEP_1)
	v_ashrrev_i32_e32 v2, 4, v2
	v_lshrrev_b32_e32 v6, 29, v2
	s_delay_alu instid0(VALU_DEP_1) | instskip(NEXT) | instid1(VALU_DEP_1)
	v_add_nc_u32_e32 v6, v2, v6
	v_and_b32_e32 v6, -8, v6
	s_delay_alu instid0(VALU_DEP_1) | instskip(NEXT) | instid1(VALU_DEP_1)
	v_sub_nc_u32_e32 v6, v2, v6
	v_cmpx_eq_u32_e64 v9, v6
	s_cbranch_execz .LBB285_11
; %bb.10:
	v_lshrrev_b32_e32 v4, 25, v4
	v_lshlrev_b32_e32 v2, 4, v2
	s_delay_alu instid0(VALU_DEP_2) | instskip(NEXT) | instid1(VALU_DEP_2)
	v_add_nc_u32_e32 v4, v0, v4
	v_sub_nc_u32_e32 v0, v0, v2
	s_delay_alu instid0(VALU_DEP_2) | instskip(NEXT) | instid1(VALU_DEP_1)
	v_ashrrev_i32_e32 v2, 7, v4
	v_lshl_add_u32 v0, v2, 4, v0
	s_delay_alu instid0(VALU_DEP_1) | instskip(NEXT) | instid1(VALU_DEP_1)
	v_cmp_ne_u32_e64 s0, 15, v0
	v_cndmask_b32_e64 v7, 0xff800000, v7, s0
	v_cmp_ne_u32_e64 s0, 14, v0
	s_delay_alu instid0(VALU_DEP_1) | instskip(SKIP_1) | instid1(VALU_DEP_1)
	v_cndmask_b32_e64 v11, 0xff800000, v11, s0
	v_cmp_ne_u32_e64 s0, 13, v0
	v_cndmask_b32_e64 v12, 0xff800000, v12, s0
	v_cmp_ne_u32_e64 s0, 12, v0
	s_delay_alu instid0(VALU_DEP_1) | instskip(SKIP_1) | instid1(VALU_DEP_1)
	v_cndmask_b32_e64 v13, 0xff800000, v13, s0
	;; [unrolled: 5-line block ×7, first 2 shown]
	v_cmp_ne_u32_e64 s0, 1, v0
	v_cndmask_b32_e64 v23, 0xff800000, v23, s0
	v_cmp_ne_u32_e64 s0, 0, v0
	s_delay_alu instid0(VALU_DEP_1)
	v_cndmask_b32_e64 v25, 0xff800000, v25, s0
.LBB285_11:
	s_or_b32 exec_lo, exec_lo, s1
	s_cmp_eq_u32 s4, 1
	s_cbranch_scc1 .LBB285_18
; %bb.12:
	s_add_i32 s18, s18, s16
	v_add_nc_u32_e32 v0, 1, v5
	v_add3_u32 v6, s18, v43, v42
	v_add_nc_u32_e32 v2, 1, v3
	v_add_nc_u32_e32 v4, 1, v1
	s_add_i32 s14, s4, -1
	s_branch .LBB285_14
.LBB285_13:                             ;   in Loop: Header=BB285_14 Depth=1
	s_or_b32 exec_lo, exec_lo, s1
	v_add_nc_u32_e32 v6, s16, v6
	v_add_nc_u32_e32 v0, 1, v0
	v_add_nc_u32_e32 v2, 1, v2
	v_add_nc_u32_e32 v4, 1, v4
	s_add_i32 s14, s14, -1
	s_delay_alu instid0(SALU_CYCLE_1)
	s_cmp_eq_u32 s14, 0
	s_cbranch_scc1 .LBB285_18
.LBB285_14:                             ; =>This Inner Loop Header: Depth=1
	v_cmp_gt_f32_e64 s0, v23, v25
	s_delay_alu instid0(VALU_DEP_1) | instskip(SKIP_1) | instid1(VALU_DEP_2)
	v_cndmask_b32_e64 v3, v25, v23, s0
	v_cndmask_b32_e64 v1, v22, v28, s0
	v_cmp_gt_f32_e64 s0, v27, v3
	s_delay_alu instid0(VALU_DEP_1) | instskip(NEXT) | instid1(VALU_DEP_3)
	v_cndmask_b32_e64 v3, v3, v27, s0
	v_cndmask_b32_e64 v1, v1, v29, s0
	s_delay_alu instid0(VALU_DEP_2) | instskip(NEXT) | instid1(VALU_DEP_1)
	v_cmp_gt_f32_e64 s0, v26, v3
	v_cndmask_b32_e64 v3, v3, v26, s0
	s_delay_alu instid0(VALU_DEP_3) | instskip(NEXT) | instid1(VALU_DEP_2)
	v_cndmask_b32_e64 v1, v1, v30, s0
	v_cmp_gt_f32_e64 s0, v24, v3
	s_delay_alu instid0(VALU_DEP_1) | instskip(NEXT) | instid1(VALU_DEP_3)
	v_cndmask_b32_e64 v3, v3, v24, s0
	v_cndmask_b32_e64 v1, v1, v31, s0
	s_delay_alu instid0(VALU_DEP_2) | instskip(NEXT) | instid1(VALU_DEP_1)
	v_cmp_gt_f32_e64 s0, v21, v3
	v_cndmask_b32_e64 v3, v3, v21, s0
	s_delay_alu instid0(VALU_DEP_3) | instskip(NEXT) | instid1(VALU_DEP_2)
	;; [unrolled: 9-line block ×6, first 2 shown]
	v_cndmask_b32_e64 v1, v1, v40, s0
	v_cmp_gt_f32_e64 s0, v11, v3
	s_delay_alu instid0(VALU_DEP_1) | instskip(NEXT) | instid1(VALU_DEP_3)
	v_cndmask_b32_e64 v3, v3, v11, s0
	v_cndmask_b32_e64 v1, v1, v41, s0
	s_delay_alu instid0(VALU_DEP_2) | instskip(NEXT) | instid1(VALU_DEP_1)
	v_cmp_gt_f32_e64 s0, v7, v3
	v_cndmask_b32_e64 v1, v1, v44, s0
	v_cndmask_b32_e64 v3, v3, v7, s0
	s_delay_alu instid0(VALU_DEP_2) | instskip(NEXT) | instid1(VALU_DEP_2)
	v_mov_b32_dpp v5, v1 quad_perm:[1,0,3,2] row_mask:0xf bank_mask:0xf
	v_mov_b32_dpp v42, v3 quad_perm:[1,0,3,2] row_mask:0xf bank_mask:0xf
	s_delay_alu instid0(VALU_DEP_2) | instskip(NEXT) | instid1(VALU_DEP_2)
	v_cmp_lt_i32_e64 s0, v5, v1
	v_cmp_eq_f32_e64 s1, v3, v42
	v_cmp_lt_f32_e64 s2, v3, v42
	s_delay_alu instid0(VALU_DEP_2)
	s_and_b32 s0, s1, s0
	s_delay_alu instid0(VALU_DEP_1) | instid1(SALU_CYCLE_1)
	s_or_b32 s0, s2, s0
	s_delay_alu instid0(SALU_CYCLE_1) | instskip(SKIP_1) | instid1(VALU_DEP_2)
	v_cndmask_b32_e64 v3, v3, v42, s0
	v_cndmask_b32_e64 v5, v1, v5, s0
	v_mov_b32_dpp v1, v3 quad_perm:[2,3,0,1] row_mask:0xf bank_mask:0xf
	s_delay_alu instid0(VALU_DEP_2) | instskip(NEXT) | instid1(VALU_DEP_2)
	v_mov_b32_dpp v42, v5 quad_perm:[2,3,0,1] row_mask:0xf bank_mask:0xf
	v_cmp_eq_f32_e64 s0, v3, v1
	s_delay_alu instid0(VALU_DEP_2) | instskip(SKIP_1) | instid1(VALU_DEP_2)
	v_cmp_lt_i32_e64 s1, v42, v5
	v_cmp_lt_f32_e64 s2, v3, v1
	s_and_b32 s0, s0, s1
	s_delay_alu instid0(VALU_DEP_1) | instid1(SALU_CYCLE_1)
	s_or_b32 s0, s2, s0
	s_delay_alu instid0(SALU_CYCLE_1) | instskip(SKIP_1) | instid1(VALU_DEP_2)
	v_cndmask_b32_e64 v1, v3, v1, s0
	v_cndmask_b32_e64 v5, v5, v42, s0
	v_mov_b32_dpp v3, v1 row_half_mirror row_mask:0xf bank_mask:0xf
	s_delay_alu instid0(VALU_DEP_2) | instskip(NEXT) | instid1(VALU_DEP_2)
	v_mov_b32_dpp v42, v5 row_half_mirror row_mask:0xf bank_mask:0xf
	v_cmp_eq_f32_e64 s0, v1, v3
	s_delay_alu instid0(VALU_DEP_2) | instskip(SKIP_1) | instid1(VALU_DEP_2)
	v_cmp_lt_i32_e64 s1, v42, v5
	v_cmp_lt_f32_e64 s2, v1, v3
	s_and_b32 s0, s0, s1
	s_delay_alu instid0(VALU_DEP_1) | instid1(SALU_CYCLE_1)
	s_or_b32 s0, s2, s0
	s_delay_alu instid0(SALU_CYCLE_1)
	v_cndmask_b32_e64 v42, v5, v42, s0
	s_and_saveexec_b32 s2, vcc_lo
	s_cbranch_execz .LBB285_16
; %bb.15:                               ;   in Loop: Header=BB285_14 Depth=1
	v_cndmask_b32_e64 v1, v1, v3, s0
	s_delay_alu instid0(VALU_DEP_2) | instskip(SKIP_4) | instid1(VALU_DEP_4)
	v_cmp_le_i32_e64 s0, s5, v42
	v_cmp_gt_i32_e64 s1, s6, v42
	v_ashrrev_i32_e32 v5, 31, v4
	v_subrev_nc_u32_e32 v51, s5, v42
	v_sub_f32_e32 v43, v1, v14
	s_and_b32 s0, s0, s1
	s_delay_alu instid0(SALU_CYCLE_1) | instskip(NEXT) | instid1(VALU_DEP_1)
	s_and_b32 s0, s17, s0
	v_mul_f32_e32 v1, 0x3fb8aa3b, v43
	s_delay_alu instid0(VALU_DEP_1) | instskip(SKIP_1) | instid1(VALU_DEP_2)
	v_fma_f32 v3, 0x3fb8aa3b, v43, -v1
	v_rndne_f32_e32 v45, v1
	v_fmac_f32_e32 v3, 0x32a5705f, v43
	s_delay_alu instid0(VALU_DEP_2) | instskip(SKIP_2) | instid1(VALU_DEP_3)
	v_sub_f32_e32 v1, v1, v45
	v_cvt_i32_f32_e32 v50, v45
	v_lshlrev_b64 v[45:46], 2, v[4:5]
	v_add_f32_e32 v1, v1, v3
	v_ashrrev_i32_e32 v3, 31, v2
	s_delay_alu instid0(VALU_DEP_2) | instskip(SKIP_1) | instid1(VALU_DEP_2)
	v_exp_f32_e32 v49, v1
	v_ashrrev_i32_e32 v1, 31, v0
	v_lshlrev_b64 v[47:48], 2, v[2:3]
	s_waitcnt_depctr 0xfff
	v_ldexp_f32 v3, v49, v50
	v_lshlrev_b64 v[49:50], 2, v[0:1]
	v_cndmask_b32_e64 v1, 0x80, v51, s0
	v_cmp_ngt_f32_e64 s0, 0xc2ce8ed0, v43
	s_delay_alu instid0(VALU_DEP_1) | instskip(SKIP_1) | instid1(VALU_DEP_1)
	v_cndmask_b32_e64 v3, 0, v3, s0
	v_add_co_u32 v45, s0, s12, v45
	v_add_co_ci_u32_e64 v46, s0, s13, v46, s0
	v_cmp_nlt_f32_e64 s0, 0x42b17218, v43
	s_delay_alu instid0(VALU_DEP_1) | instskip(SKIP_2) | instid1(VALU_DEP_1)
	v_cndmask_b32_e64 v3, 0x7f800000, v3, s0
	s_waitcnt lgkmcnt(0)
	v_add_co_u32 v47, s0, s8, v47
	v_add_co_ci_u32_e64 v48, s0, s9, v48, s0
	s_delay_alu instid0(VALU_DEP_3) | instskip(SKIP_1) | instid1(VALU_DEP_1)
	v_add_f32_e32 v10, v10, v3
	v_add_co_u32 v49, s0, s10, v49
	v_add_co_ci_u32_e64 v50, s0, s11, v50, s0
	global_store_b32 v[45:46], v3, off
	global_store_b32 v[47:48], v1, off
	;; [unrolled: 1-line block ×3, first 2 shown]
.LBB285_16:                             ;   in Loop: Header=BB285_14 Depth=1
	s_or_b32 exec_lo, exec_lo, s2
	s_delay_alu instid0(VALU_DEP_1) | instskip(SKIP_1) | instid1(VALU_DEP_1)
	v_ashrrev_i32_e32 v3, 31, v42
	s_mov_b32 s1, exec_lo
	v_lshrrev_b32_e32 v1, 28, v3
	s_delay_alu instid0(VALU_DEP_1) | instskip(NEXT) | instid1(VALU_DEP_1)
	v_add_nc_u32_e32 v1, v42, v1
	v_ashrrev_i32_e32 v1, 4, v1
	s_delay_alu instid0(VALU_DEP_1) | instskip(NEXT) | instid1(VALU_DEP_1)
	v_lshrrev_b32_e32 v5, 29, v1
	v_add_nc_u32_e32 v5, v1, v5
	s_delay_alu instid0(VALU_DEP_1) | instskip(NEXT) | instid1(VALU_DEP_1)
	v_and_b32_e32 v5, -8, v5
	v_sub_nc_u32_e32 v5, v1, v5
	s_delay_alu instid0(VALU_DEP_1)
	v_cmpx_eq_u32_e64 v9, v5
	s_cbranch_execz .LBB285_13
; %bb.17:                               ;   in Loop: Header=BB285_14 Depth=1
	v_lshrrev_b32_e32 v3, 25, v3
	v_lshlrev_b32_e32 v1, 4, v1
	s_delay_alu instid0(VALU_DEP_2) | instskip(NEXT) | instid1(VALU_DEP_2)
	v_add_nc_u32_e32 v3, v42, v3
	v_sub_nc_u32_e32 v1, v42, v1
	s_delay_alu instid0(VALU_DEP_2) | instskip(NEXT) | instid1(VALU_DEP_1)
	v_ashrrev_i32_e32 v3, 7, v3
	v_lshl_add_u32 v1, v3, 4, v1
	s_delay_alu instid0(VALU_DEP_1) | instskip(NEXT) | instid1(VALU_DEP_1)
	v_cmp_ne_u32_e64 s0, 15, v1
	v_cndmask_b32_e64 v7, 0xff800000, v7, s0
	v_cmp_ne_u32_e64 s0, 14, v1
	s_delay_alu instid0(VALU_DEP_1) | instskip(SKIP_1) | instid1(VALU_DEP_1)
	v_cndmask_b32_e64 v11, 0xff800000, v11, s0
	v_cmp_ne_u32_e64 s0, 13, v1
	v_cndmask_b32_e64 v12, 0xff800000, v12, s0
	v_cmp_ne_u32_e64 s0, 12, v1
	s_delay_alu instid0(VALU_DEP_1) | instskip(SKIP_1) | instid1(VALU_DEP_1)
	v_cndmask_b32_e64 v13, 0xff800000, v13, s0
	;; [unrolled: 5-line block ×7, first 2 shown]
	v_cmp_ne_u32_e64 s0, 1, v1
	v_cndmask_b32_e64 v23, 0xff800000, v23, s0
	v_cmp_ne_u32_e64 s0, 0, v1
	s_delay_alu instid0(VALU_DEP_1)
	v_cndmask_b32_e64 v25, 0xff800000, v25, s0
	s_branch .LBB285_13
.LBB285_18:
	s_delay_alu instid0(VALU_DEP_1)
	v_sub_f32_e32 v3, v27, v14
	v_sub_f32_e32 v5, v26, v14
	;; [unrolled: 1-line block ×6, first 2 shown]
	v_mul_f32_e32 v27, 0x3fb8aa3b, v5
	v_dual_sub_f32 v1, v23, v14 :: v_dual_mul_f32 v2, 0x3fb8aa3b, v0
	v_cmp_ngt_f32_e32 vcc_lo, 0xc2ce8ed0, v0
	v_sub_f32_e32 v19, v19, v14
	s_delay_alu instid0(VALU_DEP_4) | instskip(NEXT) | instid1(VALU_DEP_4)
	v_rndne_f32_e32 v30, v27
	v_mul_f32_e32 v4, 0x3fb8aa3b, v1
	v_fma_f32 v22, 0x3fb8aa3b, v0, -v2
	v_rndne_f32_e32 v23, v2
	v_mul_f32_e32 v26, 0x3fb8aa3b, v3
	v_fma_f32 v29, 0x3fb8aa3b, v5, -v27
	v_sub_f32_e32 v6, v24, v14
	v_fma_f32 v24, 0x3fb8aa3b, v1, -v4
	v_rndne_f32_e32 v25, v4
	s_delay_alu instid0(VALU_DEP_4) | instskip(SKIP_1) | instid1(VALU_DEP_4)
	v_dual_fmac_f32 v22, 0x32a5705f, v0 :: v_dual_fmac_f32 v29, 0x32a5705f, v5
	v_sub_f32_e32 v2, v2, v23
	v_fmac_f32_e32 v24, 0x32a5705f, v1
	s_delay_alu instid0(VALU_DEP_4)
	v_sub_f32_e32 v4, v4, v25
	v_cvt_i32_f32_e32 v23, v23
	v_cvt_i32_f32_e32 v25, v25
	v_add_f32_e32 v2, v2, v22
	v_fma_f32 v22, 0x3fb8aa3b, v3, -v26
	v_add_f32_e32 v4, v4, v24
	v_rndne_f32_e32 v24, v26
	v_sub_f32_e32 v15, v15, v14
	v_exp_f32_e32 v2, v2
	v_fmac_f32_e32 v22, 0x32a5705f, v3
	v_exp_f32_e32 v4, v4
	v_sub_f32_e32 v26, v26, v24
	v_cvt_i32_f32_e32 v24, v24
	v_sub_f32_e32 v11, v11, v14
	s_delay_alu instid0(VALU_DEP_3) | instskip(NEXT) | instid1(TRANS32_DEP_2)
	v_add_f32_e32 v22, v26, v22
	v_ldexp_f32 v2, v2, v23
	v_sub_f32_e32 v23, v27, v30
	s_delay_alu instid0(TRANS32_DEP_1) | instskip(NEXT) | instid1(VALU_DEP_4)
	v_ldexp_f32 v4, v4, v25
	v_exp_f32_e32 v22, v22
	s_delay_alu instid0(VALU_DEP_3) | instskip(SKIP_1) | instid1(VALU_DEP_3)
	v_cndmask_b32_e32 v2, 0, v2, vcc_lo
	v_cmp_ngt_f32_e32 vcc_lo, 0xc2ce8ed0, v1
	v_dual_add_f32 v23, v23, v29 :: v_dual_cndmask_b32 v4, 0, v4
	v_cmp_nlt_f32_e32 vcc_lo, 0x42b17218, v0
	s_delay_alu instid0(VALU_DEP_2) | instskip(SKIP_3) | instid1(TRANS32_DEP_2)
	v_exp_f32_e32 v23, v23
	v_cndmask_b32_e32 v0, 0x7f800000, v2, vcc_lo
	v_cmp_nlt_f32_e32 vcc_lo, 0x42b17218, v1
	v_cndmask_b32_e32 v1, 0x7f800000, v4, vcc_lo
	v_ldexp_f32 v4, v22, v24
	v_cmp_ngt_f32_e32 vcc_lo, 0xc2ce8ed0, v3
	s_delay_alu instid0(VALU_DEP_2)
	v_dual_add_f32 v0, v0, v1 :: v_dual_cndmask_b32 v1, 0, v4
	v_cvt_i32_f32_e32 v4, v30
	v_cmp_nlt_f32_e32 vcc_lo, 0x42b17218, v3
	s_delay_alu instid0(TRANS32_DEP_1) | instid1(VALU_DEP_2)
	v_ldexp_f32 v3, v23, v4
	s_delay_alu instid0(VALU_DEP_4) | instskip(SKIP_3) | instid1(VALU_DEP_4)
	v_cndmask_b32_e32 v1, 0x7f800000, v1, vcc_lo
	v_cmp_ngt_f32_e32 vcc_lo, 0xc2ce8ed0, v5
	v_mul_f32_e32 v28, 0x3fb8aa3b, v6
	v_mul_f32_e32 v4, 0x3fb8aa3b, v21
	v_dual_add_f32 v0, v0, v1 :: v_dual_cndmask_b32 v1, 0, v3
	s_delay_alu instid0(VALU_DEP_3) | instskip(SKIP_1) | instid1(VALU_DEP_4)
	v_fma_f32 v2, 0x3fb8aa3b, v6, -v28
	v_rndne_f32_e32 v22, v28
	v_fma_f32 v3, 0x3fb8aa3b, v21, -v4
	v_rndne_f32_e32 v23, v4
	v_cmp_nlt_f32_e32 vcc_lo, 0x42b17218, v5
	v_fmac_f32_e32 v2, 0x32a5705f, v6
	v_sub_f32_e32 v24, v28, v22
	v_cvt_i32_f32_e32 v5, v22
	v_fmac_f32_e32 v3, 0x32a5705f, v21
	v_dual_cndmask_b32 v1, 0x7f800000, v1 :: v_dual_sub_f32 v4, v4, v23
	s_delay_alu instid0(VALU_DEP_4) | instskip(SKIP_1) | instid1(VALU_DEP_3)
	v_add_f32_e32 v2, v24, v2
	v_cmp_ngt_f32_e32 vcc_lo, 0xc2ce8ed0, v6
	v_add_f32_e32 v0, v0, v1
	s_delay_alu instid0(VALU_DEP_3) | instskip(SKIP_2) | instid1(VALU_DEP_1)
	v_exp_f32_e32 v2, v2
	s_waitcnt_depctr 0xfff
	v_ldexp_f32 v1, v2, v5
	v_dual_add_f32 v2, v4, v3 :: v_dual_cndmask_b32 v1, 0, v1
	s_delay_alu instid0(VALU_DEP_1) | instskip(SKIP_2) | instid1(VALU_DEP_3)
	v_exp_f32_e32 v2, v2
	v_cmp_nlt_f32_e32 vcc_lo, 0x42b17218, v6
	v_cvt_i32_f32_e32 v6, v23
	v_cndmask_b32_e32 v1, 0x7f800000, v1, vcc_lo
	v_cmp_ngt_f32_e32 vcc_lo, 0xc2ce8ed0, v21
	s_delay_alu instid0(VALU_DEP_2) | instskip(SKIP_2) | instid1(VALU_DEP_1)
	v_add_f32_e32 v0, v0, v1
	s_waitcnt_depctr 0xfff
	v_ldexp_f32 v1, v2, v6
	v_cndmask_b32_e32 v1, 0, v1, vcc_lo
	v_cmp_nlt_f32_e32 vcc_lo, 0x42b17218, v21
	v_mul_f32_e32 v21, 0x3fb8aa3b, v15
	s_delay_alu instid0(VALU_DEP_3) | instskip(SKIP_2) | instid1(VALU_DEP_3)
	v_cndmask_b32_e32 v1, 0x7f800000, v1, vcc_lo
	v_mul_f32_e32 v22, 0x3fb8aa3b, v20
	v_cmp_ngt_f32_e32 vcc_lo, 0xc2ce8ed0, v20
	v_add_f32_e32 v0, v0, v1
	s_delay_alu instid0(VALU_DEP_3) | instskip(SKIP_1) | instid1(VALU_DEP_2)
	v_fma_f32 v3, 0x3fb8aa3b, v20, -v22
	v_rndne_f32_e32 v4, v22
	v_fmac_f32_e32 v3, 0x32a5705f, v20
	s_delay_alu instid0(VALU_DEP_2) | instskip(SKIP_1) | instid1(VALU_DEP_2)
	v_sub_f32_e32 v5, v22, v4
	v_cvt_i32_f32_e32 v4, v4
	v_add_f32_e32 v3, v5, v3
	v_mul_f32_e32 v5, 0x3fb8aa3b, v19
	s_delay_alu instid0(VALU_DEP_2) | instskip(NEXT) | instid1(VALU_DEP_1)
	v_exp_f32_e32 v2, v3
	v_fma_f32 v3, 0x3fb8aa3b, v19, -v5
	v_rndne_f32_e32 v6, v5
	s_delay_alu instid0(VALU_DEP_2) | instskip(NEXT) | instid1(VALU_DEP_2)
	v_fmac_f32_e32 v3, 0x32a5705f, v19
	v_sub_f32_e32 v5, v5, v6
	v_cvt_i32_f32_e32 v6, v6
	s_waitcnt_depctr 0xfff
	v_ldexp_f32 v2, v2, v4
	v_add_f32_e32 v3, v5, v3
	v_sub_f32_e32 v5, v17, v14
	v_sub_f32_e32 v16, v16, v14
	s_delay_alu instid0(VALU_DEP_4)
	v_cndmask_b32_e32 v1, 0, v2, vcc_lo
	v_cmp_nlt_f32_e32 vcc_lo, 0x42b17218, v20
	v_sub_f32_e32 v4, v18, v14
	v_exp_f32_e32 v2, v3
	v_mul_f32_e32 v20, 0x3fb8aa3b, v5
	v_cndmask_b32_e32 v1, 0x7f800000, v1, vcc_lo
	s_delay_alu instid0(VALU_DEP_3) | instskip(SKIP_1) | instid1(VALU_DEP_3)
	v_mul_f32_e32 v3, 0x3fb8aa3b, v4
	v_cmp_ngt_f32_e32 vcc_lo, 0xc2ce8ed0, v19
	v_add_f32_e32 v0, v0, v1
	s_delay_alu instid0(VALU_DEP_3) | instskip(SKIP_1) | instid1(TRANS32_DEP_1)
	v_fma_f32 v17, 0x3fb8aa3b, v4, -v3
	v_rndne_f32_e32 v18, v3
	v_ldexp_f32 v1, v2, v6
	v_rndne_f32_e32 v6, v20
	s_delay_alu instid0(VALU_DEP_3) | instskip(NEXT) | instid1(VALU_DEP_3)
	v_dual_fmac_f32 v17, 0x32a5705f, v4 :: v_dual_sub_f32 v2, v3, v18
	v_cndmask_b32_e32 v1, 0, v1, vcc_lo
	v_fma_f32 v3, 0x3fb8aa3b, v5, -v20
	v_cmp_nlt_f32_e32 vcc_lo, 0x42b17218, v19
	v_cvt_i32_f32_e32 v18, v18
	v_dual_add_f32 v2, v2, v17 :: v_dual_sub_f32 v17, v20, v6
	s_delay_alu instid0(VALU_DEP_4) | instskip(SKIP_1) | instid1(VALU_DEP_3)
	v_fmac_f32_e32 v3, 0x32a5705f, v5
	v_mul_f32_e32 v20, 0x3fb8aa3b, v16
	v_exp_f32_e32 v2, v2
	s_delay_alu instid0(VALU_DEP_2) | instskip(NEXT) | instid1(VALU_DEP_2)
	v_add_f32_e32 v3, v17, v3
	v_fma_f32 v17, 0x3fb8aa3b, v16, -v20
	v_rndne_f32_e32 v19, v20
	v_cndmask_b32_e32 v1, 0x7f800000, v1, vcc_lo
	v_cmp_ngt_f32_e32 vcc_lo, 0xc2ce8ed0, v4
	v_exp_f32_e32 v3, v3
	s_delay_alu instid0(VALU_DEP_3) | instskip(NEXT) | instid1(VALU_DEP_3)
	v_dual_fmac_f32 v17, 0x32a5705f, v16 :: v_dual_sub_f32 v20, v20, v19
	v_add_f32_e32 v0, v0, v1
	s_delay_alu instid0(TRANS32_DEP_2)
	v_ldexp_f32 v1, v2, v18
	v_cvt_i32_f32_e32 v2, v6
	v_rndne_f32_e32 v18, v21
	v_add_f32_e32 v6, v20, v17
	v_fma_f32 v17, 0x3fb8aa3b, v15, -v21
	v_cndmask_b32_e32 v1, 0, v1, vcc_lo
	s_delay_alu instid0(TRANS32_DEP_1)
	v_ldexp_f32 v2, v3, v2
	v_cmp_nlt_f32_e32 vcc_lo, 0x42b17218, v4
	v_exp_f32_e32 v3, v6
	v_sub_f32_e32 v6, v21, v18
	v_cvt_i32_f32_e32 v4, v19
	v_fmac_f32_e32 v17, 0x32a5705f, v15
	v_cndmask_b32_e32 v1, 0x7f800000, v1, vcc_lo
	v_cmp_ngt_f32_e32 vcc_lo, 0xc2ce8ed0, v5
	s_delay_alu instid0(VALU_DEP_2) | instskip(NEXT) | instid1(TRANS32_DEP_1)
	v_add_f32_e32 v0, v0, v1
	v_ldexp_f32 v1, v3, v4
	v_cndmask_b32_e32 v2, 0, v2, vcc_lo
	v_cmp_nlt_f32_e32 vcc_lo, 0x42b17218, v5
	v_dual_sub_f32 v4, v13, v14 :: v_dual_mul_f32 v13, 0x3fb8aa3b, v11
	s_delay_alu instid0(VALU_DEP_3) | instskip(SKIP_1) | instid1(VALU_DEP_3)
	v_cndmask_b32_e32 v2, 0x7f800000, v2, vcc_lo
	v_cmp_ngt_f32_e32 vcc_lo, 0xc2ce8ed0, v16
	v_mul_f32_e32 v5, 0x3fb8aa3b, v4
	v_cndmask_b32_e32 v1, 0, v1, vcc_lo
	v_cmp_nlt_f32_e32 vcc_lo, 0x42b17218, v16
	v_add_f32_e32 v0, v0, v2
	v_cvt_i32_f32_e32 v2, v18
	s_delay_alu instid0(VALU_DEP_4) | instskip(SKIP_1) | instid1(VALU_DEP_2)
	v_cndmask_b32_e32 v1, 0x7f800000, v1, vcc_lo
	v_cmp_ngt_f32_e32 vcc_lo, 0xc2ce8ed0, v15
	v_add_f32_e32 v0, v0, v1
	v_fma_f32 v1, 0x3fb8aa3b, v4, -v5
	s_delay_alu instid0(VALU_DEP_1) | instskip(NEXT) | instid1(VALU_DEP_1)
	v_dual_add_f32 v6, v6, v17 :: v_dual_fmac_f32 v1, 0x32a5705f, v4
	v_exp_f32_e32 v3, v6
	v_sub_f32_e32 v6, v12, v14
	v_fma_f32 v14, 0x3fb8aa3b, v11, -v13
	s_delay_alu instid0(VALU_DEP_1) | instskip(SKIP_3) | instid1(VALU_DEP_1)
	v_fmac_f32_e32 v14, 0x32a5705f, v11
	s_waitcnt_depctr 0xfff
	v_ldexp_f32 v2, v3, v2
	v_rndne_f32_e32 v3, v5
	v_dual_cndmask_b32 v2, 0, v2 :: v_dual_sub_f32 v5, v5, v3
	v_cmp_nlt_f32_e32 vcc_lo, 0x42b17218, v15
	v_cvt_i32_f32_e32 v3, v3
	v_rndne_f32_e32 v15, v13
	s_delay_alu instid0(VALU_DEP_4) | instskip(SKIP_1) | instid1(VALU_DEP_2)
	v_dual_add_f32 v1, v5, v1 :: v_dual_cndmask_b32 v2, 0x7f800000, v2
	v_cmp_ngt_f32_e32 vcc_lo, 0xc2ce8ed0, v4
	v_exp_f32_e32 v1, v1
	s_waitcnt_depctr 0xfff
	v_ldexp_f32 v1, v1, v3
	s_delay_alu instid0(VALU_DEP_1) | instskip(NEXT) | instid1(VALU_DEP_1)
	v_dual_mul_f32 v12, 0x3fb8aa3b, v6 :: v_dual_cndmask_b32 v1, 0, v1
	v_rndne_f32_e32 v5, v12
	v_cmp_nlt_f32_e32 vcc_lo, 0x42b17218, v4
	v_add_f32_e32 v0, v0, v2
	v_fma_f32 v2, 0x3fb8aa3b, v6, -v12
	v_cvt_i32_f32_e32 v4, v15
	v_sub_f32_e32 v12, v12, v5
	v_cndmask_b32_e32 v1, 0x7f800000, v1, vcc_lo
	v_cvt_i32_f32_e32 v5, v5
	v_fmac_f32_e32 v2, 0x32a5705f, v6
	s_delay_alu instid0(VALU_DEP_3) | instskip(NEXT) | instid1(VALU_DEP_2)
	v_add_f32_e32 v0, v0, v1
	v_add_f32_e32 v2, v12, v2
	v_sub_f32_e32 v12, v13, v15
	v_mul_f32_e32 v16, 0x3fb8aa3b, v7
	s_delay_alu instid0(VALU_DEP_3) | instskip(NEXT) | instid1(VALU_DEP_2)
	v_exp_f32_e32 v2, v2
	v_add_f32_e32 v3, v12, v14
	s_delay_alu instid0(VALU_DEP_2) | instskip(SKIP_1) | instid1(VALU_DEP_3)
	v_fma_f32 v13, 0x3fb8aa3b, v7, -v16
	v_rndne_f32_e32 v17, v16
	v_exp_f32_e32 v3, v3
	s_delay_alu instid0(VALU_DEP_1) | instskip(SKIP_1) | instid1(TRANS32_DEP_2)
	v_dual_fmac_f32 v13, 0x32a5705f, v7 :: v_dual_sub_f32 v12, v16, v17
	v_cmp_ngt_f32_e32 vcc_lo, 0xc2ce8ed0, v6
	v_ldexp_f32 v2, v2, v5
	s_delay_alu instid0(VALU_DEP_3) | instskip(NEXT) | instid1(VALU_DEP_2)
	v_add_f32_e32 v12, v12, v13
	v_cndmask_b32_e32 v2, 0, v2, vcc_lo
	v_cmp_nlt_f32_e32 vcc_lo, 0x42b17218, v6
	s_delay_alu instid0(TRANS32_DEP_1) | instskip(NEXT) | instid1(VALU_DEP_4)
	v_ldexp_f32 v1, v3, v4
	v_exp_f32_e32 v5, v12
	v_cvt_i32_f32_e32 v3, v17
	v_cndmask_b32_e32 v2, 0x7f800000, v2, vcc_lo
	v_cmp_ngt_f32_e32 vcc_lo, 0xc2ce8ed0, v11
	s_delay_alu instid0(VALU_DEP_2)
	v_dual_add_f32 v0, v0, v2 :: v_dual_cndmask_b32 v1, 0, v1
	v_cmp_nlt_f32_e32 vcc_lo, 0x42b17218, v11
	s_waitcnt_depctr 0xfff
	v_ldexp_f32 v3, v5, v3
	v_cndmask_b32_e32 v1, 0x7f800000, v1, vcc_lo
	v_cmp_ngt_f32_e32 vcc_lo, 0xc2ce8ed0, v7
	s_delay_alu instid0(VALU_DEP_2) | instskip(NEXT) | instid1(VALU_DEP_4)
	v_add_f32_e32 v0, v0, v1
	v_cndmask_b32_e32 v2, 0, v3, vcc_lo
	v_cmp_nlt_f32_e32 vcc_lo, 0x42b17218, v7
	s_delay_alu instid0(VALU_DEP_2) | instskip(SKIP_1) | instid1(VALU_DEP_2)
	v_cndmask_b32_e32 v1, 0x7f800000, v2, vcc_lo
	v_cmp_eq_u32_e32 vcc_lo, 0, v9
	v_add_f32_e32 v0, v0, v1
	s_delay_alu instid0(VALU_DEP_1) | instskip(NEXT) | instid1(VALU_DEP_1)
	v_mov_b32_dpp v1, v0 quad_perm:[1,0,3,2] row_mask:0xf bank_mask:0xf
	v_add_f32_e32 v0, v0, v1
	s_delay_alu instid0(VALU_DEP_1) | instskip(NEXT) | instid1(VALU_DEP_1)
	v_mov_b32_dpp v1, v0 quad_perm:[2,3,0,1] row_mask:0xf bank_mask:0xf
	v_add_f32_e32 v0, v0, v1
	s_delay_alu instid0(VALU_DEP_1)
	v_mov_b32_dpp v1, v0 row_half_mirror row_mask:0xf bank_mask:0xf
	s_and_b32 exec_lo, exec_lo, vcc_lo
	s_cbranch_execz .LBB285_23
; %bb.19:
	s_delay_alu instid0(VALU_DEP_1) | instskip(NEXT) | instid1(VALU_DEP_1)
	v_add_f32_e32 v0, v0, v1
	v_add_f32_e32 v0, v10, v0
	s_delay_alu instid0(VALU_DEP_1)
	v_cmp_neq_f32_e32 vcc_lo, 0, v0
	s_and_b32 exec_lo, exec_lo, vcc_lo
	s_cbranch_execz .LBB285_23
; %bb.20:
	s_and_not1_b32 vcc_lo, exec_lo, s3
	s_cbranch_vccnz .LBB285_23
; %bb.21:
	v_div_scale_f32 v2, null, v0, v0, 1.0
	v_div_scale_f32 v4, vcc_lo, 1.0, v0, 1.0
	s_delay_alu instid0(VALU_DEP_2) | instskip(SKIP_2) | instid1(VALU_DEP_1)
	v_rcp_f32_e32 v3, v2
	s_waitcnt_depctr 0xfff
	v_fma_f32 v1, -v2, v3, 1.0
	v_fmac_f32_e32 v3, v1, v3
	v_mul_lo_u32 v1, v8, s7
	s_delay_alu instid0(VALU_DEP_2) | instskip(NEXT) | instid1(VALU_DEP_1)
	v_mul_f32_e32 v5, v4, v3
	v_fma_f32 v6, -v2, v5, v4
	s_delay_alu instid0(VALU_DEP_1) | instskip(NEXT) | instid1(VALU_DEP_1)
	v_fmac_f32_e32 v5, v6, v3
	v_fma_f32 v4, -v2, v5, v4
	v_ashrrev_i32_e32 v2, 31, v1
	s_delay_alu instid0(VALU_DEP_2) | instskip(NEXT) | instid1(VALU_DEP_2)
	v_div_fmas_f32 v5, v4, v3, v5
	v_lshlrev_b64 v[3:4], 2, v[1:2]
	s_delay_alu instid0(VALU_DEP_2) | instskip(NEXT) | instid1(VALU_DEP_2)
	v_div_fixup_f32 v2, v5, v0, 1.0
	v_add_co_u32 v0, vcc_lo, s12, v3
	s_delay_alu instid0(VALU_DEP_3)
	v_add_co_ci_u32_e32 v1, vcc_lo, s13, v4, vcc_lo
.LBB285_22:                             ; =>This Inner Loop Header: Depth=1
	global_load_b32 v3, v[0:1], off
	s_add_i32 s4, s4, -1
	s_delay_alu instid0(SALU_CYCLE_1)
	s_cmp_lg_u32 s4, 0
	s_waitcnt vmcnt(0)
	v_mul_f32_e32 v3, v2, v3
	global_store_b32 v[0:1], v3, off
	v_add_co_u32 v0, vcc_lo, v0, 4
	v_add_co_ci_u32_e32 v1, vcc_lo, 0, v1, vcc_lo
	s_cbranch_scc1 .LBB285_22
.LBB285_23:
	s_nop 0
	s_sendmsg sendmsg(MSG_DEALLOC_VGPRS)
	s_endpgm
	.section	.rodata,"a",@progbits
	.p2align	6, 0x0
	.amdhsa_kernel _ZN4vllm3moe17topkGatingSoftmaxItLi16ELi128ELi8ELi32ELb0ELi4ELNS0_23SharedExpertScoringFuncE1EEEvPKT_PKbPfiPiS9_iiiiii
		.amdhsa_group_segment_fixed_size 0
		.amdhsa_private_segment_fixed_size 0
		.amdhsa_kernarg_size 72
		.amdhsa_user_sgpr_count 15
		.amdhsa_user_sgpr_dispatch_ptr 0
		.amdhsa_user_sgpr_queue_ptr 0
		.amdhsa_user_sgpr_kernarg_segment_ptr 1
		.amdhsa_user_sgpr_dispatch_id 0
		.amdhsa_user_sgpr_private_segment_size 0
		.amdhsa_wavefront_size32 1
		.amdhsa_uses_dynamic_stack 0
		.amdhsa_enable_private_segment 0
		.amdhsa_system_sgpr_workgroup_id_x 1
		.amdhsa_system_sgpr_workgroup_id_y 0
		.amdhsa_system_sgpr_workgroup_id_z 0
		.amdhsa_system_sgpr_workgroup_info 0
		.amdhsa_system_vgpr_workitem_id 1
		.amdhsa_next_free_vgpr 53
		.amdhsa_next_free_sgpr 19
		.amdhsa_reserve_vcc 1
		.amdhsa_float_round_mode_32 0
		.amdhsa_float_round_mode_16_64 0
		.amdhsa_float_denorm_mode_32 3
		.amdhsa_float_denorm_mode_16_64 3
		.amdhsa_dx10_clamp 1
		.amdhsa_ieee_mode 1
		.amdhsa_fp16_overflow 0
		.amdhsa_workgroup_processor_mode 1
		.amdhsa_memory_ordered 1
		.amdhsa_forward_progress 0
		.amdhsa_shared_vgpr_count 0
		.amdhsa_exception_fp_ieee_invalid_op 0
		.amdhsa_exception_fp_denorm_src 0
		.amdhsa_exception_fp_ieee_div_zero 0
		.amdhsa_exception_fp_ieee_overflow 0
		.amdhsa_exception_fp_ieee_underflow 0
		.amdhsa_exception_fp_ieee_inexact 0
		.amdhsa_exception_int_div_zero 0
	.end_amdhsa_kernel
	.section	.text._ZN4vllm3moe17topkGatingSoftmaxItLi16ELi128ELi8ELi32ELb0ELi4ELNS0_23SharedExpertScoringFuncE1EEEvPKT_PKbPfiPiS9_iiiiii,"axG",@progbits,_ZN4vllm3moe17topkGatingSoftmaxItLi16ELi128ELi8ELi32ELb0ELi4ELNS0_23SharedExpertScoringFuncE1EEEvPKT_PKbPfiPiS9_iiiiii,comdat
.Lfunc_end285:
	.size	_ZN4vllm3moe17topkGatingSoftmaxItLi16ELi128ELi8ELi32ELb0ELi4ELNS0_23SharedExpertScoringFuncE1EEEvPKT_PKbPfiPiS9_iiiiii, .Lfunc_end285-_ZN4vllm3moe17topkGatingSoftmaxItLi16ELi128ELi8ELi32ELb0ELi4ELNS0_23SharedExpertScoringFuncE1EEEvPKT_PKbPfiPiS9_iiiiii
                                        ; -- End function
	.section	.AMDGPU.csdata,"",@progbits
; Kernel info:
; codeLenInByte = 5588
; NumSgprs: 21
; NumVgprs: 53
; ScratchSize: 0
; MemoryBound: 0
; FloatMode: 240
; IeeeMode: 1
; LDSByteSize: 0 bytes/workgroup (compile time only)
; SGPRBlocks: 2
; VGPRBlocks: 6
; NumSGPRsForWavesPerEU: 21
; NumVGPRsForWavesPerEU: 53
; Occupancy: 16
; WaveLimiterHint : 0
; COMPUTE_PGM_RSRC2:SCRATCH_EN: 0
; COMPUTE_PGM_RSRC2:USER_SGPR: 15
; COMPUTE_PGM_RSRC2:TRAP_HANDLER: 0
; COMPUTE_PGM_RSRC2:TGID_X_EN: 1
; COMPUTE_PGM_RSRC2:TGID_Y_EN: 0
; COMPUTE_PGM_RSRC2:TGID_Z_EN: 0
; COMPUTE_PGM_RSRC2:TIDIG_COMP_CNT: 1
	.section	.text._ZN4vllm3moe17topkGatingSoftmaxItLi16ELi128ELi8ELi32ELb1ELi8ELNS0_23SharedExpertScoringFuncE1EEEvPKT_PKbPfiPiS9_iiiiii,"axG",@progbits,_ZN4vllm3moe17topkGatingSoftmaxItLi16ELi128ELi8ELi32ELb1ELi8ELNS0_23SharedExpertScoringFuncE1EEEvPKT_PKbPfiPiS9_iiiiii,comdat
	.protected	_ZN4vllm3moe17topkGatingSoftmaxItLi16ELi128ELi8ELi32ELb1ELi8ELNS0_23SharedExpertScoringFuncE1EEEvPKT_PKbPfiPiS9_iiiiii ; -- Begin function _ZN4vllm3moe17topkGatingSoftmaxItLi16ELi128ELi8ELi32ELb1ELi8ELNS0_23SharedExpertScoringFuncE1EEEvPKT_PKbPfiPiS9_iiiiii
	.globl	_ZN4vllm3moe17topkGatingSoftmaxItLi16ELi128ELi8ELi32ELb1ELi8ELNS0_23SharedExpertScoringFuncE1EEEvPKT_PKbPfiPiS9_iiiiii
	.p2align	8
	.type	_ZN4vllm3moe17topkGatingSoftmaxItLi16ELi128ELi8ELi32ELb1ELi8ELNS0_23SharedExpertScoringFuncE1EEEvPKT_PKbPfiPiS9_iiiiii,@function
_ZN4vllm3moe17topkGatingSoftmaxItLi16ELi128ELi8ELi32ELb1ELi8ELNS0_23SharedExpertScoringFuncE1EEEvPKT_PKbPfiPiS9_iiiiii: ; @_ZN4vllm3moe17topkGatingSoftmaxItLi16ELi128ELi8ELi32ELb1ELi8ELNS0_23SharedExpertScoringFuncE1EEEvPKT_PKbPfiPiS9_iiiiii
; %bb.0:
	s_load_b32 s16, s[0:1], 0x18
	v_bfe_u32 v1, v0, 10, 10
	v_and_b32_e32 v0, 0x3ff, v0
	s_lshl_b32 s18, s15, 5
	s_mov_b32 s2, exec_lo
	s_delay_alu instid0(VALU_DEP_2) | instskip(NEXT) | instid1(VALU_DEP_2)
	v_lshlrev_b32_e32 v6, 2, v1
	v_lshrrev_b32_e32 v40, 3, v0
	s_delay_alu instid0(VALU_DEP_1) | instskip(SKIP_1) | instid1(VALU_DEP_1)
	v_add3_u32 v43, s18, v6, v40
	s_waitcnt lgkmcnt(0)
	v_cmpx_gt_i32_e64 s16, v43
	s_cbranch_execz .LBB286_20
; %bb.1:
	s_clause 0x1
	s_load_b128 s[4:7], s[0:1], 0x0
	s_load_b64 s[12:13], s[0:1], 0x10
	s_waitcnt lgkmcnt(0)
	s_cmp_eq_u64 s[6:7], 0
	s_cbranch_scc1 .LBB286_3
; %bb.2:
	v_ashrrev_i32_e32 v2, 31, v43
	v_add_co_u32 v1, vcc_lo, s6, v43
	s_delay_alu instid0(VALU_DEP_2) | instskip(SKIP_3) | instid1(VALU_DEP_1)
	v_add_co_ci_u32_e32 v2, vcc_lo, s7, v2, vcc_lo
	global_load_u8 v1, v[1:2], off
	s_waitcnt vmcnt(0)
	v_and_b32_e32 v1, 1, v1
	v_cmp_eq_u32_e32 vcc_lo, 1, v1
	s_xor_b32 s2, vcc_lo, -1
	s_delay_alu instid0(SALU_CYCLE_1)
	s_or_not1_b32 s17, s2, exec_lo
	s_branch .LBB286_4
.LBB286_3:
	s_mov_b32 s17, -1
.LBB286_4:
	s_clause 0x1
	s_load_b64 s[14:15], s[0:1], 0x40
	s_load_b128 s[8:11], s[0:1], 0x30
	v_and_b32_e32 v7, 7, v0
	v_mov_b32_e32 v41, 0
	s_waitcnt lgkmcnt(0)
	v_mul_lo_u32 v1, v43, s15
	s_delay_alu instid0(VALU_DEP_1) | instskip(NEXT) | instid1(VALU_DEP_1)
	v_ashrrev_i32_e32 v2, 31, v1
	v_lshlrev_b64 v[0:1], 1, v[1:2]
	v_lshlrev_b32_e32 v2, 5, v7
	s_delay_alu instid0(VALU_DEP_2) | instskip(NEXT) | instid1(VALU_DEP_3)
	v_add_co_u32 v8, vcc_lo, s4, v0
	v_add_co_ci_u32_e32 v9, vcc_lo, s5, v1, vcc_lo
	s_delay_alu instid0(VALU_DEP_2) | instskip(NEXT) | instid1(VALU_DEP_2)
	v_add_co_u32 v4, vcc_lo, v8, v2
	v_add_co_ci_u32_e32 v5, vcc_lo, 0, v9, vcc_lo
	s_clause 0x1
	global_load_b128 v[0:3], v[4:5], off
	global_load_b128 v[34:37], v[4:5], off offset:16
	v_lshlrev_b32_e32 v4, 1, v7
	s_delay_alu instid0(VALU_DEP_1)
	v_add_co_u32 v4, vcc_lo, v8, v4
	v_add_co_ci_u32_e32 v5, vcc_lo, 0, v9, vcc_lo
	v_lshlrev_b32_e32 v8, 4, v7
	global_load_u16 v4, v[4:5], off offset:256
	v_or_b32_e32 v11, 1, v8
	v_or_b32_e32 v13, 2, v8
	v_or_b32_e32 v15, 3, v8
	s_waitcnt vmcnt(2)
	v_lshrrev_b32_e32 v5, 16, v0
	v_and_b32_e32 v0, 0xffff, v0
	s_delay_alu instid0(VALU_DEP_2) | instskip(NEXT) | instid1(VALU_DEP_2)
	v_cvt_f32_u32_e32 v9, v5
	v_cvt_f32_u32_e32 v10, v0
	v_and_b32_e32 v0, 0xffff, v1
	v_lshrrev_b32_e32 v1, 16, v1
	s_delay_alu instid0(VALU_DEP_3) | instskip(NEXT) | instid1(VALU_DEP_3)
	v_cmp_lt_f32_e32 vcc_lo, v10, v9
	v_cvt_f32_u32_e32 v12, v0
	s_delay_alu instid0(VALU_DEP_3) | instskip(SKIP_1) | instid1(VALU_DEP_1)
	v_cvt_f32_u32_e32 v14, v1
	v_dual_cndmask_b32 v5, v10, v9 :: v_dual_cndmask_b32 v0, v8, v11
	v_cmp_lt_f32_e32 vcc_lo, v5, v12
	s_delay_alu instid0(VALU_DEP_2) | instskip(SKIP_2) | instid1(VALU_DEP_3)
	v_dual_cndmask_b32 v1, v5, v12 :: v_dual_cndmask_b32 v0, v0, v13
	v_and_b32_e32 v5, 0xffff, v2
	v_lshrrev_b32_e32 v2, 16, v2
	v_cmp_lt_f32_e32 vcc_lo, v1, v14
	s_delay_alu instid0(VALU_DEP_3) | instskip(NEXT) | instid1(VALU_DEP_3)
	v_cvt_f32_u32_e32 v16, v5
	v_cvt_f32_u32_e32 v18, v2
	v_dual_cndmask_b32 v1, v1, v14 :: v_dual_and_b32 v2, 0xffff, v3
	s_delay_alu instid0(VALU_DEP_1) | instskip(SKIP_1) | instid1(VALU_DEP_3)
	v_cvt_f32_u32_e32 v20, v2
	v_cndmask_b32_e32 v0, v0, v15, vcc_lo
	v_cmp_lt_f32_e32 vcc_lo, v1, v16
	v_lshrrev_b32_e32 v2, 16, v3
	s_waitcnt vmcnt(0)
	v_cvt_f32_u32_e32 v3, v4
	v_lshrrev_b32_e32 v4, 16, v35
	v_cndmask_b32_e32 v1, v1, v16, vcc_lo
	v_or_b32_e32 v17, 4, v8
	v_cvt_f32_u32_e32 v22, v2
	v_and_b32_e32 v2, 0xffff, v34
	v_or_b32_e32 v19, 5, v8
	v_or_b32_e32 v21, 6, v8
	v_cndmask_b32_e32 v0, v0, v17, vcc_lo
	v_cmp_lt_f32_e32 vcc_lo, v1, v18
	v_cvt_f32_u32_e32 v24, v2
	v_lshrrev_b32_e32 v2, 16, v34
	v_or_b32_e32 v23, 7, v8
	v_or_b32_e32 v25, 8, v8
	v_cndmask_b32_e32 v1, v1, v18, vcc_lo
	v_cvt_f32_u32_e32 v30, v4
	v_cvt_f32_u32_e32 v26, v2
	v_cndmask_b32_e32 v0, v0, v19, vcc_lo
	v_and_b32_e32 v2, 0xffff, v35
	v_cmp_lt_f32_e32 vcc_lo, v1, v20
	v_or_b32_e32 v27, 9, v8
	v_or_b32_e32 v29, 10, v8
	;; [unrolled: 1-line block ×3, first 2 shown]
	v_cvt_f32_u32_e32 v28, v2
	v_dual_cndmask_b32 v1, v1, v20 :: v_dual_cndmask_b32 v0, v0, v21
	v_mul_f32_e32 v2, 0xbfb8aa3b, v3
	v_or_b32_e32 v33, 12, v8
	v_or_b32_e32 v35, 13, v8
	s_delay_alu instid0(VALU_DEP_4)
	v_cmp_lt_f32_e32 vcc_lo, v1, v22
	v_cmp_nlt_f32_e64 s2, 0x42ce8ed0, v3
	v_fma_f32 v5, 0xbfb8aa3b, v3, -v2
	v_rndne_f32_e32 v34, v2
	v_or_b32_e32 v39, 15, v8
	v_dual_cndmask_b32 v1, v1, v22 :: v_dual_cndmask_b32 v0, v0, v23
	s_delay_alu instid0(VALU_DEP_4) | instskip(NEXT) | instid1(VALU_DEP_4)
	v_fmamk_f32 v4, v3, 0xb2a5705f, v5
	v_dual_sub_f32 v2, v2, v34 :: v_dual_and_b32 v5, 0xffff, v36
	s_delay_alu instid0(VALU_DEP_3) | instskip(NEXT) | instid1(VALU_DEP_2)
	v_cmp_lt_f32_e32 vcc_lo, v1, v24
	v_add_f32_e32 v2, v2, v4
	v_lshrrev_b32_e32 v4, 16, v36
	v_dual_cndmask_b32 v1, v1, v24 :: v_dual_cndmask_b32 v0, v0, v25
	v_cvt_f32_u32_e32 v32, v5
	v_cvt_i32_f32_e32 v5, v34
	s_delay_alu instid0(VALU_DEP_4) | instskip(NEXT) | instid1(VALU_DEP_4)
	v_cvt_f32_u32_e32 v34, v4
	v_cmp_lt_f32_e32 vcc_lo, v1, v26
	v_and_b32_e32 v4, 0xffff, v37
	v_exp_f32_e32 v2, v2
	v_cndmask_b32_e32 v1, v1, v26, vcc_lo
	s_delay_alu instid0(VALU_DEP_2) | instskip(SKIP_1) | instid1(VALU_DEP_3)
	v_cvt_f32_u32_e32 v36, v4
	v_cndmask_b32_e32 v0, v0, v27, vcc_lo
	v_cmp_lt_f32_e32 vcc_lo, v1, v28
	s_waitcnt_depctr 0xfff
	v_ldexp_f32 v2, v2, v5
	v_dual_cndmask_b32 v1, v1, v28 :: v_dual_cndmask_b32 v0, v0, v29
	s_delay_alu instid0(VALU_DEP_2) | instskip(NEXT) | instid1(VALU_DEP_2)
	v_cndmask_b32_e64 v2, 0, v2, s2
	v_cmp_lt_f32_e32 vcc_lo, v1, v30
	s_delay_alu instid0(VALU_DEP_3) | instskip(NEXT) | instid1(VALU_DEP_1)
	v_dual_cndmask_b32 v1, v1, v30 :: v_dual_cndmask_b32 v0, v0, v31
	v_cmp_lt_f32_e32 vcc_lo, v1, v32
	s_delay_alu instid0(VALU_DEP_2) | instskip(NEXT) | instid1(VALU_DEP_1)
	v_dual_cndmask_b32 v1, v1, v32 :: v_dual_cndmask_b32 v0, v0, v33
	v_cmp_lt_f32_e32 vcc_lo, v1, v34
	s_delay_alu instid0(VALU_DEP_2)
	v_dual_cndmask_b32 v0, v0, v35 :: v_dual_cndmask_b32 v1, v1, v34
	v_cmp_ngt_f32_e32 vcc_lo, 0xc2b17218, v3
	v_lshrrev_b32_e32 v3, 16, v37
	v_or_b32_e32 v37, 14, v8
	v_cndmask_b32_e32 v2, 0x7f800000, v2, vcc_lo
	v_cmp_lt_f32_e32 vcc_lo, v1, v36
	s_delay_alu instid0(VALU_DEP_4) | instskip(NEXT) | instid1(VALU_DEP_3)
	v_cvt_f32_u32_e32 v38, v3
	v_dual_add_f32 v42, 1.0, v2 :: v_dual_cndmask_b32 v1, v1, v36
	v_cndmask_b32_e32 v0, v0, v37, vcc_lo
	s_delay_alu instid0(VALU_DEP_2) | instskip(NEXT) | instid1(VALU_DEP_3)
	v_div_scale_f32 v3, null, v42, v42, 1.0
	v_cmp_lt_f32_e32 vcc_lo, v1, v38
	s_delay_alu instid0(VALU_DEP_2) | instskip(NEXT) | instid1(VALU_DEP_3)
	v_rcp_f32_e32 v44, v3
	v_dual_cndmask_b32 v2, v0, v39 :: v_dual_cndmask_b32 v1, v1, v38
	v_div_scale_f32 v45, vcc_lo, 1.0, v42, 1.0
	s_delay_alu instid0(VALU_DEP_2) | instskip(NEXT) | instid1(VALU_DEP_3)
	v_mov_b32_dpp v4, v2 quad_perm:[1,0,3,2] row_mask:0xf bank_mask:0xf
	v_mov_b32_dpp v5, v1 quad_perm:[1,0,3,2] row_mask:0xf bank_mask:0xf
	s_waitcnt_depctr 0xfff
	v_fma_f32 v0, -v3, v44, 1.0
	v_cmp_lt_i32_e64 s2, v4, v2
	v_cmp_eq_f32_e64 s3, v1, v5
	v_cmp_lt_f32_e64 s4, v1, v5
	s_delay_alu instid0(VALU_DEP_4) | instskip(SKIP_1) | instid1(VALU_DEP_4)
	v_fmac_f32_e32 v44, v0, v44
	v_mul_lo_u32 v0, v43, s11
	s_and_b32 s2, s3, s2
	s_delay_alu instid0(VALU_DEP_2) | instskip(SKIP_1) | instid1(SALU_CYCLE_1)
	v_mul_f32_e32 v46, v45, v44
	s_or_b32 s2, s4, s2
	v_cndmask_b32_e64 v47, v1, v5, s2
	v_cndmask_b32_e64 v48, v2, v4, s2
	s_delay_alu instid0(VALU_DEP_4) | instskip(SKIP_1) | instid1(VALU_DEP_4)
	v_add3_u32 v1, v0, s8, v7
	v_fma_f32 v4, -v3, v46, v45
	v_mov_b32_dpp v49, v47 quad_perm:[2,3,0,1] row_mask:0xf bank_mask:0xf
	s_delay_alu instid0(VALU_DEP_4) | instskip(NEXT) | instid1(VALU_DEP_4)
	v_mov_b32_dpp v50, v48 quad_perm:[2,3,0,1] row_mask:0xf bank_mask:0xf
	v_ashrrev_i32_e32 v2, 31, v1
	s_delay_alu instid0(VALU_DEP_4) | instskip(NEXT) | instid1(VALU_DEP_4)
	v_fmac_f32_e32 v46, v4, v44
	v_cmp_eq_f32_e64 s2, v47, v49
	s_delay_alu instid0(VALU_DEP_4) | instskip(NEXT) | instid1(VALU_DEP_4)
	v_cmp_lt_i32_e64 s3, v50, v48
	v_lshlrev_b64 v[4:5], 2, v[1:2]
	s_delay_alu instid0(VALU_DEP_4) | instskip(SKIP_1) | instid1(VALU_DEP_4)
	v_fma_f32 v1, -v3, v46, v45
	v_cmp_lt_f32_e64 s4, v47, v49
	s_and_b32 s2, s2, s3
	s_delay_alu instid0(VALU_DEP_2) | instskip(NEXT) | instid1(VALU_DEP_2)
	v_div_fmas_f32 v2, v1, v44, v46
	s_or_b32 vcc_lo, s4, s2
	s_cmp_gt_i32 s8, 0
	v_cndmask_b32_e32 v1, v47, v49, vcc_lo
	v_cndmask_b32_e32 v3, v48, v50, vcc_lo
	v_add_co_u32 v44, vcc_lo, s12, v4
	v_add_co_ci_u32_e32 v45, vcc_lo, s13, v5, vcc_lo
	v_div_fixup_f32 v2, v2, v42, 1.0
	v_mov_b32_dpp v5, v1 row_half_mirror row_mask:0xf bank_mask:0xf
	v_mov_b32_dpp v42, v3 row_half_mirror row_mask:0xf bank_mask:0xf
	v_cmp_eq_u32_e32 vcc_lo, 0, v7
	s_cselect_b32 s3, -1, 0
	s_cmp_lt_i32 s8, 1
	global_store_b32 v[44:45], v2, off
	s_cbranch_scc1 .LBB286_16
; %bb.5:
	s_load_b128 s[4:7], s[0:1], 0x20
	v_cmp_eq_f32_e64 s0, v1, v5
	v_cmp_lt_i32_e64 s1, v42, v3
	v_cmp_lt_f32_e64 s2, v1, v5
	v_mul_lo_u32 v2, v43, s14
	v_mul_lo_u32 v4, v43, s8
	v_mov_b32_e32 v41, 0
	s_and_b32 s0, s0, s1
	s_delay_alu instid0(SALU_CYCLE_1) | instskip(NEXT) | instid1(SALU_CYCLE_1)
	s_or_b32 s0, s2, s0
	v_cndmask_b32_e64 v44, v3, v42, s0
	v_cndmask_b32_e64 v42, v1, v5, s0
	s_and_saveexec_b32 s2, vcc_lo
	s_cbranch_execz .LBB286_7
; %bb.6:
	s_delay_alu instid0(VALU_DEP_1)
	v_sub_f32_e32 v41, v42, v42
	v_cmp_le_i32_e64 s0, s9, v44
	v_cmp_gt_i32_e64 s1, s10, v44
	v_subrev_nc_u32_e32 v51, s9, v44
	v_ashrrev_i32_e32 v5, 31, v4
	v_mul_f32_e32 v1, 0x3fb8aa3b, v41
	s_delay_alu instid0(VALU_DEP_4) | instskip(NEXT) | instid1(SALU_CYCLE_1)
	s_and_b32 s0, s0, s1
	s_and_b32 s0, s17, s0
	s_delay_alu instid0(VALU_DEP_1) | instskip(SKIP_2) | instid1(VALU_DEP_3)
	v_rndne_f32_e32 v47, v1
	v_fma_f32 v3, 0x3fb8aa3b, v41, -v1
	v_lshlrev_b64 v[49:50], 2, v[4:5]
	v_sub_f32_e32 v1, v1, v47
	s_delay_alu instid0(VALU_DEP_3) | instskip(NEXT) | instid1(VALU_DEP_1)
	v_fmamk_f32 v3, v41, 0x32a5705f, v3
	v_add_f32_e32 v3, v1, v3
	v_ashrrev_i32_e32 v1, 31, v0
	s_delay_alu instid0(VALU_DEP_2) | instskip(NEXT) | instid1(VALU_DEP_1)
	v_exp_f32_e32 v52, v3
	v_lshlrev_b64 v[45:46], 2, v[0:1]
	v_ashrrev_i32_e32 v3, 31, v2
	v_cvt_i32_f32_e32 v1, v47
	s_delay_alu instid0(VALU_DEP_2) | instskip(SKIP_2) | instid1(VALU_DEP_1)
	v_lshlrev_b64 v[47:48], 2, v[2:3]
	v_cndmask_b32_e64 v3, 0x80, v51, s0
	v_add_co_u32 v45, s0, s12, v45
	v_add_co_ci_u32_e64 v46, s0, s13, v46, s0
	s_delay_alu instid0(TRANS32_DEP_1) | instskip(SKIP_1) | instid1(VALU_DEP_1)
	v_ldexp_f32 v1, v52, v1
	v_cmp_ngt_f32_e64 s0, 0xc2ce8ed0, v41
	v_cndmask_b32_e64 v1, 0, v1, s0
	s_waitcnt lgkmcnt(0)
	v_add_co_u32 v47, s0, s4, v47
	s_delay_alu instid0(VALU_DEP_1) | instskip(SKIP_1) | instid1(VALU_DEP_1)
	v_add_co_ci_u32_e64 v48, s0, s5, v48, s0
	v_cmp_nlt_f32_e64 s0, 0x42b17218, v41
	v_cndmask_b32_e64 v41, 0x7f800000, v1, s0
	v_add_co_u32 v49, s0, s6, v49
	s_delay_alu instid0(VALU_DEP_1)
	v_add_co_ci_u32_e64 v50, s0, s7, v50, s0
	global_store_b32 v[47:48], v3, off
	global_store_b32 v[45:46], v41, off
	;; [unrolled: 1-line block ×3, first 2 shown]
.LBB286_7:
	s_or_b32 exec_lo, exec_lo, s2
	v_ashrrev_i32_e32 v3, 31, v44
	s_mov_b32 s1, exec_lo
	s_delay_alu instid0(VALU_DEP_1) | instskip(NEXT) | instid1(VALU_DEP_1)
	v_lshrrev_b32_e32 v1, 28, v3
	v_add_nc_u32_e32 v1, v44, v1
	s_delay_alu instid0(VALU_DEP_1) | instskip(NEXT) | instid1(VALU_DEP_1)
	v_ashrrev_i32_e32 v1, 4, v1
	v_lshrrev_b32_e32 v5, 29, v1
	s_delay_alu instid0(VALU_DEP_1) | instskip(NEXT) | instid1(VALU_DEP_1)
	v_add_nc_u32_e32 v5, v1, v5
	v_and_b32_e32 v5, -8, v5
	s_delay_alu instid0(VALU_DEP_1) | instskip(NEXT) | instid1(VALU_DEP_1)
	v_sub_nc_u32_e32 v5, v1, v5
	v_cmpx_eq_u32_e64 v7, v5
	s_cbranch_execz .LBB286_9
; %bb.8:
	v_lshrrev_b32_e32 v3, 25, v3
	v_lshlrev_b32_e32 v1, 4, v1
	s_delay_alu instid0(VALU_DEP_2) | instskip(NEXT) | instid1(VALU_DEP_2)
	v_add_nc_u32_e32 v3, v44, v3
	v_sub_nc_u32_e32 v1, v44, v1
	s_delay_alu instid0(VALU_DEP_2) | instskip(NEXT) | instid1(VALU_DEP_1)
	v_ashrrev_i32_e32 v3, 7, v3
	v_lshl_add_u32 v1, v3, 4, v1
	s_delay_alu instid0(VALU_DEP_1) | instskip(NEXT) | instid1(VALU_DEP_1)
	v_cmp_ne_u32_e64 s0, 15, v1
	v_cndmask_b32_e64 v38, 0xff800000, v38, s0
	v_cmp_ne_u32_e64 s0, 14, v1
	s_delay_alu instid0(VALU_DEP_1) | instskip(SKIP_1) | instid1(VALU_DEP_1)
	v_cndmask_b32_e64 v36, 0xff800000, v36, s0
	v_cmp_ne_u32_e64 s0, 13, v1
	v_cndmask_b32_e64 v34, 0xff800000, v34, s0
	v_cmp_ne_u32_e64 s0, 12, v1
	s_delay_alu instid0(VALU_DEP_1) | instskip(SKIP_1) | instid1(VALU_DEP_1)
	v_cndmask_b32_e64 v32, 0xff800000, v32, s0
	;; [unrolled: 5-line block ×7, first 2 shown]
	v_cmp_ne_u32_e64 s0, 1, v1
	v_cndmask_b32_e64 v9, 0xff800000, v9, s0
	v_cmp_ne_u32_e64 s0, 0, v1
	s_delay_alu instid0(VALU_DEP_1)
	v_cndmask_b32_e64 v10, 0xff800000, v10, s0
.LBB286_9:
	s_or_b32 exec_lo, exec_lo, s1
	s_cmp_eq_u32 s8, 1
	s_cbranch_scc1 .LBB286_16
; %bb.10:
	s_add_i32 s18, s18, s16
	v_add_nc_u32_e32 v1, 1, v4
	v_add3_u32 v40, s18, v40, v6
	v_add_nc_u32_e32 v3, 1, v2
	v_add_nc_u32_e32 v5, 1, v0
	s_add_i32 s11, s8, -1
	s_branch .LBB286_12
.LBB286_11:                             ;   in Loop: Header=BB286_12 Depth=1
	s_or_b32 exec_lo, exec_lo, s1
	v_add_nc_u32_e32 v40, s16, v40
	v_add_nc_u32_e32 v1, 1, v1
	;; [unrolled: 1-line block ×4, first 2 shown]
	s_add_i32 s11, s11, -1
	s_delay_alu instid0(SALU_CYCLE_1)
	s_cmp_eq_u32 s11, 0
	s_cbranch_scc1 .LBB286_16
.LBB286_12:                             ; =>This Inner Loop Header: Depth=1
	v_cmp_gt_f32_e64 s0, v9, v10
	s_delay_alu instid0(VALU_DEP_1) | instskip(SKIP_1) | instid1(VALU_DEP_2)
	v_cndmask_b32_e64 v4, v10, v9, s0
	v_cndmask_b32_e64 v2, v8, v11, s0
	v_cmp_gt_f32_e64 s0, v12, v4
	s_delay_alu instid0(VALU_DEP_1) | instskip(NEXT) | instid1(VALU_DEP_3)
	v_cndmask_b32_e64 v4, v4, v12, s0
	v_cndmask_b32_e64 v2, v2, v13, s0
	s_delay_alu instid0(VALU_DEP_2) | instskip(NEXT) | instid1(VALU_DEP_1)
	v_cmp_gt_f32_e64 s0, v14, v4
	v_cndmask_b32_e64 v4, v4, v14, s0
	s_delay_alu instid0(VALU_DEP_3) | instskip(NEXT) | instid1(VALU_DEP_2)
	v_cndmask_b32_e64 v2, v2, v15, s0
	v_cmp_gt_f32_e64 s0, v16, v4
	s_delay_alu instid0(VALU_DEP_1) | instskip(NEXT) | instid1(VALU_DEP_3)
	v_cndmask_b32_e64 v4, v4, v16, s0
	v_cndmask_b32_e64 v2, v2, v17, s0
	s_delay_alu instid0(VALU_DEP_2) | instskip(NEXT) | instid1(VALU_DEP_1)
	v_cmp_gt_f32_e64 s0, v18, v4
	v_cndmask_b32_e64 v4, v4, v18, s0
	s_delay_alu instid0(VALU_DEP_3) | instskip(NEXT) | instid1(VALU_DEP_2)
	;; [unrolled: 9-line block ×6, first 2 shown]
	v_cndmask_b32_e64 v2, v2, v35, s0
	v_cmp_gt_f32_e64 s0, v36, v4
	s_delay_alu instid0(VALU_DEP_1) | instskip(NEXT) | instid1(VALU_DEP_3)
	v_cndmask_b32_e64 v4, v4, v36, s0
	v_cndmask_b32_e64 v2, v2, v37, s0
	s_delay_alu instid0(VALU_DEP_2) | instskip(NEXT) | instid1(VALU_DEP_1)
	v_cmp_gt_f32_e64 s0, v38, v4
	v_cndmask_b32_e64 v2, v2, v39, s0
	v_cndmask_b32_e64 v4, v4, v38, s0
	s_delay_alu instid0(VALU_DEP_2) | instskip(NEXT) | instid1(VALU_DEP_2)
	v_mov_b32_dpp v6, v2 quad_perm:[1,0,3,2] row_mask:0xf bank_mask:0xf
	v_mov_b32_dpp v43, v4 quad_perm:[1,0,3,2] row_mask:0xf bank_mask:0xf
	s_delay_alu instid0(VALU_DEP_2) | instskip(NEXT) | instid1(VALU_DEP_2)
	v_cmp_lt_i32_e64 s0, v6, v2
	v_cmp_eq_f32_e64 s1, v4, v43
	v_cmp_lt_f32_e64 s2, v4, v43
	s_delay_alu instid0(VALU_DEP_2)
	s_and_b32 s0, s1, s0
	s_delay_alu instid0(VALU_DEP_1) | instid1(SALU_CYCLE_1)
	s_or_b32 s0, s2, s0
	s_delay_alu instid0(SALU_CYCLE_1) | instskip(SKIP_1) | instid1(VALU_DEP_2)
	v_cndmask_b32_e64 v4, v4, v43, s0
	v_cndmask_b32_e64 v6, v2, v6, s0
	v_mov_b32_dpp v2, v4 quad_perm:[2,3,0,1] row_mask:0xf bank_mask:0xf
	s_delay_alu instid0(VALU_DEP_2) | instskip(NEXT) | instid1(VALU_DEP_2)
	v_mov_b32_dpp v43, v6 quad_perm:[2,3,0,1] row_mask:0xf bank_mask:0xf
	v_cmp_eq_f32_e64 s0, v4, v2
	s_delay_alu instid0(VALU_DEP_2) | instskip(SKIP_1) | instid1(VALU_DEP_2)
	v_cmp_lt_i32_e64 s1, v43, v6
	v_cmp_lt_f32_e64 s2, v4, v2
	s_and_b32 s0, s0, s1
	s_delay_alu instid0(VALU_DEP_1) | instid1(SALU_CYCLE_1)
	s_or_b32 s0, s2, s0
	s_delay_alu instid0(SALU_CYCLE_1) | instskip(SKIP_1) | instid1(VALU_DEP_2)
	v_cndmask_b32_e64 v2, v4, v2, s0
	v_cndmask_b32_e64 v6, v6, v43, s0
	v_mov_b32_dpp v4, v2 row_half_mirror row_mask:0xf bank_mask:0xf
	s_delay_alu instid0(VALU_DEP_2) | instskip(NEXT) | instid1(VALU_DEP_2)
	v_mov_b32_dpp v43, v6 row_half_mirror row_mask:0xf bank_mask:0xf
	v_cmp_eq_f32_e64 s0, v2, v4
	s_delay_alu instid0(VALU_DEP_2) | instskip(SKIP_1) | instid1(VALU_DEP_2)
	v_cmp_lt_i32_e64 s1, v43, v6
	v_cmp_lt_f32_e64 s2, v2, v4
	s_and_b32 s0, s0, s1
	s_delay_alu instid0(VALU_DEP_1) | instid1(SALU_CYCLE_1)
	s_or_b32 s0, s2, s0
	s_delay_alu instid0(SALU_CYCLE_1)
	v_cndmask_b32_e64 v43, v6, v43, s0
	s_and_saveexec_b32 s2, vcc_lo
	s_cbranch_execz .LBB286_14
; %bb.13:                               ;   in Loop: Header=BB286_12 Depth=1
	v_cndmask_b32_e64 v2, v2, v4, s0
	s_delay_alu instid0(VALU_DEP_2) | instskip(SKIP_4) | instid1(VALU_DEP_4)
	v_cmp_le_i32_e64 s0, s9, v43
	v_cmp_gt_i32_e64 s1, s10, v43
	v_ashrrev_i32_e32 v6, 31, v5
	v_subrev_nc_u32_e32 v51, s9, v43
	v_sub_f32_e32 v50, v2, v42
	s_and_b32 s0, s0, s1
	s_delay_alu instid0(SALU_CYCLE_1) | instskip(NEXT) | instid1(VALU_DEP_1)
	s_and_b32 s0, s17, s0
	v_mul_f32_e32 v2, 0x3fb8aa3b, v50
	s_delay_alu instid0(VALU_DEP_1) | instskip(SKIP_1) | instid1(VALU_DEP_2)
	v_fma_f32 v4, 0x3fb8aa3b, v50, -v2
	v_rndne_f32_e32 v44, v2
	v_fmac_f32_e32 v4, 0x32a5705f, v50
	s_delay_alu instid0(VALU_DEP_2) | instskip(SKIP_2) | instid1(VALU_DEP_3)
	v_sub_f32_e32 v2, v2, v44
	v_cvt_i32_f32_e32 v49, v44
	v_lshlrev_b64 v[44:45], 2, v[5:6]
	v_add_f32_e32 v2, v2, v4
	v_ashrrev_i32_e32 v4, 31, v3
	s_delay_alu instid0(VALU_DEP_2) | instskip(SKIP_1) | instid1(VALU_DEP_2)
	v_exp_f32_e32 v48, v2
	v_ashrrev_i32_e32 v2, 31, v1
	v_lshlrev_b64 v[46:47], 2, v[3:4]
	s_waitcnt_depctr 0xfff
	v_ldexp_f32 v4, v48, v49
	v_lshlrev_b64 v[48:49], 2, v[1:2]
	v_cndmask_b32_e64 v2, 0x80, v51, s0
	v_cmp_ngt_f32_e64 s0, 0xc2ce8ed0, v50
	s_delay_alu instid0(VALU_DEP_1) | instskip(SKIP_1) | instid1(VALU_DEP_1)
	v_cndmask_b32_e64 v4, 0, v4, s0
	v_add_co_u32 v44, s0, s12, v44
	v_add_co_ci_u32_e64 v45, s0, s13, v45, s0
	v_cmp_nlt_f32_e64 s0, 0x42b17218, v50
	s_delay_alu instid0(VALU_DEP_1) | instskip(SKIP_2) | instid1(VALU_DEP_1)
	v_cndmask_b32_e64 v4, 0x7f800000, v4, s0
	s_waitcnt lgkmcnt(0)
	v_add_co_u32 v46, s0, s4, v46
	v_add_co_ci_u32_e64 v47, s0, s5, v47, s0
	s_delay_alu instid0(VALU_DEP_3) | instskip(SKIP_1) | instid1(VALU_DEP_1)
	v_add_f32_e32 v41, v41, v4
	v_add_co_u32 v48, s0, s6, v48
	v_add_co_ci_u32_e64 v49, s0, s7, v49, s0
	global_store_b32 v[44:45], v4, off
	global_store_b32 v[46:47], v2, off
	;; [unrolled: 1-line block ×3, first 2 shown]
.LBB286_14:                             ;   in Loop: Header=BB286_12 Depth=1
	s_or_b32 exec_lo, exec_lo, s2
	s_delay_alu instid0(VALU_DEP_1) | instskip(SKIP_1) | instid1(VALU_DEP_1)
	v_ashrrev_i32_e32 v4, 31, v43
	s_mov_b32 s1, exec_lo
	v_lshrrev_b32_e32 v2, 28, v4
	s_delay_alu instid0(VALU_DEP_1) | instskip(NEXT) | instid1(VALU_DEP_1)
	v_add_nc_u32_e32 v2, v43, v2
	v_ashrrev_i32_e32 v2, 4, v2
	s_delay_alu instid0(VALU_DEP_1) | instskip(NEXT) | instid1(VALU_DEP_1)
	v_lshrrev_b32_e32 v6, 29, v2
	v_add_nc_u32_e32 v6, v2, v6
	s_delay_alu instid0(VALU_DEP_1) | instskip(NEXT) | instid1(VALU_DEP_1)
	v_and_b32_e32 v6, -8, v6
	v_sub_nc_u32_e32 v6, v2, v6
	s_delay_alu instid0(VALU_DEP_1)
	v_cmpx_eq_u32_e64 v7, v6
	s_cbranch_execz .LBB286_11
; %bb.15:                               ;   in Loop: Header=BB286_12 Depth=1
	v_lshrrev_b32_e32 v4, 25, v4
	v_lshlrev_b32_e32 v2, 4, v2
	s_delay_alu instid0(VALU_DEP_2) | instskip(NEXT) | instid1(VALU_DEP_2)
	v_add_nc_u32_e32 v4, v43, v4
	v_sub_nc_u32_e32 v2, v43, v2
	s_delay_alu instid0(VALU_DEP_2) | instskip(NEXT) | instid1(VALU_DEP_1)
	v_ashrrev_i32_e32 v4, 7, v4
	v_lshl_add_u32 v2, v4, 4, v2
	s_delay_alu instid0(VALU_DEP_1) | instskip(NEXT) | instid1(VALU_DEP_1)
	v_cmp_ne_u32_e64 s0, 15, v2
	v_cndmask_b32_e64 v38, 0xff800000, v38, s0
	v_cmp_ne_u32_e64 s0, 14, v2
	s_delay_alu instid0(VALU_DEP_1) | instskip(SKIP_1) | instid1(VALU_DEP_1)
	v_cndmask_b32_e64 v36, 0xff800000, v36, s0
	v_cmp_ne_u32_e64 s0, 13, v2
	v_cndmask_b32_e64 v34, 0xff800000, v34, s0
	v_cmp_ne_u32_e64 s0, 12, v2
	s_delay_alu instid0(VALU_DEP_1) | instskip(SKIP_1) | instid1(VALU_DEP_1)
	v_cndmask_b32_e64 v32, 0xff800000, v32, s0
	;; [unrolled: 5-line block ×7, first 2 shown]
	v_cmp_ne_u32_e64 s0, 1, v2
	v_cndmask_b32_e64 v9, 0xff800000, v9, s0
	v_cmp_ne_u32_e64 s0, 0, v2
	s_delay_alu instid0(VALU_DEP_1)
	v_cndmask_b32_e64 v10, 0xff800000, v10, s0
	s_branch .LBB286_11
.LBB286_16:
	v_cmp_eq_u32_e32 vcc_lo, 0, v7
	v_cmp_neq_f32_e64 s0, 0, v41
	s_delay_alu instid0(VALU_DEP_1) | instskip(NEXT) | instid1(SALU_CYCLE_1)
	s_and_b32 s0, vcc_lo, s0
	s_and_b32 exec_lo, exec_lo, s0
	s_cbranch_execz .LBB286_20
; %bb.17:
	s_and_not1_b32 vcc_lo, exec_lo, s3
	s_cbranch_vccnz .LBB286_20
; %bb.18:
	v_div_scale_f32 v1, null, v41, v41, 1.0
	v_div_scale_f32 v4, vcc_lo, 1.0, v41, 1.0
	s_delay_alu instid0(VALU_DEP_2) | instskip(SKIP_2) | instid1(VALU_DEP_1)
	v_rcp_f32_e32 v2, v1
	s_waitcnt_depctr 0xfff
	v_fma_f32 v3, -v1, v2, 1.0
	v_fmac_f32_e32 v2, v3, v2
	s_delay_alu instid0(VALU_DEP_1) | instskip(NEXT) | instid1(VALU_DEP_1)
	v_mul_f32_e32 v3, v4, v2
	v_fma_f32 v5, -v1, v3, v4
	s_delay_alu instid0(VALU_DEP_1) | instskip(NEXT) | instid1(VALU_DEP_1)
	v_fmac_f32_e32 v3, v5, v2
	v_fma_f32 v4, -v1, v3, v4
	v_ashrrev_i32_e32 v1, 31, v0
	s_delay_alu instid0(VALU_DEP_2) | instskip(NEXT) | instid1(VALU_DEP_2)
	v_div_fmas_f32 v2, v4, v2, v3
	v_lshlrev_b64 v[0:1], 2, v[0:1]
	s_delay_alu instid0(VALU_DEP_2) | instskip(NEXT) | instid1(VALU_DEP_2)
	v_div_fixup_f32 v2, v2, v41, 1.0
	v_add_co_u32 v0, vcc_lo, s12, v0
	s_delay_alu instid0(VALU_DEP_3)
	v_add_co_ci_u32_e32 v1, vcc_lo, s13, v1, vcc_lo
.LBB286_19:                             ; =>This Inner Loop Header: Depth=1
	global_load_b32 v3, v[0:1], off
	s_add_i32 s8, s8, -1
	s_delay_alu instid0(SALU_CYCLE_1)
	s_cmp_lg_u32 s8, 0
	s_waitcnt vmcnt(0)
	v_mul_f32_e32 v3, v2, v3
	global_store_b32 v[0:1], v3, off
	v_add_co_u32 v0, vcc_lo, v0, 4
	v_add_co_ci_u32_e32 v1, vcc_lo, 0, v1, vcc_lo
	s_cbranch_scc1 .LBB286_19
.LBB286_20:
	s_nop 0
	s_sendmsg sendmsg(MSG_DEALLOC_VGPRS)
	s_endpgm
	.section	.rodata,"a",@progbits
	.p2align	6, 0x0
	.amdhsa_kernel _ZN4vllm3moe17topkGatingSoftmaxItLi16ELi128ELi8ELi32ELb1ELi8ELNS0_23SharedExpertScoringFuncE1EEEvPKT_PKbPfiPiS9_iiiiii
		.amdhsa_group_segment_fixed_size 0
		.amdhsa_private_segment_fixed_size 0
		.amdhsa_kernarg_size 72
		.amdhsa_user_sgpr_count 15
		.amdhsa_user_sgpr_dispatch_ptr 0
		.amdhsa_user_sgpr_queue_ptr 0
		.amdhsa_user_sgpr_kernarg_segment_ptr 1
		.amdhsa_user_sgpr_dispatch_id 0
		.amdhsa_user_sgpr_private_segment_size 0
		.amdhsa_wavefront_size32 1
		.amdhsa_uses_dynamic_stack 0
		.amdhsa_enable_private_segment 0
		.amdhsa_system_sgpr_workgroup_id_x 1
		.amdhsa_system_sgpr_workgroup_id_y 0
		.amdhsa_system_sgpr_workgroup_id_z 0
		.amdhsa_system_sgpr_workgroup_info 0
		.amdhsa_system_vgpr_workitem_id 1
		.amdhsa_next_free_vgpr 53
		.amdhsa_next_free_sgpr 19
		.amdhsa_reserve_vcc 1
		.amdhsa_float_round_mode_32 0
		.amdhsa_float_round_mode_16_64 0
		.amdhsa_float_denorm_mode_32 3
		.amdhsa_float_denorm_mode_16_64 3
		.amdhsa_dx10_clamp 1
		.amdhsa_ieee_mode 1
		.amdhsa_fp16_overflow 0
		.amdhsa_workgroup_processor_mode 1
		.amdhsa_memory_ordered 1
		.amdhsa_forward_progress 0
		.amdhsa_shared_vgpr_count 0
		.amdhsa_exception_fp_ieee_invalid_op 0
		.amdhsa_exception_fp_denorm_src 0
		.amdhsa_exception_fp_ieee_div_zero 0
		.amdhsa_exception_fp_ieee_overflow 0
		.amdhsa_exception_fp_ieee_underflow 0
		.amdhsa_exception_fp_ieee_inexact 0
		.amdhsa_exception_int_div_zero 0
	.end_amdhsa_kernel
	.section	.text._ZN4vllm3moe17topkGatingSoftmaxItLi16ELi128ELi8ELi32ELb1ELi8ELNS0_23SharedExpertScoringFuncE1EEEvPKT_PKbPfiPiS9_iiiiii,"axG",@progbits,_ZN4vllm3moe17topkGatingSoftmaxItLi16ELi128ELi8ELi32ELb1ELi8ELNS0_23SharedExpertScoringFuncE1EEEvPKT_PKbPfiPiS9_iiiiii,comdat
.Lfunc_end286:
	.size	_ZN4vllm3moe17topkGatingSoftmaxItLi16ELi128ELi8ELi32ELb1ELi8ELNS0_23SharedExpertScoringFuncE1EEEvPKT_PKbPfiPiS9_iiiiii, .Lfunc_end286-_ZN4vllm3moe17topkGatingSoftmaxItLi16ELi128ELi8ELi32ELb1ELi8ELNS0_23SharedExpertScoringFuncE1EEEvPKT_PKbPfiPiS9_iiiiii
                                        ; -- End function
	.section	.AMDGPU.csdata,"",@progbits
; Kernel info:
; codeLenInByte = 3812
; NumSgprs: 21
; NumVgprs: 53
; ScratchSize: 0
; MemoryBound: 0
; FloatMode: 240
; IeeeMode: 1
; LDSByteSize: 0 bytes/workgroup (compile time only)
; SGPRBlocks: 2
; VGPRBlocks: 6
; NumSGPRsForWavesPerEU: 21
; NumVGPRsForWavesPerEU: 53
; Occupancy: 16
; WaveLimiterHint : 0
; COMPUTE_PGM_RSRC2:SCRATCH_EN: 0
; COMPUTE_PGM_RSRC2:USER_SGPR: 15
; COMPUTE_PGM_RSRC2:TRAP_HANDLER: 0
; COMPUTE_PGM_RSRC2:TGID_X_EN: 1
; COMPUTE_PGM_RSRC2:TGID_Y_EN: 0
; COMPUTE_PGM_RSRC2:TGID_Z_EN: 0
; COMPUTE_PGM_RSRC2:TIDIG_COMP_CNT: 1
	.section	.text._ZN4vllm3moe17topkGatingSoftmaxItLi16ELi128ELi8ELi32ELb0ELi8ELNS0_23SharedExpertScoringFuncE1EEEvPKT_PKbPfiPiS9_iiiiii,"axG",@progbits,_ZN4vllm3moe17topkGatingSoftmaxItLi16ELi128ELi8ELi32ELb0ELi8ELNS0_23SharedExpertScoringFuncE1EEEvPKT_PKbPfiPiS9_iiiiii,comdat
	.protected	_ZN4vllm3moe17topkGatingSoftmaxItLi16ELi128ELi8ELi32ELb0ELi8ELNS0_23SharedExpertScoringFuncE1EEEvPKT_PKbPfiPiS9_iiiiii ; -- Begin function _ZN4vllm3moe17topkGatingSoftmaxItLi16ELi128ELi8ELi32ELb0ELi8ELNS0_23SharedExpertScoringFuncE1EEEvPKT_PKbPfiPiS9_iiiiii
	.globl	_ZN4vllm3moe17topkGatingSoftmaxItLi16ELi128ELi8ELi32ELb0ELi8ELNS0_23SharedExpertScoringFuncE1EEEvPKT_PKbPfiPiS9_iiiiii
	.p2align	8
	.type	_ZN4vllm3moe17topkGatingSoftmaxItLi16ELi128ELi8ELi32ELb0ELi8ELNS0_23SharedExpertScoringFuncE1EEEvPKT_PKbPfiPiS9_iiiiii,@function
_ZN4vllm3moe17topkGatingSoftmaxItLi16ELi128ELi8ELi32ELb0ELi8ELNS0_23SharedExpertScoringFuncE1EEEvPKT_PKbPfiPiS9_iiiiii: ; @_ZN4vllm3moe17topkGatingSoftmaxItLi16ELi128ELi8ELi32ELb0ELi8ELNS0_23SharedExpertScoringFuncE1EEEvPKT_PKbPfiPiS9_iiiiii
; %bb.0:
	s_load_b32 s16, s[0:1], 0x18
	v_bfe_u32 v1, v0, 10, 10
	v_and_b32_e32 v0, 0x3ff, v0
	s_lshl_b32 s18, s15, 5
	s_mov_b32 s2, exec_lo
	s_delay_alu instid0(VALU_DEP_2) | instskip(NEXT) | instid1(VALU_DEP_2)
	v_lshlrev_b32_e32 v6, 2, v1
	v_lshrrev_b32_e32 v41, 3, v0
	s_delay_alu instid0(VALU_DEP_1) | instskip(SKIP_1) | instid1(VALU_DEP_1)
	v_add3_u32 v43, s18, v6, v41
	s_waitcnt lgkmcnt(0)
	v_cmpx_gt_i32_e64 s16, v43
	s_cbranch_execz .LBB287_21
; %bb.1:
	s_clause 0x1
	s_load_b128 s[4:7], s[0:1], 0x0
	s_load_b64 s[12:13], s[0:1], 0x10
	s_waitcnt lgkmcnt(0)
	s_cmp_eq_u64 s[6:7], 0
	s_cbranch_scc1 .LBB287_3
; %bb.2:
	v_ashrrev_i32_e32 v2, 31, v43
	v_add_co_u32 v1, vcc_lo, s6, v43
	s_delay_alu instid0(VALU_DEP_2) | instskip(SKIP_3) | instid1(VALU_DEP_1)
	v_add_co_ci_u32_e32 v2, vcc_lo, s7, v2, vcc_lo
	global_load_u8 v1, v[1:2], off
	s_waitcnt vmcnt(0)
	v_and_b32_e32 v1, 1, v1
	v_cmp_eq_u32_e32 vcc_lo, 1, v1
	s_xor_b32 s2, vcc_lo, -1
	s_delay_alu instid0(SALU_CYCLE_1)
	s_or_not1_b32 s17, s2, exec_lo
	s_branch .LBB287_4
.LBB287_3:
	s_mov_b32 s17, -1
.LBB287_4:
	s_clause 0x1
	s_load_b64 s[14:15], s[0:1], 0x40
	s_load_b128 s[8:11], s[0:1], 0x30
	v_dual_mov_b32 v12, 0 :: v_dual_and_b32 v7, 7, v0
	s_delay_alu instid0(VALU_DEP_1) | instskip(NEXT) | instid1(VALU_DEP_1)
	v_lshlrev_b32_e32 v25, 4, v7
	v_or_b32_e32 v27, 1, v25
	v_or_b32_e32 v28, 2, v25
	s_waitcnt lgkmcnt(0)
	v_mul_lo_u32 v1, v43, s15
	s_delay_alu instid0(VALU_DEP_1) | instskip(NEXT) | instid1(VALU_DEP_1)
	v_ashrrev_i32_e32 v2, 31, v1
	v_lshlrev_b64 v[0:1], 1, v[1:2]
	v_lshlrev_b32_e32 v2, 5, v7
	s_delay_alu instid0(VALU_DEP_2) | instskip(NEXT) | instid1(VALU_DEP_3)
	v_add_co_u32 v8, vcc_lo, s4, v0
	v_add_co_ci_u32_e32 v9, vcc_lo, s5, v1, vcc_lo
	s_delay_alu instid0(VALU_DEP_2) | instskip(NEXT) | instid1(VALU_DEP_2)
	v_add_co_u32 v4, vcc_lo, v8, v2
	v_add_co_ci_u32_e32 v5, vcc_lo, 0, v9, vcc_lo
	s_clause 0x1
	global_load_b128 v[0:3], v[4:5], off
	global_load_b128 v[37:40], v[4:5], off offset:16
	v_lshlrev_b32_e32 v4, 1, v7
	s_delay_alu instid0(VALU_DEP_1)
	v_add_co_u32 v4, vcc_lo, v8, v4
	v_add_co_ci_u32_e32 v5, vcc_lo, 0, v9, vcc_lo
	global_load_u16 v4, v[4:5], off offset:256
	s_waitcnt vmcnt(2)
	v_lshrrev_b32_e32 v5, 16, v0
	v_and_b32_e32 v0, 0xffff, v0
	s_delay_alu instid0(VALU_DEP_2) | instskip(NEXT) | instid1(VALU_DEP_2)
	v_cvt_f32_u32_e32 v21, v5
	v_cvt_f32_u32_e32 v22, v0
	v_and_b32_e32 v0, 0xffff, v1
	v_lshrrev_b32_e32 v1, 16, v1
	s_delay_alu instid0(VALU_DEP_3) | instskip(NEXT) | instid1(VALU_DEP_3)
	v_cmp_lt_f32_e32 vcc_lo, v22, v21
	v_cvt_f32_u32_e32 v26, v0
	s_delay_alu instid0(VALU_DEP_3) | instskip(SKIP_1) | instid1(VALU_DEP_1)
	v_cvt_f32_u32_e32 v24, v1
	v_dual_cndmask_b32 v5, v22, v21 :: v_dual_cndmask_b32 v0, v25, v27
	v_cmp_lt_f32_e32 vcc_lo, v5, v26
	s_delay_alu instid0(VALU_DEP_2) | instskip(SKIP_3) | instid1(VALU_DEP_4)
	v_dual_cndmask_b32 v1, v5, v26 :: v_dual_cndmask_b32 v0, v0, v28
	v_or_b32_e32 v29, 3, v25
	v_or_b32_e32 v30, 4, v25
	v_or_b32_e32 v31, 5, v25
	v_cmp_lt_f32_e32 vcc_lo, v1, v24
	v_and_b32_e32 v5, 0xffff, v2
	v_lshrrev_b32_e32 v2, 16, v2
	v_or_b32_e32 v32, 6, v25
	v_or_b32_e32 v33, 7, v25
	v_cndmask_b32_e32 v0, v0, v29, vcc_lo
	v_cvt_f32_u32_e32 v23, v5
	v_cndmask_b32_e32 v1, v1, v24, vcc_lo
	v_cvt_f32_u32_e32 v20, v2
	v_and_b32_e32 v2, 0xffff, v3
	v_or_b32_e32 v34, 8, v25
	v_or_b32_e32 v35, 9, v25
	v_cmp_lt_f32_e32 vcc_lo, v1, v23
	v_or_b32_e32 v36, 10, v25
	v_cvt_f32_u32_e32 v19, v2
	v_lshrrev_b32_e32 v2, 16, v3
	s_waitcnt vmcnt(1)
	v_lshrrev_b32_e32 v3, 16, v38
	v_dual_cndmask_b32 v1, v1, v23 :: v_dual_cndmask_b32 v0, v0, v30
	v_or_b32_e32 v42, 15, v25
	v_cvt_f32_u32_e32 v18, v2
	v_and_b32_e32 v2, 0xffff, v37
	s_delay_alu instid0(VALU_DEP_4) | instskip(SKIP_2) | instid1(VALU_DEP_4)
	v_cmp_lt_f32_e32 vcc_lo, v1, v20
	v_cvt_f32_u32_e32 v13, v3
	v_and_b32_e32 v3, 0xffff, v39
	v_cvt_f32_u32_e32 v17, v2
	v_dual_cndmask_b32 v1, v1, v20 :: v_dual_cndmask_b32 v0, v0, v31
	v_lshrrev_b32_e32 v2, 16, v37
	v_or_b32_e32 v37, 11, v25
	v_cvt_f32_u32_e32 v11, v3
	s_delay_alu instid0(VALU_DEP_4) | instskip(NEXT) | instid1(VALU_DEP_4)
	v_cmp_lt_f32_e32 vcc_lo, v1, v19
	v_cvt_f32_u32_e32 v16, v2
	v_and_b32_e32 v2, 0xffff, v38
	v_or_b32_e32 v38, 12, v25
	v_dual_cndmask_b32 v0, v0, v32 :: v_dual_cndmask_b32 v1, v1, v19
	s_delay_alu instid0(VALU_DEP_3) | instskip(SKIP_2) | instid1(VALU_DEP_3)
	v_cvt_f32_u32_e32 v15, v2
	s_waitcnt vmcnt(0)
	v_cvt_f32_u32_e32 v2, v4
	v_cmp_lt_f32_e32 vcc_lo, v1, v18
	s_delay_alu instid0(VALU_DEP_2) | instskip(SKIP_2) | instid1(VALU_DEP_3)
	v_mul_f32_e32 v4, 0xbfb8aa3b, v2
	v_cmp_ngt_f32_e64 s2, 0xc2b17218, v2
	v_dual_cndmask_b32 v1, v1, v18 :: v_dual_cndmask_b32 v0, v0, v33
	v_fma_f32 v5, 0xbfb8aa3b, v2, -v4
	s_delay_alu instid0(VALU_DEP_2) | instskip(NEXT) | instid1(VALU_DEP_2)
	v_cmp_lt_f32_e32 vcc_lo, v1, v17
	v_fmamk_f32 v3, v2, 0xb2a5705f, v5
	v_lshrrev_b32_e32 v5, 16, v39
	v_dual_cndmask_b32 v1, v1, v17 :: v_dual_cndmask_b32 v0, v0, v34
	v_or_b32_e32 v39, 13, v25
	s_delay_alu instid0(VALU_DEP_3) | instskip(NEXT) | instid1(VALU_DEP_3)
	v_cvt_f32_u32_e32 v10, v5
	v_cmp_lt_f32_e32 vcc_lo, v1, v16
	s_delay_alu instid0(VALU_DEP_4) | instskip(NEXT) | instid1(VALU_DEP_1)
	v_dual_cndmask_b32 v1, v1, v16 :: v_dual_cndmask_b32 v0, v0, v35
	v_cmp_lt_f32_e32 vcc_lo, v1, v15
	s_delay_alu instid0(VALU_DEP_2) | instskip(NEXT) | instid1(VALU_DEP_1)
	v_dual_cndmask_b32 v1, v1, v15 :: v_dual_cndmask_b32 v0, v0, v36
	v_cmp_lt_f32_e32 vcc_lo, v1, v13
	v_cndmask_b32_e32 v1, v1, v13, vcc_lo
	s_delay_alu instid0(VALU_DEP_3) | instskip(NEXT) | instid1(VALU_DEP_2)
	v_cndmask_b32_e32 v0, v0, v37, vcc_lo
	v_cmp_lt_f32_e32 vcc_lo, v1, v11
	v_cndmask_b32_e32 v1, v1, v11, vcc_lo
	v_rndne_f32_e32 v8, v4
	s_delay_alu instid0(VALU_DEP_4) | instskip(NEXT) | instid1(VALU_DEP_3)
	v_cndmask_b32_e32 v0, v0, v38, vcc_lo
	v_cmp_lt_f32_e32 vcc_lo, v1, v10
	s_delay_alu instid0(VALU_DEP_3) | instskip(NEXT) | instid1(VALU_DEP_3)
	v_cvt_i32_f32_e32 v5, v8
	v_dual_cndmask_b32 v0, v0, v39 :: v_dual_cndmask_b32 v1, v1, v10
	v_cmp_nlt_f32_e32 vcc_lo, 0x42ce8ed0, v2
	v_sub_f32_e32 v4, v4, v8
	s_delay_alu instid0(VALU_DEP_1) | instskip(NEXT) | instid1(VALU_DEP_1)
	v_dual_add_f32 v3, v4, v3 :: v_dual_and_b32 v4, 0xffff, v40
	v_exp_f32_e32 v3, v3
	s_delay_alu instid0(VALU_DEP_1) | instskip(SKIP_2) | instid1(VALU_DEP_2)
	v_cvt_f32_u32_e32 v9, v4
	v_lshrrev_b32_e32 v4, 16, v40
	v_or_b32_e32 v40, 14, v25
	v_cvt_f32_u32_e32 v8, v4
	s_waitcnt_depctr 0xfff
	v_ldexp_f32 v3, v3, v5
	s_delay_alu instid0(VALU_DEP_1) | instskip(SKIP_1) | instid1(VALU_DEP_2)
	v_cndmask_b32_e32 v3, 0, v3, vcc_lo
	v_cmp_lt_f32_e32 vcc_lo, v1, v9
	v_cndmask_b32_e64 v2, 0x7f800000, v3, s2
	s_delay_alu instid0(VALU_DEP_1) | instskip(NEXT) | instid1(VALU_DEP_1)
	v_dual_cndmask_b32 v1, v1, v9 :: v_dual_add_f32 v14, 1.0, v2
	v_div_scale_f32 v44, null, v14, v14, 1.0
	s_delay_alu instid0(VALU_DEP_1) | instskip(SKIP_2) | instid1(VALU_DEP_1)
	v_rcp_f32_e32 v45, v44
	s_waitcnt_depctr 0xfff
	v_fma_f32 v5, -v44, v45, 1.0
	v_dual_fmac_f32 v45, v5, v45 :: v_dual_cndmask_b32 v0, v0, v40
	v_cmp_lt_f32_e32 vcc_lo, v1, v8
	s_delay_alu instid0(VALU_DEP_2) | instskip(SKIP_1) | instid1(VALU_DEP_2)
	v_dual_cndmask_b32 v2, v0, v42 :: v_dual_cndmask_b32 v1, v1, v8
	v_mul_lo_u32 v0, v43, s11
	v_mov_b32_dpp v3, v2 quad_perm:[1,0,3,2] row_mask:0xf bank_mask:0xf
	s_delay_alu instid0(VALU_DEP_3) | instskip(NEXT) | instid1(VALU_DEP_2)
	v_mov_b32_dpp v4, v1 quad_perm:[1,0,3,2] row_mask:0xf bank_mask:0xf
	v_cmp_lt_i32_e32 vcc_lo, v3, v2
	s_delay_alu instid0(VALU_DEP_2) | instskip(SKIP_1) | instid1(VALU_DEP_2)
	v_cmp_eq_f32_e64 s2, v1, v4
	v_cmp_lt_f32_e64 s3, v1, v4
	s_and_b32 s2, s2, vcc_lo
	v_div_scale_f32 v46, vcc_lo, 1.0, v14, 1.0
	s_delay_alu instid0(VALU_DEP_2) | instskip(NEXT) | instid1(SALU_CYCLE_1)
	s_or_b32 s2, s3, s2
	v_cndmask_b32_e64 v1, v1, v4, s2
	v_cndmask_b32_e64 v4, v2, v3, s2
	s_delay_alu instid0(VALU_DEP_3) | instskip(SKIP_1) | instid1(VALU_DEP_4)
	v_mul_f32_e32 v48, v46, v45
	v_add3_u32 v2, v0, s8, v7
	v_mov_b32_dpp v5, v1 quad_perm:[2,3,0,1] row_mask:0xf bank_mask:0xf
	s_delay_alu instid0(VALU_DEP_4) | instskip(NEXT) | instid1(VALU_DEP_4)
	v_mov_b32_dpp v47, v4 quad_perm:[2,3,0,1] row_mask:0xf bank_mask:0xf
	v_fma_f32 v49, -v44, v48, v46
	s_delay_alu instid0(VALU_DEP_4) | instskip(NEXT) | instid1(VALU_DEP_4)
	v_ashrrev_i32_e32 v3, 31, v2
	v_cmp_eq_f32_e64 s2, v1, v5
	s_delay_alu instid0(VALU_DEP_4) | instskip(SKIP_2) | instid1(VALU_DEP_3)
	v_cmp_lt_i32_e64 s3, v47, v4
	v_cmp_lt_f32_e64 s4, v1, v5
	v_fmac_f32_e32 v48, v49, v45
	s_and_b32 s2, s2, s3
	s_delay_alu instid0(VALU_DEP_2) | instid1(SALU_CYCLE_1)
	s_or_b32 s2, s4, s2
	s_delay_alu instid0(SALU_CYCLE_1)
	v_cndmask_b32_e64 v49, v1, v5, s2
	v_cndmask_b32_e64 v1, v4, v47, s2
	v_lshlrev_b64 v[4:5], 2, v[2:3]
	v_fma_f32 v2, -v44, v48, v46
	v_cmp_eq_u32_e64 s2, 0, v7
	v_mov_b32_dpp v44, v49 row_half_mirror row_mask:0xf bank_mask:0xf
	v_mov_b32_dpp v3, v1 row_half_mirror row_mask:0xf bank_mask:0xf
	s_delay_alu instid0(VALU_DEP_4) | instskip(SKIP_1) | instid1(VALU_DEP_4)
	v_div_fmas_f32 v2, v2, v45, v48
	v_add_co_u32 v4, s5, s12, v4
	v_cmp_eq_f32_e64 s3, v49, v44
	s_delay_alu instid0(VALU_DEP_4) | instskip(SKIP_3) | instid1(VALU_DEP_4)
	v_cmp_lt_i32_e64 s4, v3, v1
	v_cmp_lt_f32_e32 vcc_lo, v49, v44
	v_add_co_ci_u32_e64 v5, s5, s13, v5, s5
	v_div_fixup_f32 v2, v2, v14, 1.0
	s_and_b32 s3, s3, s4
	s_delay_alu instid0(SALU_CYCLE_1)
	s_or_b32 vcc_lo, vcc_lo, s3
	s_cmp_gt_i32 s8, 0
	v_cndmask_b32_e32 v14, v49, v44, vcc_lo
	s_cselect_b32 s3, -1, 0
	s_cmp_lt_i32 s8, 1
	global_store_b32 v[4:5], v2, off
	s_cbranch_scc1 .LBB287_16
; %bb.5:
	s_load_b128 s[4:7], s[0:1], 0x20
	v_mul_lo_u32 v2, v43, s14
	v_mul_lo_u32 v4, v43, s8
	v_cndmask_b32_e32 v44, v1, v3, vcc_lo
	v_mov_b32_e32 v12, 0
	s_and_saveexec_b32 s1, s2
	s_cbranch_execz .LBB287_7
; %bb.6:
	v_sub_f32_e32 v12, v14, v14
	v_cmp_le_i32_e32 vcc_lo, s9, v44
	v_cmp_gt_i32_e64 s0, s10, v44
	v_subrev_nc_u32_e32 v51, s9, v44
	v_ashrrev_i32_e32 v5, 31, v4
	v_mul_f32_e32 v1, 0x3fb8aa3b, v12
	s_delay_alu instid0(VALU_DEP_4) | instskip(NEXT) | instid1(SALU_CYCLE_1)
	s_and_b32 s0, vcc_lo, s0
	s_and_b32 vcc_lo, s17, s0
	s_delay_alu instid0(VALU_DEP_1) | instskip(SKIP_2) | instid1(VALU_DEP_3)
	v_rndne_f32_e32 v47, v1
	v_fma_f32 v3, 0x3fb8aa3b, v12, -v1
	v_lshlrev_b64 v[49:50], 2, v[4:5]
	v_sub_f32_e32 v1, v1, v47
	s_delay_alu instid0(VALU_DEP_3) | instskip(NEXT) | instid1(VALU_DEP_1)
	v_fmamk_f32 v3, v12, 0x32a5705f, v3
	v_add_f32_e32 v3, v1, v3
	v_ashrrev_i32_e32 v1, 31, v0
	s_delay_alu instid0(VALU_DEP_2) | instskip(NEXT) | instid1(VALU_DEP_1)
	v_exp_f32_e32 v52, v3
	v_lshlrev_b64 v[45:46], 2, v[0:1]
	v_ashrrev_i32_e32 v3, 31, v2
	v_cvt_i32_f32_e32 v1, v47
	s_delay_alu instid0(VALU_DEP_2) | instskip(SKIP_3) | instid1(TRANS32_DEP_1)
	v_lshlrev_b64 v[47:48], 2, v[2:3]
	v_cndmask_b32_e32 v3, 0x80, v51, vcc_lo
	v_add_co_u32 v45, vcc_lo, s12, v45
	v_add_co_ci_u32_e32 v46, vcc_lo, s13, v46, vcc_lo
	v_ldexp_f32 v1, v52, v1
	v_cmp_ngt_f32_e32 vcc_lo, 0xc2ce8ed0, v12
	s_delay_alu instid0(VALU_DEP_2)
	v_cndmask_b32_e32 v1, 0, v1, vcc_lo
	s_waitcnt lgkmcnt(0)
	v_add_co_u32 v47, vcc_lo, s4, v47
	v_add_co_ci_u32_e32 v48, vcc_lo, s5, v48, vcc_lo
	v_cmp_nlt_f32_e32 vcc_lo, 0x42b17218, v12
	v_cndmask_b32_e32 v12, 0x7f800000, v1, vcc_lo
	v_add_co_u32 v49, vcc_lo, s6, v49
	v_add_co_ci_u32_e32 v50, vcc_lo, s7, v50, vcc_lo
	global_store_b32 v[47:48], v3, off
	global_store_b32 v[45:46], v12, off
	;; [unrolled: 1-line block ×3, first 2 shown]
.LBB287_7:
	s_or_b32 exec_lo, exec_lo, s1
	v_ashrrev_i32_e32 v3, 31, v44
	s_mov_b32 s0, exec_lo
	s_delay_alu instid0(VALU_DEP_1) | instskip(NEXT) | instid1(VALU_DEP_1)
	v_lshrrev_b32_e32 v1, 28, v3
	v_add_nc_u32_e32 v1, v44, v1
	s_delay_alu instid0(VALU_DEP_1) | instskip(NEXT) | instid1(VALU_DEP_1)
	v_ashrrev_i32_e32 v1, 4, v1
	v_lshrrev_b32_e32 v5, 29, v1
	s_delay_alu instid0(VALU_DEP_1) | instskip(NEXT) | instid1(VALU_DEP_1)
	v_add_nc_u32_e32 v5, v1, v5
	v_and_b32_e32 v5, -8, v5
	s_delay_alu instid0(VALU_DEP_1) | instskip(NEXT) | instid1(VALU_DEP_1)
	v_sub_nc_u32_e32 v5, v1, v5
	v_cmpx_eq_u32_e64 v7, v5
	s_cbranch_execz .LBB287_9
; %bb.8:
	v_lshrrev_b32_e32 v3, 25, v3
	v_lshlrev_b32_e32 v1, 4, v1
	s_delay_alu instid0(VALU_DEP_2) | instskip(NEXT) | instid1(VALU_DEP_2)
	v_add_nc_u32_e32 v3, v44, v3
	v_sub_nc_u32_e32 v1, v44, v1
	s_delay_alu instid0(VALU_DEP_2) | instskip(NEXT) | instid1(VALU_DEP_1)
	v_ashrrev_i32_e32 v3, 7, v3
	v_lshl_add_u32 v1, v3, 4, v1
	s_delay_alu instid0(VALU_DEP_1)
	v_cmp_ne_u32_e32 vcc_lo, 15, v1
	v_cndmask_b32_e32 v8, 0xff800000, v8, vcc_lo
	v_cmp_ne_u32_e32 vcc_lo, 14, v1
	v_cndmask_b32_e32 v9, 0xff800000, v9, vcc_lo
	;; [unrolled: 2-line block ×16, first 2 shown]
.LBB287_9:
	s_or_b32 exec_lo, exec_lo, s0
	s_cmp_eq_u32 s8, 1
	s_cbranch_scc1 .LBB287_16
; %bb.10:
	s_add_i32 s18, s18, s16
	v_add_nc_u32_e32 v1, 1, v4
	v_add3_u32 v41, s18, v41, v6
	v_add_nc_u32_e32 v3, 1, v2
	v_add_nc_u32_e32 v5, 1, v0
	s_add_i32 s11, s8, -1
	s_branch .LBB287_12
.LBB287_11:                             ;   in Loop: Header=BB287_12 Depth=1
	s_or_b32 exec_lo, exec_lo, s0
	v_add_nc_u32_e32 v41, s16, v41
	v_add_nc_u32_e32 v1, 1, v1
	;; [unrolled: 1-line block ×4, first 2 shown]
	s_add_i32 s11, s11, -1
	s_delay_alu instid0(SALU_CYCLE_1)
	s_cmp_eq_u32 s11, 0
	s_cbranch_scc1 .LBB287_16
.LBB287_12:                             ; =>This Inner Loop Header: Depth=1
	v_cmp_gt_f32_e32 vcc_lo, v21, v22
	v_cndmask_b32_e32 v4, v22, v21, vcc_lo
	v_cndmask_b32_e32 v2, v25, v27, vcc_lo
	s_delay_alu instid0(VALU_DEP_2) | instskip(SKIP_1) | instid1(VALU_DEP_3)
	v_cmp_gt_f32_e32 vcc_lo, v26, v4
	v_cndmask_b32_e32 v4, v4, v26, vcc_lo
	v_cndmask_b32_e32 v2, v2, v28, vcc_lo
	s_delay_alu instid0(VALU_DEP_2) | instskip(SKIP_1) | instid1(VALU_DEP_3)
	;; [unrolled: 4-line block ×13, first 2 shown]
	v_cmp_gt_f32_e32 vcc_lo, v9, v4
	v_cndmask_b32_e32 v4, v4, v9, vcc_lo
	v_cndmask_b32_e32 v2, v2, v40, vcc_lo
	s_delay_alu instid0(VALU_DEP_2) | instskip(NEXT) | instid1(VALU_DEP_2)
	v_cmp_gt_f32_e32 vcc_lo, v8, v4
	v_cndmask_b32_e32 v2, v2, v42, vcc_lo
	v_cndmask_b32_e32 v4, v4, v8, vcc_lo
	s_delay_alu instid0(VALU_DEP_2) | instskip(NEXT) | instid1(VALU_DEP_2)
	v_mov_b32_dpp v6, v2 quad_perm:[1,0,3,2] row_mask:0xf bank_mask:0xf
	v_mov_b32_dpp v43, v4 quad_perm:[1,0,3,2] row_mask:0xf bank_mask:0xf
	s_delay_alu instid0(VALU_DEP_2) | instskip(NEXT) | instid1(VALU_DEP_2)
	v_cmp_lt_i32_e32 vcc_lo, v6, v2
	v_cmp_eq_f32_e64 s0, v4, v43
	v_cmp_lt_f32_e64 s1, v4, v43
	s_delay_alu instid0(VALU_DEP_2)
	s_and_b32 s0, s0, vcc_lo
	s_delay_alu instid0(VALU_DEP_1) | instid1(SALU_CYCLE_1)
	s_or_b32 vcc_lo, s1, s0
	v_cndmask_b32_e32 v4, v4, v43, vcc_lo
	v_cndmask_b32_e32 v6, v2, v6, vcc_lo
	s_delay_alu instid0(VALU_DEP_2) | instskip(NEXT) | instid1(VALU_DEP_2)
	v_mov_b32_dpp v2, v4 quad_perm:[2,3,0,1] row_mask:0xf bank_mask:0xf
	v_mov_b32_dpp v43, v6 quad_perm:[2,3,0,1] row_mask:0xf bank_mask:0xf
	s_delay_alu instid0(VALU_DEP_2) | instskip(NEXT) | instid1(VALU_DEP_2)
	v_cmp_eq_f32_e32 vcc_lo, v4, v2
	v_cmp_lt_i32_e64 s0, v43, v6
	v_cmp_lt_f32_e64 s1, v4, v2
	s_delay_alu instid0(VALU_DEP_2)
	s_and_b32 s0, vcc_lo, s0
	s_delay_alu instid0(VALU_DEP_1) | instid1(SALU_CYCLE_1)
	s_or_b32 vcc_lo, s1, s0
	v_cndmask_b32_e32 v2, v4, v2, vcc_lo
	v_cndmask_b32_e32 v6, v6, v43, vcc_lo
	s_delay_alu instid0(VALU_DEP_2) | instskip(NEXT) | instid1(VALU_DEP_2)
	v_mov_b32_dpp v4, v2 row_half_mirror row_mask:0xf bank_mask:0xf
	v_mov_b32_dpp v43, v6 row_half_mirror row_mask:0xf bank_mask:0xf
	s_delay_alu instid0(VALU_DEP_2) | instskip(NEXT) | instid1(VALU_DEP_2)
	v_cmp_eq_f32_e32 vcc_lo, v2, v4
	v_cmp_lt_i32_e64 s0, v43, v6
	v_cmp_lt_f32_e64 s1, v2, v4
	s_delay_alu instid0(VALU_DEP_2)
	s_and_b32 s0, vcc_lo, s0
	s_delay_alu instid0(VALU_DEP_1) | instid1(SALU_CYCLE_1)
	s_or_b32 vcc_lo, s1, s0
	v_cndmask_b32_e32 v43, v6, v43, vcc_lo
	s_and_saveexec_b32 s1, s2
	s_cbranch_execz .LBB287_14
; %bb.13:                               ;   in Loop: Header=BB287_12 Depth=1
	v_cndmask_b32_e32 v2, v2, v4, vcc_lo
	s_delay_alu instid0(VALU_DEP_2) | instskip(SKIP_4) | instid1(VALU_DEP_4)
	v_cmp_le_i32_e32 vcc_lo, s9, v43
	v_cmp_gt_i32_e64 s0, s10, v43
	v_ashrrev_i32_e32 v6, 31, v5
	v_subrev_nc_u32_e32 v51, s9, v43
	v_sub_f32_e32 v50, v2, v14
	s_and_b32 s0, vcc_lo, s0
	s_delay_alu instid0(SALU_CYCLE_1) | instskip(NEXT) | instid1(VALU_DEP_1)
	s_and_b32 vcc_lo, s17, s0
	v_mul_f32_e32 v2, 0x3fb8aa3b, v50
	s_delay_alu instid0(VALU_DEP_1) | instskip(SKIP_1) | instid1(VALU_DEP_2)
	v_fma_f32 v4, 0x3fb8aa3b, v50, -v2
	v_rndne_f32_e32 v44, v2
	v_fmac_f32_e32 v4, 0x32a5705f, v50
	s_delay_alu instid0(VALU_DEP_2) | instskip(SKIP_2) | instid1(VALU_DEP_3)
	v_sub_f32_e32 v2, v2, v44
	v_cvt_i32_f32_e32 v49, v44
	v_lshlrev_b64 v[44:45], 2, v[5:6]
	v_add_f32_e32 v2, v2, v4
	v_ashrrev_i32_e32 v4, 31, v3
	s_delay_alu instid0(VALU_DEP_2) | instskip(SKIP_1) | instid1(VALU_DEP_2)
	v_exp_f32_e32 v48, v2
	v_ashrrev_i32_e32 v2, 31, v1
	v_lshlrev_b64 v[46:47], 2, v[3:4]
	s_waitcnt_depctr 0xfff
	v_ldexp_f32 v4, v48, v49
	v_lshlrev_b64 v[48:49], 2, v[1:2]
	v_cndmask_b32_e32 v2, 0x80, v51, vcc_lo
	v_cmp_ngt_f32_e32 vcc_lo, 0xc2ce8ed0, v50
	s_delay_alu instid0(VALU_DEP_4) | instskip(SKIP_3) | instid1(VALU_DEP_4)
	v_cndmask_b32_e32 v4, 0, v4, vcc_lo
	v_add_co_u32 v44, vcc_lo, s12, v44
	v_add_co_ci_u32_e32 v45, vcc_lo, s13, v45, vcc_lo
	v_cmp_nlt_f32_e32 vcc_lo, 0x42b17218, v50
	v_cndmask_b32_e32 v4, 0x7f800000, v4, vcc_lo
	s_waitcnt lgkmcnt(0)
	v_add_co_u32 v46, vcc_lo, s4, v46
	v_add_co_ci_u32_e32 v47, vcc_lo, s5, v47, vcc_lo
	v_add_co_u32 v48, vcc_lo, s6, v48
	v_add_f32_e32 v12, v12, v4
	v_add_co_ci_u32_e32 v49, vcc_lo, s7, v49, vcc_lo
	global_store_b32 v[44:45], v4, off
	global_store_b32 v[46:47], v2, off
	;; [unrolled: 1-line block ×3, first 2 shown]
.LBB287_14:                             ;   in Loop: Header=BB287_12 Depth=1
	s_or_b32 exec_lo, exec_lo, s1
	s_delay_alu instid0(VALU_DEP_1) | instskip(SKIP_1) | instid1(VALU_DEP_1)
	v_ashrrev_i32_e32 v4, 31, v43
	s_mov_b32 s0, exec_lo
	v_lshrrev_b32_e32 v2, 28, v4
	s_delay_alu instid0(VALU_DEP_1) | instskip(NEXT) | instid1(VALU_DEP_1)
	v_add_nc_u32_e32 v2, v43, v2
	v_ashrrev_i32_e32 v2, 4, v2
	s_delay_alu instid0(VALU_DEP_1) | instskip(NEXT) | instid1(VALU_DEP_1)
	v_lshrrev_b32_e32 v6, 29, v2
	v_add_nc_u32_e32 v6, v2, v6
	s_delay_alu instid0(VALU_DEP_1) | instskip(NEXT) | instid1(VALU_DEP_1)
	v_and_b32_e32 v6, -8, v6
	v_sub_nc_u32_e32 v6, v2, v6
	s_delay_alu instid0(VALU_DEP_1)
	v_cmpx_eq_u32_e64 v7, v6
	s_cbranch_execz .LBB287_11
; %bb.15:                               ;   in Loop: Header=BB287_12 Depth=1
	v_lshrrev_b32_e32 v4, 25, v4
	v_lshlrev_b32_e32 v2, 4, v2
	s_delay_alu instid0(VALU_DEP_2) | instskip(NEXT) | instid1(VALU_DEP_2)
	v_add_nc_u32_e32 v4, v43, v4
	v_sub_nc_u32_e32 v2, v43, v2
	s_delay_alu instid0(VALU_DEP_2) | instskip(NEXT) | instid1(VALU_DEP_1)
	v_ashrrev_i32_e32 v4, 7, v4
	v_lshl_add_u32 v2, v4, 4, v2
	s_delay_alu instid0(VALU_DEP_1)
	v_cmp_ne_u32_e32 vcc_lo, 15, v2
	v_cndmask_b32_e32 v8, 0xff800000, v8, vcc_lo
	v_cmp_ne_u32_e32 vcc_lo, 14, v2
	v_cndmask_b32_e32 v9, 0xff800000, v9, vcc_lo
	;; [unrolled: 2-line block ×16, first 2 shown]
	s_branch .LBB287_11
.LBB287_16:
	v_sub_f32_e32 v4, v26, v14
	v_sub_f32_e32 v1, v22, v14
	;; [unrolled: 1-line block ×4, first 2 shown]
	s_delay_alu instid0(VALU_DEP_4) | instskip(NEXT) | instid1(VALU_DEP_4)
	v_dual_sub_f32 v13, v13, v14 :: v_dual_mul_f32 v26, 0x3fb8aa3b, v4
	v_dual_sub_f32 v2, v21, v14 :: v_dual_mul_f32 v3, 0x3fb8aa3b, v1
	v_cmp_ngt_f32_e32 vcc_lo, 0xc2ce8ed0, v1
	v_sub_f32_e32 v8, v8, v14
	v_sub_f32_e32 v9, v9, v14
	;; [unrolled: 1-line block ×3, first 2 shown]
	v_fma_f32 v22, 0x3fb8aa3b, v1, -v3
	v_sub_f32_e32 v21, v23, v14
	v_rndne_f32_e32 v23, v3
	s_delay_alu instid0(VALU_DEP_3) | instskip(NEXT) | instid1(VALU_DEP_3)
	v_fmac_f32_e32 v22, 0x32a5705f, v1
	v_dual_mul_f32 v5, 0x3fb8aa3b, v2 :: v_dual_mul_f32 v28, 0x3fb8aa3b, v21
	s_delay_alu instid0(VALU_DEP_3) | instskip(SKIP_1) | instid1(VALU_DEP_3)
	v_sub_f32_e32 v3, v3, v23
	v_cvt_i32_f32_e32 v23, v23
	v_rndne_f32_e32 v25, v5
	v_sub_f32_e32 v6, v24, v14
	s_delay_alu instid0(VALU_DEP_4) | instskip(SKIP_4) | instid1(VALU_DEP_4)
	v_add_f32_e32 v3, v3, v22
	v_fma_f32 v22, 0x3fb8aa3b, v4, -v26
	v_fma_f32 v24, 0x3fb8aa3b, v2, -v5
	v_sub_f32_e32 v5, v5, v25
	v_cvt_i32_f32_e32 v25, v25
	v_fmac_f32_e32 v22, 0x32a5705f, v4
	v_exp_f32_e32 v3, v3
	s_waitcnt_depctr 0xfff
	v_ldexp_f32 v3, v3, v23
	s_delay_alu instid0(VALU_DEP_1) | instskip(NEXT) | instid1(VALU_DEP_1)
	v_dual_fmac_f32 v24, 0x32a5705f, v2 :: v_dual_cndmask_b32 v3, 0, v3
	v_add_f32_e32 v5, v5, v24
	v_rndne_f32_e32 v24, v26
	v_mul_f32_e32 v27, 0x3fb8aa3b, v6
	v_cmp_ngt_f32_e32 vcc_lo, 0xc2ce8ed0, v2
	s_delay_alu instid0(VALU_DEP_3) | instskip(NEXT) | instid1(VALU_DEP_3)
	v_sub_f32_e32 v26, v26, v24
	v_fma_f32 v29, 0x3fb8aa3b, v6, -v27
	v_rndne_f32_e32 v30, v27
	v_cvt_i32_f32_e32 v24, v24
	s_delay_alu instid0(VALU_DEP_4) | instskip(SKIP_1) | instid1(VALU_DEP_1)
	v_add_f32_e32 v22, v26, v22
	v_exp_f32_e32 v5, v5
	v_exp_f32_e32 v22, v22
	s_waitcnt_depctr 0xfff
	v_ldexp_f32 v5, v5, v25
	s_delay_alu instid0(VALU_DEP_1)
	v_cndmask_b32_e32 v5, 0, v5, vcc_lo
	v_cmp_nlt_f32_e32 vcc_lo, 0x42b17218, v1
	v_cndmask_b32_e32 v1, 0x7f800000, v3, vcc_lo
	v_cmp_nlt_f32_e32 vcc_lo, 0x42b17218, v2
	v_sub_f32_e32 v23, v27, v30
	v_fma_f32 v3, 0x3fb8aa3b, v21, -v28
	v_cndmask_b32_e32 v2, 0x7f800000, v5, vcc_lo
	v_ldexp_f32 v5, v22, v24
	v_cmp_ngt_f32_e32 vcc_lo, 0xc2ce8ed0, v4
	v_fmac_f32_e32 v29, 0x32a5705f, v6
	v_rndne_f32_e32 v22, v28
	s_delay_alu instid0(VALU_DEP_4) | instskip(NEXT) | instid1(VALU_DEP_3)
	v_dual_add_f32 v1, v1, v2 :: v_dual_cndmask_b32 v2, 0, v5
	v_add_f32_e32 v23, v23, v29
	v_cvt_i32_f32_e32 v5, v30
	v_cmp_nlt_f32_e32 vcc_lo, 0x42b17218, v4
	v_sub_f32_e32 v24, v28, v22
	s_delay_alu instid0(VALU_DEP_4) | instskip(SKIP_2) | instid1(VALU_DEP_2)
	v_exp_f32_e32 v23, v23
	v_cndmask_b32_e32 v2, 0x7f800000, v2, vcc_lo
	v_cmp_ngt_f32_e32 vcc_lo, 0xc2ce8ed0, v6
	v_add_f32_e32 v1, v1, v2
	s_waitcnt_depctr 0xfff
	v_ldexp_f32 v4, v23, v5
	v_mul_f32_e32 v5, 0x3fb8aa3b, v20
	s_delay_alu instid0(VALU_DEP_2)
	v_cndmask_b32_e32 v2, 0, v4, vcc_lo
	v_cmp_nlt_f32_e32 vcc_lo, 0x42b17218, v6
	v_cvt_i32_f32_e32 v6, v22
	v_mul_f32_e32 v22, 0x3fb8aa3b, v19
	v_fma_f32 v4, 0x3fb8aa3b, v20, -v5
	v_fmac_f32_e32 v3, 0x32a5705f, v21
	v_rndne_f32_e32 v23, v5
	v_cndmask_b32_e32 v2, 0x7f800000, v2, vcc_lo
	v_cmp_ngt_f32_e32 vcc_lo, 0xc2ce8ed0, v21
	s_delay_alu instid0(VALU_DEP_4) | instskip(NEXT) | instid1(VALU_DEP_4)
	v_dual_fmac_f32 v4, 0x32a5705f, v20 :: v_dual_add_f32 v3, v24, v3
	v_sub_f32_e32 v5, v5, v23
	s_delay_alu instid0(VALU_DEP_4) | instskip(NEXT) | instid1(VALU_DEP_3)
	v_add_f32_e32 v1, v1, v2
	v_exp_f32_e32 v3, v3
	s_waitcnt_depctr 0xfff
	v_ldexp_f32 v2, v3, v6
	v_add_f32_e32 v3, v5, v4
	v_fma_f32 v4, 0x3fb8aa3b, v19, -v22
	v_rndne_f32_e32 v5, v22
	s_delay_alu instid0(VALU_DEP_4) | instskip(NEXT) | instid1(VALU_DEP_4)
	v_cndmask_b32_e32 v2, 0, v2, vcc_lo
	v_exp_f32_e32 v3, v3
	s_delay_alu instid0(VALU_DEP_3) | instskip(NEXT) | instid1(VALU_DEP_3)
	v_fmac_f32_e32 v4, 0x32a5705f, v19
	v_sub_f32_e32 v6, v22, v5
	v_cmp_nlt_f32_e32 vcc_lo, 0x42b17218, v21
	v_cvt_i32_f32_e32 v21, v23
	v_cvt_i32_f32_e32 v5, v5
	s_delay_alu instid0(VALU_DEP_4) | instskip(SKIP_2) | instid1(VALU_DEP_2)
	v_add_f32_e32 v4, v6, v4
	v_cndmask_b32_e32 v2, 0x7f800000, v2, vcc_lo
	v_cmp_ngt_f32_e32 vcc_lo, 0xc2ce8ed0, v20
	v_add_f32_e32 v1, v1, v2
	v_ldexp_f32 v2, v3, v21
	v_exp_f32_e32 v3, v4
	s_delay_alu instid0(VALU_DEP_1) | instskip(SKIP_1) | instid1(VALU_DEP_2)
	v_cndmask_b32_e32 v2, 0, v2, vcc_lo
	v_cmp_nlt_f32_e32 vcc_lo, 0x42b17218, v20
	v_cndmask_b32_e32 v2, 0x7f800000, v2, vcc_lo
	s_waitcnt_depctr 0xfff
	v_ldexp_f32 v3, v3, v5
	v_cmp_ngt_f32_e32 vcc_lo, 0xc2ce8ed0, v19
	v_sub_f32_e32 v5, v17, v14
	v_sub_f32_e32 v18, v18, v14
	s_delay_alu instid0(VALU_DEP_1) | instskip(NEXT) | instid1(VALU_DEP_1)
	v_mul_f32_e32 v6, 0x3fb8aa3b, v18
	v_fma_f32 v4, 0x3fb8aa3b, v18, -v6
	v_rndne_f32_e32 v21, v6
	s_delay_alu instid0(VALU_DEP_2) | instskip(NEXT) | instid1(VALU_DEP_2)
	v_fmac_f32_e32 v4, 0x32a5705f, v18
	v_sub_f32_e32 v6, v6, v21
	s_delay_alu instid0(VALU_DEP_1) | instskip(SKIP_3) | instid1(VALU_DEP_4)
	v_dual_add_f32 v4, v6, v4 :: v_dual_add_f32 v1, v1, v2
	v_cndmask_b32_e32 v2, 0, v3, vcc_lo
	v_cmp_nlt_f32_e32 vcc_lo, 0x42b17218, v19
	v_sub_f32_e32 v6, v16, v14
	v_exp_f32_e32 v3, v4
	v_mul_f32_e32 v4, 0x3fb8aa3b, v5
	v_cvt_i32_f32_e32 v16, v21
	v_mul_f32_e32 v21, 0x3fb8aa3b, v13
	v_cndmask_b32_e32 v2, 0x7f800000, v2, vcc_lo
	s_delay_alu instid0(VALU_DEP_4) | instskip(SKIP_1) | instid1(VALU_DEP_3)
	v_fma_f32 v17, 0x3fb8aa3b, v5, -v4
	v_rndne_f32_e32 v19, v4
	v_add_f32_e32 v1, v1, v2
	s_delay_alu instid0(TRANS32_DEP_1) | instskip(NEXT) | instid1(VALU_DEP_4)
	v_ldexp_f32 v2, v3, v16
	v_fmac_f32_e32 v17, 0x32a5705f, v5
	s_delay_alu instid0(VALU_DEP_4) | instskip(SKIP_2) | instid1(VALU_DEP_3)
	v_sub_f32_e32 v3, v4, v19
	v_cmp_ngt_f32_e32 vcc_lo, 0xc2ce8ed0, v18
	v_cvt_i32_f32_e32 v19, v19
	v_dual_add_f32 v3, v3, v17 :: v_dual_cndmask_b32 v2, 0, v2
	v_cmp_nlt_f32_e32 vcc_lo, 0x42b17218, v18
	s_delay_alu instid0(VALU_DEP_2) | instskip(NEXT) | instid1(VALU_DEP_2)
	v_exp_f32_e32 v3, v3
	v_cndmask_b32_e32 v2, 0x7f800000, v2, vcc_lo
	v_cmp_ngt_f32_e32 vcc_lo, 0xc2ce8ed0, v5
	s_delay_alu instid0(VALU_DEP_2) | instskip(SKIP_3) | instid1(VALU_DEP_2)
	v_add_f32_e32 v1, v1, v2
	s_waitcnt_depctr 0xfff
	v_ldexp_f32 v2, v3, v19
	v_rndne_f32_e32 v19, v21
	v_cndmask_b32_e32 v2, 0, v2, vcc_lo
	v_cmp_nlt_f32_e32 vcc_lo, 0x42b17218, v5
	s_delay_alu instid0(VALU_DEP_2) | instskip(SKIP_2) | instid1(VALU_DEP_1)
	v_cndmask_b32_e32 v2, 0x7f800000, v2, vcc_lo
	v_cmp_ngt_f32_e32 vcc_lo, 0xc2ce8ed0, v6
	v_mul_f32_e32 v20, 0x3fb8aa3b, v6
	v_fma_f32 v4, 0x3fb8aa3b, v6, -v20
	v_rndne_f32_e32 v16, v20
	s_delay_alu instid0(VALU_DEP_1) | instskip(SKIP_1) | instid1(VALU_DEP_2)
	v_dual_fmac_f32 v4, 0x32a5705f, v6 :: v_dual_sub_f32 v17, v20, v16
	v_cvt_i32_f32_e32 v3, v16
	v_add_f32_e32 v4, v17, v4
	v_mul_f32_e32 v20, 0x3fb8aa3b, v15
	s_delay_alu instid0(VALU_DEP_2) | instskip(NEXT) | instid1(VALU_DEP_1)
	v_exp_f32_e32 v4, v4
	v_fma_f32 v17, 0x3fb8aa3b, v15, -v20
	v_rndne_f32_e32 v18, v20
	s_delay_alu instid0(VALU_DEP_2) | instskip(NEXT) | instid1(VALU_DEP_2)
	v_fmac_f32_e32 v17, 0x32a5705f, v15
	v_cvt_i32_f32_e32 v5, v18
	s_waitcnt_depctr 0xfff
	v_ldexp_f32 v3, v4, v3
	s_delay_alu instid0(VALU_DEP_1) | instskip(SKIP_1) | instid1(VALU_DEP_2)
	v_cndmask_b32_e32 v3, 0, v3, vcc_lo
	v_cmp_nlt_f32_e32 vcc_lo, 0x42b17218, v6
	v_dual_sub_f32 v20, v20, v18 :: v_dual_cndmask_b32 v3, 0x7f800000, v3
	s_delay_alu instid0(VALU_DEP_1) | instskip(SKIP_2) | instid1(VALU_DEP_3)
	v_add_f32_e32 v16, v20, v17
	v_fma_f32 v17, 0x3fb8aa3b, v13, -v21
	v_cmp_ngt_f32_e32 vcc_lo, 0xc2ce8ed0, v15
	v_exp_f32_e32 v4, v16
	s_delay_alu instid0(VALU_DEP_2) | instskip(NEXT) | instid1(VALU_DEP_1)
	v_dual_fmac_f32 v17, 0x32a5705f, v13 :: v_dual_sub_f32 v16, v21, v19
	v_dual_add_f32 v16, v16, v17 :: v_dual_add_f32 v1, v1, v2
	s_waitcnt_depctr 0xfff
	v_ldexp_f32 v2, v4, v5
	v_sub_f32_e32 v5, v11, v14
	v_exp_f32_e32 v4, v16
	v_mul_f32_e32 v16, 0x3fb8aa3b, v8
	s_delay_alu instid0(VALU_DEP_3)
	v_cndmask_b32_e32 v2, 0, v2, vcc_lo
	v_cmp_nlt_f32_e32 vcc_lo, 0x42b17218, v15
	v_dual_mul_f32 v6, 0x3fb8aa3b, v5 :: v_dual_add_f32 v1, v1, v3
	v_cvt_i32_f32_e32 v3, v19
	v_rndne_f32_e32 v17, v16
	v_cndmask_b32_e32 v2, 0x7f800000, v2, vcc_lo
	v_cmp_ngt_f32_e32 vcc_lo, 0xc2ce8ed0, v13
	s_delay_alu instid0(TRANS32_DEP_1) | instid1(VALU_DEP_4)
	v_ldexp_f32 v3, v4, v3
	v_rndne_f32_e32 v4, v6
	s_delay_alu instid0(VALU_DEP_4) | instskip(SKIP_1) | instid1(VALU_DEP_4)
	v_add_f32_e32 v1, v1, v2
	v_fma_f32 v2, 0x3fb8aa3b, v5, -v6
	v_cndmask_b32_e32 v3, 0, v3, vcc_lo
	v_cmp_nlt_f32_e32 vcc_lo, 0x42b17218, v13
	v_sub_f32_e32 v10, v10, v14
	s_delay_alu instid0(VALU_DEP_4) | instskip(SKIP_2) | instid1(VALU_DEP_4)
	v_fmac_f32_e32 v2, 0x32a5705f, v5
	v_mul_f32_e32 v13, 0x3fb8aa3b, v9
	v_dual_cndmask_b32 v3, 0x7f800000, v3 :: v_dual_sub_f32 v6, v6, v4
	v_mul_f32_e32 v11, 0x3fb8aa3b, v10
	s_delay_alu instid0(VALU_DEP_3) | instskip(SKIP_1) | instid1(VALU_DEP_4)
	v_fma_f32 v14, 0x3fb8aa3b, v9, -v13
	v_cvt_i32_f32_e32 v4, v4
	v_dual_add_f32 v1, v1, v3 :: v_dual_add_f32 v2, v6, v2
	s_delay_alu instid0(VALU_DEP_4)
	v_fma_f32 v3, 0x3fb8aa3b, v10, -v11
	v_rndne_f32_e32 v6, v11
	v_fmac_f32_e32 v14, 0x32a5705f, v9
	v_cmp_ngt_f32_e32 vcc_lo, 0xc2ce8ed0, v5
	v_exp_f32_e32 v2, v2
	v_fmac_f32_e32 v3, 0x32a5705f, v10
	v_sub_f32_e32 v11, v11, v6
	v_cvt_i32_f32_e32 v6, v6
	v_rndne_f32_e32 v15, v13
	s_delay_alu instid0(VALU_DEP_3) | instskip(NEXT) | instid1(VALU_DEP_2)
	v_add_f32_e32 v3, v11, v3
	v_sub_f32_e32 v11, v13, v15
	s_delay_alu instid0(TRANS32_DEP_1) | instskip(NEXT) | instid1(VALU_DEP_3)
	v_ldexp_f32 v2, v2, v4
	v_exp_f32_e32 v3, v3
	s_delay_alu instid0(VALU_DEP_1) | instskip(SKIP_2) | instid1(VALU_DEP_3)
	v_cndmask_b32_e32 v2, 0, v2, vcc_lo
	v_cmp_nlt_f32_e32 vcc_lo, 0x42b17218, v5
	v_cvt_i32_f32_e32 v5, v15
	v_cndmask_b32_e32 v2, 0x7f800000, v2, vcc_lo
	s_waitcnt_depctr 0xfff
	v_ldexp_f32 v3, v3, v6
	v_cmp_ngt_f32_e32 vcc_lo, 0xc2ce8ed0, v10
	v_add_f32_e32 v1, v1, v2
	s_delay_alu instid0(VALU_DEP_3) | instskip(SKIP_3) | instid1(VALU_DEP_3)
	v_cndmask_b32_e32 v3, 0, v3, vcc_lo
	v_fma_f32 v13, 0x3fb8aa3b, v8, -v16
	v_cmp_nlt_f32_e32 vcc_lo, 0x42b17218, v10
	v_dual_add_f32 v4, v11, v14 :: v_dual_sub_f32 v11, v16, v17
	v_fmac_f32_e32 v13, 0x32a5705f, v8
	v_cndmask_b32_e32 v3, 0x7f800000, v3, vcc_lo
	s_delay_alu instid0(VALU_DEP_3) | instskip(SKIP_1) | instid1(VALU_DEP_3)
	v_exp_f32_e32 v4, v4
	v_cmp_ngt_f32_e32 vcc_lo, 0xc2ce8ed0, v9
	v_add_f32_e32 v11, v11, v13
	s_delay_alu instid0(VALU_DEP_3) | instskip(NEXT) | instid1(VALU_DEP_2)
	v_add_f32_e32 v1, v1, v3
	v_exp_f32_e32 v6, v11
	s_waitcnt_depctr 0xfff
	v_ldexp_f32 v2, v4, v5
	v_cvt_i32_f32_e32 v4, v17
	s_delay_alu instid0(VALU_DEP_1) | instskip(NEXT) | instid1(VALU_DEP_3)
	v_ldexp_f32 v4, v6, v4
	v_cndmask_b32_e32 v2, 0, v2, vcc_lo
	v_cmp_nlt_f32_e32 vcc_lo, 0x42b17218, v9
	s_delay_alu instid0(VALU_DEP_2) | instskip(SKIP_1) | instid1(VALU_DEP_2)
	v_cndmask_b32_e32 v2, 0x7f800000, v2, vcc_lo
	v_cmp_ngt_f32_e32 vcc_lo, 0xc2ce8ed0, v8
	v_add_f32_e32 v1, v1, v2
	v_cndmask_b32_e32 v3, 0, v4, vcc_lo
	v_cmp_nlt_f32_e32 vcc_lo, 0x42b17218, v8
	s_delay_alu instid0(VALU_DEP_2) | instskip(SKIP_1) | instid1(VALU_DEP_2)
	v_cndmask_b32_e32 v2, 0x7f800000, v3, vcc_lo
	v_cmp_eq_u32_e32 vcc_lo, 0, v7
	v_add_f32_e32 v1, v1, v2
	s_delay_alu instid0(VALU_DEP_1) | instskip(NEXT) | instid1(VALU_DEP_1)
	v_mov_b32_dpp v2, v1 quad_perm:[1,0,3,2] row_mask:0xf bank_mask:0xf
	v_add_f32_e32 v1, v1, v2
	s_delay_alu instid0(VALU_DEP_1) | instskip(NEXT) | instid1(VALU_DEP_1)
	v_mov_b32_dpp v2, v1 quad_perm:[2,3,0,1] row_mask:0xf bank_mask:0xf
	v_add_f32_e32 v1, v1, v2
	s_delay_alu instid0(VALU_DEP_1)
	v_mov_b32_dpp v2, v1 row_half_mirror row_mask:0xf bank_mask:0xf
	s_and_b32 exec_lo, exec_lo, vcc_lo
	s_cbranch_execz .LBB287_21
; %bb.17:
	s_delay_alu instid0(VALU_DEP_1) | instskip(NEXT) | instid1(VALU_DEP_1)
	v_add_f32_e32 v1, v1, v2
	v_add_f32_e32 v2, v12, v1
	s_delay_alu instid0(VALU_DEP_1)
	v_cmp_neq_f32_e32 vcc_lo, 0, v2
	s_and_b32 exec_lo, exec_lo, vcc_lo
	s_cbranch_execz .LBB287_21
; %bb.18:
	s_and_not1_b32 vcc_lo, exec_lo, s3
	s_cbranch_vccnz .LBB287_21
; %bb.19:
	v_div_scale_f32 v1, null, v2, v2, 1.0
	v_div_scale_f32 v5, vcc_lo, 1.0, v2, 1.0
	s_delay_alu instid0(VALU_DEP_2) | instskip(SKIP_2) | instid1(VALU_DEP_1)
	v_rcp_f32_e32 v3, v1
	s_waitcnt_depctr 0xfff
	v_fma_f32 v4, -v1, v3, 1.0
	v_fmac_f32_e32 v3, v4, v3
	s_delay_alu instid0(VALU_DEP_1) | instskip(NEXT) | instid1(VALU_DEP_1)
	v_mul_f32_e32 v4, v5, v3
	v_fma_f32 v6, -v1, v4, v5
	s_delay_alu instid0(VALU_DEP_1) | instskip(NEXT) | instid1(VALU_DEP_1)
	v_fmac_f32_e32 v4, v6, v3
	v_fma_f32 v5, -v1, v4, v5
	v_ashrrev_i32_e32 v1, 31, v0
	s_delay_alu instid0(VALU_DEP_2) | instskip(NEXT) | instid1(VALU_DEP_2)
	v_div_fmas_f32 v3, v5, v3, v4
	v_lshlrev_b64 v[0:1], 2, v[0:1]
	s_delay_alu instid0(VALU_DEP_2) | instskip(NEXT) | instid1(VALU_DEP_2)
	v_div_fixup_f32 v2, v3, v2, 1.0
	v_add_co_u32 v0, vcc_lo, s12, v0
	s_delay_alu instid0(VALU_DEP_3)
	v_add_co_ci_u32_e32 v1, vcc_lo, s13, v1, vcc_lo
.LBB287_20:                             ; =>This Inner Loop Header: Depth=1
	global_load_b32 v3, v[0:1], off
	s_add_i32 s8, s8, -1
	s_delay_alu instid0(SALU_CYCLE_1)
	s_cmp_lg_u32 s8, 0
	s_waitcnt vmcnt(0)
	v_mul_f32_e32 v3, v2, v3
	global_store_b32 v[0:1], v3, off
	v_add_co_u32 v0, vcc_lo, v0, 4
	v_add_co_ci_u32_e32 v1, vcc_lo, 0, v1, vcc_lo
	s_cbranch_scc1 .LBB287_20
.LBB287_21:
	s_nop 0
	s_sendmsg sendmsg(MSG_DEALLOC_VGPRS)
	s_endpgm
	.section	.rodata,"a",@progbits
	.p2align	6, 0x0
	.amdhsa_kernel _ZN4vllm3moe17topkGatingSoftmaxItLi16ELi128ELi8ELi32ELb0ELi8ELNS0_23SharedExpertScoringFuncE1EEEvPKT_PKbPfiPiS9_iiiiii
		.amdhsa_group_segment_fixed_size 0
		.amdhsa_private_segment_fixed_size 0
		.amdhsa_kernarg_size 72
		.amdhsa_user_sgpr_count 15
		.amdhsa_user_sgpr_dispatch_ptr 0
		.amdhsa_user_sgpr_queue_ptr 0
		.amdhsa_user_sgpr_kernarg_segment_ptr 1
		.amdhsa_user_sgpr_dispatch_id 0
		.amdhsa_user_sgpr_private_segment_size 0
		.amdhsa_wavefront_size32 1
		.amdhsa_uses_dynamic_stack 0
		.amdhsa_enable_private_segment 0
		.amdhsa_system_sgpr_workgroup_id_x 1
		.amdhsa_system_sgpr_workgroup_id_y 0
		.amdhsa_system_sgpr_workgroup_id_z 0
		.amdhsa_system_sgpr_workgroup_info 0
		.amdhsa_system_vgpr_workitem_id 1
		.amdhsa_next_free_vgpr 53
		.amdhsa_next_free_sgpr 19
		.amdhsa_reserve_vcc 1
		.amdhsa_float_round_mode_32 0
		.amdhsa_float_round_mode_16_64 0
		.amdhsa_float_denorm_mode_32 3
		.amdhsa_float_denorm_mode_16_64 3
		.amdhsa_dx10_clamp 1
		.amdhsa_ieee_mode 1
		.amdhsa_fp16_overflow 0
		.amdhsa_workgroup_processor_mode 1
		.amdhsa_memory_ordered 1
		.amdhsa_forward_progress 0
		.amdhsa_shared_vgpr_count 0
		.amdhsa_exception_fp_ieee_invalid_op 0
		.amdhsa_exception_fp_denorm_src 0
		.amdhsa_exception_fp_ieee_div_zero 0
		.amdhsa_exception_fp_ieee_overflow 0
		.amdhsa_exception_fp_ieee_underflow 0
		.amdhsa_exception_fp_ieee_inexact 0
		.amdhsa_exception_int_div_zero 0
	.end_amdhsa_kernel
	.section	.text._ZN4vllm3moe17topkGatingSoftmaxItLi16ELi128ELi8ELi32ELb0ELi8ELNS0_23SharedExpertScoringFuncE1EEEvPKT_PKbPfiPiS9_iiiiii,"axG",@progbits,_ZN4vllm3moe17topkGatingSoftmaxItLi16ELi128ELi8ELi32ELb0ELi8ELNS0_23SharedExpertScoringFuncE1EEEvPKT_PKbPfiPiS9_iiiiii,comdat
.Lfunc_end287:
	.size	_ZN4vllm3moe17topkGatingSoftmaxItLi16ELi128ELi8ELi32ELb0ELi8ELNS0_23SharedExpertScoringFuncE1EEEvPKT_PKbPfiPiS9_iiiiii, .Lfunc_end287-_ZN4vllm3moe17topkGatingSoftmaxItLi16ELi128ELi8ELi32ELb0ELi8ELNS0_23SharedExpertScoringFuncE1EEEvPKT_PKbPfiPiS9_iiiiii
                                        ; -- End function
	.section	.AMDGPU.csdata,"",@progbits
; Kernel info:
; codeLenInByte = 4928
; NumSgprs: 21
; NumVgprs: 53
; ScratchSize: 0
; MemoryBound: 0
; FloatMode: 240
; IeeeMode: 1
; LDSByteSize: 0 bytes/workgroup (compile time only)
; SGPRBlocks: 2
; VGPRBlocks: 6
; NumSGPRsForWavesPerEU: 21
; NumVGPRsForWavesPerEU: 53
; Occupancy: 16
; WaveLimiterHint : 0
; COMPUTE_PGM_RSRC2:SCRATCH_EN: 0
; COMPUTE_PGM_RSRC2:USER_SGPR: 15
; COMPUTE_PGM_RSRC2:TRAP_HANDLER: 0
; COMPUTE_PGM_RSRC2:TGID_X_EN: 1
; COMPUTE_PGM_RSRC2:TGID_Y_EN: 0
; COMPUTE_PGM_RSRC2:TGID_Z_EN: 0
; COMPUTE_PGM_RSRC2:TIDIG_COMP_CNT: 1
	.section	.text._ZN4vllm3moe17topkGatingSoftmaxItLi16ELi256ELi8ELi32ELb1ELi0ELNS0_23SharedExpertScoringFuncE0EEEvPKT_PKbPfiPiS9_iiiiii,"axG",@progbits,_ZN4vllm3moe17topkGatingSoftmaxItLi16ELi256ELi8ELi32ELb1ELi0ELNS0_23SharedExpertScoringFuncE0EEEvPKT_PKbPfiPiS9_iiiiii,comdat
	.protected	_ZN4vllm3moe17topkGatingSoftmaxItLi16ELi256ELi8ELi32ELb1ELi0ELNS0_23SharedExpertScoringFuncE0EEEvPKT_PKbPfiPiS9_iiiiii ; -- Begin function _ZN4vllm3moe17topkGatingSoftmaxItLi16ELi256ELi8ELi32ELb1ELi0ELNS0_23SharedExpertScoringFuncE0EEEvPKT_PKbPfiPiS9_iiiiii
	.globl	_ZN4vllm3moe17topkGatingSoftmaxItLi16ELi256ELi8ELi32ELb1ELi0ELNS0_23SharedExpertScoringFuncE0EEEvPKT_PKbPfiPiS9_iiiiii
	.p2align	8
	.type	_ZN4vllm3moe17topkGatingSoftmaxItLi16ELi256ELi8ELi32ELb1ELi0ELNS0_23SharedExpertScoringFuncE0EEEvPKT_PKbPfiPiS9_iiiiii,@function
_ZN4vllm3moe17topkGatingSoftmaxItLi16ELi256ELi8ELi32ELb1ELi0ELNS0_23SharedExpertScoringFuncE0EEEvPKT_PKbPfiPiS9_iiiiii: ; @_ZN4vllm3moe17topkGatingSoftmaxItLi16ELi256ELi8ELi32ELb1ELi0ELNS0_23SharedExpertScoringFuncE0EEEvPKT_PKbPfiPiS9_iiiiii
; %bb.0:
	s_load_b32 s16, s[0:1], 0x18
	v_bfe_u32 v1, v0, 10, 10
	v_and_b32_e32 v0, 0x3ff, v0
	s_lshl_b32 s18, s15, 4
	s_mov_b32 s2, exec_lo
	s_delay_alu instid0(VALU_DEP_2) | instskip(NEXT) | instid1(VALU_DEP_2)
	v_lshlrev_b32_e32 v42, 1, v1
	v_lshrrev_b32_e32 v43, 4, v0
	s_delay_alu instid0(VALU_DEP_1) | instskip(SKIP_1) | instid1(VALU_DEP_1)
	v_add3_u32 v7, s18, v42, v43
	s_waitcnt lgkmcnt(0)
	v_cmpx_gt_i32_e64 s16, v7
	s_cbranch_execz .LBB288_20
; %bb.1:
	s_clause 0x1
	s_load_b128 s[4:7], s[0:1], 0x0
	s_load_b64 s[12:13], s[0:1], 0x10
	s_waitcnt lgkmcnt(0)
	s_cmp_eq_u64 s[6:7], 0
	s_cbranch_scc1 .LBB288_3
; %bb.2:
	v_ashrrev_i32_e32 v2, 31, v7
	v_add_co_u32 v1, vcc_lo, s6, v7
	s_delay_alu instid0(VALU_DEP_2) | instskip(SKIP_3) | instid1(VALU_DEP_1)
	v_add_co_ci_u32_e32 v2, vcc_lo, s7, v2, vcc_lo
	global_load_u8 v1, v[1:2], off
	s_waitcnt vmcnt(0)
	v_and_b32_e32 v1, 1, v1
	v_cmp_eq_u32_e32 vcc_lo, 1, v1
	s_xor_b32 s2, vcc_lo, -1
	s_delay_alu instid0(SALU_CYCLE_1)
	s_or_not1_b32 s17, s2, exec_lo
	s_branch .LBB288_4
.LBB288_3:
	s_mov_b32 s17, -1
.LBB288_4:
	s_load_b64 s[14:15], s[0:1], 0x40
	v_and_b32_e32 v8, 15, v0
	v_mov_b32_e32 v6, 0
	s_waitcnt lgkmcnt(0)
	v_mul_lo_u32 v1, v7, s15
	s_delay_alu instid0(VALU_DEP_1) | instskip(NEXT) | instid1(VALU_DEP_1)
	v_ashrrev_i32_e32 v2, 31, v1
	v_lshlrev_b64 v[0:1], 1, v[1:2]
	v_lshlrev_b32_e32 v2, 5, v8
	s_delay_alu instid0(VALU_DEP_2) | instskip(NEXT) | instid1(VALU_DEP_3)
	v_add_co_u32 v0, vcc_lo, s4, v0
	v_add_co_ci_u32_e32 v1, vcc_lo, s5, v1, vcc_lo
	s_load_b128 s[4:7], s[0:1], 0x30
	s_delay_alu instid0(VALU_DEP_2) | instskip(NEXT) | instid1(VALU_DEP_2)
	v_add_co_u32 v4, vcc_lo, v0, v2
	v_add_co_ci_u32_e32 v5, vcc_lo, 0, v1, vcc_lo
	s_clause 0x1
	global_load_b128 v[0:3], v[4:5], off
	global_load_b128 v[35:38], v[4:5], off offset:16
	s_waitcnt vmcnt(1)
	v_lshrrev_b32_e32 v4, 16, v0
	v_and_b32_e32 v0, 0xffff, v0
	s_delay_alu instid0(VALU_DEP_2) | instskip(NEXT) | instid1(VALU_DEP_2)
	v_cvt_f32_u32_e32 v10, v4
	v_cvt_f32_u32_e32 v11, v0
	v_and_b32_e32 v0, 0xffff, v1
	v_lshrrev_b32_e32 v1, 16, v1
	s_delay_alu instid0(VALU_DEP_3) | instskip(SKIP_1) | instid1(VALU_DEP_4)
	v_cmp_lt_f32_e32 vcc_lo, v11, v10
	v_lshlrev_b32_e32 v9, 4, v8
	v_cvt_f32_u32_e32 v13, v0
	s_delay_alu instid0(VALU_DEP_4) | instskip(SKIP_1) | instid1(VALU_DEP_4)
	v_cvt_f32_u32_e32 v15, v1
	v_cndmask_b32_e32 v4, v11, v10, vcc_lo
	v_or_b32_e32 v12, 1, v9
	v_or_b32_e32 v14, 2, v9
	;; [unrolled: 1-line block ×5, first 2 shown]
	v_cndmask_b32_e32 v0, v9, v12, vcc_lo
	v_cmp_lt_f32_e32 vcc_lo, v4, v13
	v_or_b32_e32 v22, 6, v9
	v_or_b32_e32 v24, 7, v9
	v_or_b32_e32 v26, 8, v9
	v_or_b32_e32 v28, 9, v9
	v_dual_cndmask_b32 v1, v4, v13 :: v_dual_and_b32 v4, 0xffff, v2
	v_lshrrev_b32_e32 v2, 16, v2
	v_or_b32_e32 v30, 10, v9
	v_or_b32_e32 v32, 11, v9
	v_or_b32_e32 v34, 12, v9
	v_cvt_f32_u32_e32 v17, v4
	v_cvt_f32_u32_e32 v19, v2
	v_and_b32_e32 v2, 0xffff, v3
	v_or_b32_e32 v40, 15, v9
	s_delay_alu instid0(VALU_DEP_2) | instskip(SKIP_4) | instid1(VALU_DEP_2)
	v_cvt_f32_u32_e32 v21, v2
	v_cndmask_b32_e32 v0, v0, v14, vcc_lo
	v_cmp_lt_f32_e32 vcc_lo, v1, v15
	v_lshrrev_b32_e32 v2, 16, v3
	v_cndmask_b32_e32 v1, v1, v15, vcc_lo
	v_cvt_f32_u32_e32 v23, v2
	s_waitcnt vmcnt(0)
	v_and_b32_e32 v2, 0xffff, v35
	s_delay_alu instid0(VALU_DEP_1) | instskip(SKIP_4) | instid1(VALU_DEP_2)
	v_cvt_f32_u32_e32 v25, v2
	v_cndmask_b32_e32 v0, v0, v16, vcc_lo
	v_cmp_lt_f32_e32 vcc_lo, v1, v17
	v_lshrrev_b32_e32 v2, 16, v35
	v_cndmask_b32_e32 v1, v1, v17, vcc_lo
	v_cvt_f32_u32_e32 v27, v2
	v_cndmask_b32_e32 v0, v0, v18, vcc_lo
	v_and_b32_e32 v2, 0xffff, v36
	s_delay_alu instid0(VALU_DEP_4) | instskip(NEXT) | instid1(VALU_DEP_2)
	v_cmp_lt_f32_e32 vcc_lo, v1, v19
	v_cvt_f32_u32_e32 v29, v2
	v_lshrrev_b32_e32 v2, 16, v36
	v_cndmask_b32_e32 v1, v1, v19, vcc_lo
	v_or_b32_e32 v36, 13, v9
	s_delay_alu instid0(VALU_DEP_3) | instskip(SKIP_1) | instid1(VALU_DEP_4)
	v_cvt_f32_u32_e32 v31, v2
	v_cndmask_b32_e32 v0, v0, v20, vcc_lo
	v_cmp_lt_f32_e32 vcc_lo, v1, v21
	v_and_b32_e32 v2, 0xffff, v37
	v_cndmask_b32_e32 v1, v1, v21, vcc_lo
	s_delay_alu instid0(VALU_DEP_2) | instskip(SKIP_2) | instid1(VALU_DEP_4)
	v_cvt_f32_u32_e32 v33, v2
	v_cndmask_b32_e32 v0, v0, v22, vcc_lo
	v_lshrrev_b32_e32 v2, 16, v37
	v_cmp_lt_f32_e32 vcc_lo, v1, v23
	s_delay_alu instid0(VALU_DEP_2) | instskip(SKIP_2) | instid1(VALU_DEP_2)
	v_cvt_f32_u32_e32 v35, v2
	v_dual_cndmask_b32 v1, v1, v23 :: v_dual_and_b32 v2, 0xffff, v38
	v_cndmask_b32_e32 v0, v0, v24, vcc_lo
	v_cvt_f32_u32_e32 v37, v2
	s_delay_alu instid0(VALU_DEP_3) | instskip(SKIP_3) | instid1(VALU_DEP_3)
	v_cmp_lt_f32_e32 vcc_lo, v1, v25
	v_lshrrev_b32_e32 v2, 16, v38
	v_or_b32_e32 v38, 14, v9
	v_cndmask_b32_e32 v1, v1, v25, vcc_lo
	v_cvt_f32_u32_e32 v39, v2
	v_cndmask_b32_e32 v0, v0, v26, vcc_lo
	s_delay_alu instid0(VALU_DEP_3) | instskip(NEXT) | instid1(VALU_DEP_2)
	v_cmp_lt_f32_e32 vcc_lo, v1, v27
	v_dual_cndmask_b32 v1, v1, v27 :: v_dual_cndmask_b32 v0, v0, v28
	s_delay_alu instid0(VALU_DEP_1) | instskip(NEXT) | instid1(VALU_DEP_2)
	v_cmp_lt_f32_e32 vcc_lo, v1, v29
	v_dual_cndmask_b32 v1, v1, v29 :: v_dual_cndmask_b32 v0, v0, v30
	s_delay_alu instid0(VALU_DEP_1) | instskip(NEXT) | instid1(VALU_DEP_2)
	;; [unrolled: 3-line block ×7, first 2 shown]
	v_mov_b32_dpp v2, v0 quad_perm:[1,0,3,2] row_mask:0xf bank_mask:0xf
	v_mov_b32_dpp v3, v1 quad_perm:[1,0,3,2] row_mask:0xf bank_mask:0xf
	s_delay_alu instid0(VALU_DEP_2) | instskip(NEXT) | instid1(VALU_DEP_2)
	v_cmp_lt_i32_e32 vcc_lo, v2, v0
	v_cmp_eq_f32_e64 s2, v1, v3
	v_cmp_lt_f32_e64 s3, v1, v3
	s_delay_alu instid0(VALU_DEP_2)
	s_and_b32 s2, s2, vcc_lo
	s_delay_alu instid0(VALU_DEP_1) | instid1(SALU_CYCLE_1)
	s_or_b32 vcc_lo, s3, s2
	v_dual_cndmask_b32 v1, v1, v3 :: v_dual_cndmask_b32 v0, v0, v2
	s_delay_alu instid0(VALU_DEP_1) | instskip(NEXT) | instid1(VALU_DEP_2)
	v_mov_b32_dpp v2, v1 quad_perm:[2,3,0,1] row_mask:0xf bank_mask:0xf
	v_mov_b32_dpp v3, v0 quad_perm:[2,3,0,1] row_mask:0xf bank_mask:0xf
	s_delay_alu instid0(VALU_DEP_2) | instskip(NEXT) | instid1(VALU_DEP_2)
	v_cmp_eq_f32_e32 vcc_lo, v1, v2
	v_cmp_lt_i32_e64 s2, v3, v0
	v_cmp_lt_f32_e64 s3, v1, v2
	s_delay_alu instid0(VALU_DEP_2)
	s_and_b32 s2, vcc_lo, s2
	s_delay_alu instid0(VALU_DEP_1) | instid1(SALU_CYCLE_1)
	s_or_b32 vcc_lo, s3, s2
	v_dual_cndmask_b32 v1, v1, v2 :: v_dual_cndmask_b32 v0, v0, v3
	s_delay_alu instid0(VALU_DEP_1) | instskip(NEXT) | instid1(VALU_DEP_2)
	v_mov_b32_dpp v2, v1 row_half_mirror row_mask:0xf bank_mask:0xf
	v_mov_b32_dpp v3, v0 row_half_mirror row_mask:0xf bank_mask:0xf
	s_delay_alu instid0(VALU_DEP_2) | instskip(NEXT) | instid1(VALU_DEP_2)
	v_cmp_eq_f32_e32 vcc_lo, v1, v2
	v_cmp_lt_i32_e64 s2, v3, v0
	v_cmp_lt_f32_e64 s3, v1, v2
	s_delay_alu instid0(VALU_DEP_2)
	s_and_b32 s2, vcc_lo, s2
	s_delay_alu instid0(VALU_DEP_1) | instid1(SALU_CYCLE_1)
	s_or_b32 vcc_lo, s3, s2
	s_waitcnt lgkmcnt(0)
	s_cmp_gt_i32 s4, 0
	v_cndmask_b32_e32 v2, v1, v2, vcc_lo
	v_cndmask_b32_e32 v0, v0, v3, vcc_lo
	v_cmp_eq_u32_e32 vcc_lo, 0, v8
	s_cselect_b32 s3, -1, 0
	s_cmp_lt_i32 s4, 1
	v_mov_b32_dpp v4, v2 row_mirror row_mask:0xf bank_mask:0xf
	v_mov_b32_dpp v41, v0 row_mirror row_mask:0xf bank_mask:0xf
	s_cbranch_scc1 .LBB288_16
; %bb.5:
	s_load_b128 s[8:11], s[0:1], 0x20
	s_delay_alu instid0(VALU_DEP_2) | instskip(NEXT) | instid1(VALU_DEP_2)
	v_cmp_eq_f32_e64 s0, v2, v4
	v_cmp_lt_i32_e64 s1, v41, v0
	v_cmp_lt_f32_e64 s2, v2, v4
	v_mul_lo_u32 v1, v7, s7
	v_mul_lo_u32 v3, v7, s14
	;; [unrolled: 1-line block ×3, first 2 shown]
	s_and_b32 s0, s0, s1
	v_mov_b32_e32 v6, 0
	s_or_b32 s0, s2, s0
	s_delay_alu instid0(SALU_CYCLE_1)
	v_cndmask_b32_e64 v0, v0, v41, s0
	v_cndmask_b32_e64 v41, v2, v4, s0
	s_and_saveexec_b32 s2, vcc_lo
	s_cbranch_execz .LBB288_7
; %bb.6:
	s_delay_alu instid0(VALU_DEP_1)
	v_sub_f32_e32 v50, v41, v41
	v_cmp_le_i32_e64 s0, s5, v0
	v_cmp_gt_i32_e64 s1, s6, v0
	v_subrev_nc_u32_e32 v51, s5, v0
	v_ashrrev_i32_e32 v6, 31, v5
	v_mul_f32_e32 v2, 0x3fb8aa3b, v50
	s_delay_alu instid0(VALU_DEP_4) | instskip(NEXT) | instid1(SALU_CYCLE_1)
	s_and_b32 s0, s0, s1
	s_and_b32 s0, s17, s0
	s_delay_alu instid0(VALU_DEP_1) | instskip(SKIP_2) | instid1(VALU_DEP_3)
	v_rndne_f32_e32 v46, v2
	v_fma_f32 v4, 0x3fb8aa3b, v50, -v2
	v_lshlrev_b64 v[48:49], 2, v[5:6]
	v_sub_f32_e32 v2, v2, v46
	s_delay_alu instid0(VALU_DEP_3) | instskip(NEXT) | instid1(VALU_DEP_1)
	v_fmamk_f32 v4, v50, 0x32a5705f, v4
	v_add_f32_e32 v4, v2, v4
	v_ashrrev_i32_e32 v2, 31, v1
	s_delay_alu instid0(VALU_DEP_2) | instskip(NEXT) | instid1(VALU_DEP_1)
	v_exp_f32_e32 v52, v4
	v_lshlrev_b64 v[44:45], 2, v[1:2]
	v_ashrrev_i32_e32 v4, 31, v3
	v_cvt_i32_f32_e32 v2, v46
	s_delay_alu instid0(VALU_DEP_2) | instskip(SKIP_2) | instid1(VALU_DEP_1)
	v_lshlrev_b64 v[46:47], 2, v[3:4]
	v_cndmask_b32_e64 v4, 0x100, v51, s0
	v_add_co_u32 v44, s0, s12, v44
	v_add_co_ci_u32_e64 v45, s0, s13, v45, s0
	s_delay_alu instid0(TRANS32_DEP_1) | instskip(SKIP_1) | instid1(VALU_DEP_1)
	v_ldexp_f32 v2, v52, v2
	v_cmp_ngt_f32_e64 s0, 0xc2ce8ed0, v50
	v_cndmask_b32_e64 v2, 0, v2, s0
	s_waitcnt lgkmcnt(0)
	v_add_co_u32 v46, s0, s8, v46
	s_delay_alu instid0(VALU_DEP_1) | instskip(SKIP_1) | instid1(VALU_DEP_1)
	v_add_co_ci_u32_e64 v47, s0, s9, v47, s0
	v_cmp_nlt_f32_e64 s0, 0x42b17218, v50
	v_cndmask_b32_e64 v6, 0x7f800000, v2, s0
	v_add_co_u32 v48, s0, s10, v48
	s_delay_alu instid0(VALU_DEP_1)
	v_add_co_ci_u32_e64 v49, s0, s11, v49, s0
	global_store_b32 v[46:47], v4, off
	global_store_b32 v[44:45], v6, off
	;; [unrolled: 1-line block ×3, first 2 shown]
.LBB288_7:
	s_or_b32 exec_lo, exec_lo, s2
	v_ashrrev_i32_e32 v4, 31, v0
	s_mov_b32 s1, exec_lo
	s_delay_alu instid0(VALU_DEP_1) | instskip(NEXT) | instid1(VALU_DEP_1)
	v_lshrrev_b32_e32 v2, 28, v4
	v_add_nc_u32_e32 v2, v0, v2
	s_delay_alu instid0(VALU_DEP_1) | instskip(NEXT) | instid1(VALU_DEP_1)
	v_ashrrev_i32_e32 v2, 4, v2
	v_lshrrev_b32_e32 v44, 28, v2
	s_delay_alu instid0(VALU_DEP_1) | instskip(NEXT) | instid1(VALU_DEP_1)
	v_add_nc_u32_e32 v44, v2, v44
	v_and_b32_e32 v44, -16, v44
	s_delay_alu instid0(VALU_DEP_1) | instskip(NEXT) | instid1(VALU_DEP_1)
	v_sub_nc_u32_e32 v44, v2, v44
	v_cmpx_eq_u32_e64 v8, v44
	s_cbranch_execz .LBB288_9
; %bb.8:
	v_lshrrev_b32_e32 v4, 24, v4
	v_lshlrev_b32_e32 v2, 4, v2
	s_delay_alu instid0(VALU_DEP_2) | instskip(NEXT) | instid1(VALU_DEP_2)
	v_add_nc_u32_e32 v4, v0, v4
	v_sub_nc_u32_e32 v0, v0, v2
	s_delay_alu instid0(VALU_DEP_2) | instskip(NEXT) | instid1(VALU_DEP_1)
	v_ashrrev_i32_e32 v2, 8, v4
	v_lshl_add_u32 v0, v2, 4, v0
	s_delay_alu instid0(VALU_DEP_1) | instskip(NEXT) | instid1(VALU_DEP_1)
	v_cmp_ne_u32_e64 s0, 15, v0
	v_cndmask_b32_e64 v39, 0xff800000, v39, s0
	v_cmp_ne_u32_e64 s0, 14, v0
	s_delay_alu instid0(VALU_DEP_1) | instskip(SKIP_1) | instid1(VALU_DEP_1)
	v_cndmask_b32_e64 v37, 0xff800000, v37, s0
	v_cmp_ne_u32_e64 s0, 13, v0
	v_cndmask_b32_e64 v35, 0xff800000, v35, s0
	v_cmp_ne_u32_e64 s0, 12, v0
	s_delay_alu instid0(VALU_DEP_1) | instskip(SKIP_1) | instid1(VALU_DEP_1)
	v_cndmask_b32_e64 v33, 0xff800000, v33, s0
	;; [unrolled: 5-line block ×7, first 2 shown]
	v_cmp_ne_u32_e64 s0, 1, v0
	v_cndmask_b32_e64 v10, 0xff800000, v10, s0
	v_cmp_ne_u32_e64 s0, 0, v0
	s_delay_alu instid0(VALU_DEP_1)
	v_cndmask_b32_e64 v11, 0xff800000, v11, s0
.LBB288_9:
	s_or_b32 exec_lo, exec_lo, s1
	s_cmp_eq_u32 s4, 1
	s_cbranch_scc1 .LBB288_16
; %bb.10:
	s_add_i32 s18, s18, s16
	v_add_nc_u32_e32 v0, 1, v5
	v_add3_u32 v42, s18, v43, v42
	v_add_nc_u32_e32 v2, 1, v3
	v_add_nc_u32_e32 v4, 1, v1
	s_add_i32 s14, s4, -1
	s_branch .LBB288_12
.LBB288_11:                             ;   in Loop: Header=BB288_12 Depth=1
	s_or_b32 exec_lo, exec_lo, s1
	v_add_nc_u32_e32 v42, s16, v42
	v_add_nc_u32_e32 v0, 1, v0
	v_add_nc_u32_e32 v2, 1, v2
	v_add_nc_u32_e32 v4, 1, v4
	s_add_i32 s14, s14, -1
	s_delay_alu instid0(SALU_CYCLE_1)
	s_cmp_eq_u32 s14, 0
	s_cbranch_scc1 .LBB288_16
.LBB288_12:                             ; =>This Inner Loop Header: Depth=1
	v_cmp_gt_f32_e64 s0, v10, v11
	s_delay_alu instid0(VALU_DEP_1) | instskip(SKIP_1) | instid1(VALU_DEP_2)
	v_cndmask_b32_e64 v3, v11, v10, s0
	v_cndmask_b32_e64 v1, v9, v12, s0
	v_cmp_gt_f32_e64 s0, v13, v3
	s_delay_alu instid0(VALU_DEP_1) | instskip(NEXT) | instid1(VALU_DEP_3)
	v_cndmask_b32_e64 v3, v3, v13, s0
	v_cndmask_b32_e64 v1, v1, v14, s0
	s_delay_alu instid0(VALU_DEP_2) | instskip(NEXT) | instid1(VALU_DEP_1)
	v_cmp_gt_f32_e64 s0, v15, v3
	v_cndmask_b32_e64 v3, v3, v15, s0
	s_delay_alu instid0(VALU_DEP_3) | instskip(NEXT) | instid1(VALU_DEP_2)
	v_cndmask_b32_e64 v1, v1, v16, s0
	v_cmp_gt_f32_e64 s0, v17, v3
	s_delay_alu instid0(VALU_DEP_1) | instskip(NEXT) | instid1(VALU_DEP_3)
	v_cndmask_b32_e64 v3, v3, v17, s0
	v_cndmask_b32_e64 v1, v1, v18, s0
	s_delay_alu instid0(VALU_DEP_2) | instskip(NEXT) | instid1(VALU_DEP_1)
	v_cmp_gt_f32_e64 s0, v19, v3
	v_cndmask_b32_e64 v3, v3, v19, s0
	s_delay_alu instid0(VALU_DEP_3) | instskip(NEXT) | instid1(VALU_DEP_2)
	;; [unrolled: 9-line block ×6, first 2 shown]
	v_cndmask_b32_e64 v1, v1, v36, s0
	v_cmp_gt_f32_e64 s0, v37, v3
	s_delay_alu instid0(VALU_DEP_1) | instskip(NEXT) | instid1(VALU_DEP_3)
	v_cndmask_b32_e64 v3, v3, v37, s0
	v_cndmask_b32_e64 v1, v1, v38, s0
	s_delay_alu instid0(VALU_DEP_2) | instskip(NEXT) | instid1(VALU_DEP_1)
	v_cmp_gt_f32_e64 s0, v39, v3
	v_cndmask_b32_e64 v1, v1, v40, s0
	v_cndmask_b32_e64 v3, v3, v39, s0
	s_delay_alu instid0(VALU_DEP_2) | instskip(NEXT) | instid1(VALU_DEP_2)
	v_mov_b32_dpp v5, v1 quad_perm:[1,0,3,2] row_mask:0xf bank_mask:0xf
	v_mov_b32_dpp v43, v3 quad_perm:[1,0,3,2] row_mask:0xf bank_mask:0xf
	s_delay_alu instid0(VALU_DEP_2) | instskip(NEXT) | instid1(VALU_DEP_2)
	v_cmp_lt_i32_e64 s0, v5, v1
	v_cmp_eq_f32_e64 s1, v3, v43
	v_cmp_lt_f32_e64 s2, v3, v43
	s_delay_alu instid0(VALU_DEP_2)
	s_and_b32 s0, s1, s0
	s_delay_alu instid0(VALU_DEP_1) | instid1(SALU_CYCLE_1)
	s_or_b32 s0, s2, s0
	s_delay_alu instid0(SALU_CYCLE_1) | instskip(SKIP_1) | instid1(VALU_DEP_2)
	v_cndmask_b32_e64 v3, v3, v43, s0
	v_cndmask_b32_e64 v1, v1, v5, s0
	v_mov_b32_dpp v5, v3 quad_perm:[2,3,0,1] row_mask:0xf bank_mask:0xf
	s_delay_alu instid0(VALU_DEP_2) | instskip(NEXT) | instid1(VALU_DEP_2)
	v_mov_b32_dpp v43, v1 quad_perm:[2,3,0,1] row_mask:0xf bank_mask:0xf
	v_cmp_eq_f32_e64 s0, v3, v5
	s_delay_alu instid0(VALU_DEP_2) | instskip(SKIP_1) | instid1(VALU_DEP_2)
	v_cmp_lt_i32_e64 s1, v43, v1
	v_cmp_lt_f32_e64 s2, v3, v5
	s_and_b32 s0, s0, s1
	s_delay_alu instid0(VALU_DEP_1) | instid1(SALU_CYCLE_1)
	s_or_b32 s0, s2, s0
	s_delay_alu instid0(SALU_CYCLE_1) | instskip(SKIP_1) | instid1(VALU_DEP_2)
	v_cndmask_b32_e64 v3, v3, v5, s0
	v_cndmask_b32_e64 v5, v1, v43, s0
	v_mov_b32_dpp v1, v3 row_half_mirror row_mask:0xf bank_mask:0xf
	s_delay_alu instid0(VALU_DEP_2) | instskip(NEXT) | instid1(VALU_DEP_2)
	v_mov_b32_dpp v43, v5 row_half_mirror row_mask:0xf bank_mask:0xf
	v_cmp_eq_f32_e64 s0, v3, v1
	s_delay_alu instid0(VALU_DEP_2) | instskip(SKIP_1) | instid1(VALU_DEP_2)
	v_cmp_lt_i32_e64 s1, v43, v5
	v_cmp_lt_f32_e64 s2, v3, v1
	s_and_b32 s0, s0, s1
	s_delay_alu instid0(VALU_DEP_1) | instid1(SALU_CYCLE_1)
	s_or_b32 s0, s2, s0
	s_delay_alu instid0(SALU_CYCLE_1) | instskip(SKIP_1) | instid1(VALU_DEP_2)
	v_cndmask_b32_e64 v1, v3, v1, s0
	v_cndmask_b32_e64 v5, v5, v43, s0
	v_mov_b32_dpp v3, v1 row_mirror row_mask:0xf bank_mask:0xf
	s_delay_alu instid0(VALU_DEP_2) | instskip(NEXT) | instid1(VALU_DEP_2)
	v_mov_b32_dpp v43, v5 row_mirror row_mask:0xf bank_mask:0xf
	v_cmp_eq_f32_e64 s0, v1, v3
	s_delay_alu instid0(VALU_DEP_2) | instskip(SKIP_1) | instid1(VALU_DEP_2)
	v_cmp_lt_i32_e64 s1, v43, v5
	v_cmp_lt_f32_e64 s2, v1, v3
	s_and_b32 s0, s0, s1
	s_delay_alu instid0(VALU_DEP_1) | instid1(SALU_CYCLE_1)
	s_or_b32 s0, s2, s0
	s_delay_alu instid0(SALU_CYCLE_1)
	v_cndmask_b32_e64 v43, v5, v43, s0
	s_and_saveexec_b32 s2, vcc_lo
	s_cbranch_execz .LBB288_14
; %bb.13:                               ;   in Loop: Header=BB288_12 Depth=1
	v_cndmask_b32_e64 v1, v1, v3, s0
	s_delay_alu instid0(VALU_DEP_2) | instskip(SKIP_4) | instid1(VALU_DEP_4)
	v_cmp_le_i32_e64 s0, s5, v43
	v_cmp_gt_i32_e64 s1, s6, v43
	v_ashrrev_i32_e32 v5, 31, v4
	v_subrev_nc_u32_e32 v51, s5, v43
	v_sub_f32_e32 v50, v1, v41
	s_and_b32 s0, s0, s1
	s_delay_alu instid0(SALU_CYCLE_1) | instskip(NEXT) | instid1(VALU_DEP_1)
	s_and_b32 s0, s17, s0
	v_mul_f32_e32 v1, 0x3fb8aa3b, v50
	s_delay_alu instid0(VALU_DEP_1) | instskip(SKIP_1) | instid1(VALU_DEP_2)
	v_fma_f32 v3, 0x3fb8aa3b, v50, -v1
	v_rndne_f32_e32 v44, v1
	v_fmac_f32_e32 v3, 0x32a5705f, v50
	s_delay_alu instid0(VALU_DEP_2) | instskip(SKIP_2) | instid1(VALU_DEP_3)
	v_sub_f32_e32 v1, v1, v44
	v_cvt_i32_f32_e32 v49, v44
	v_lshlrev_b64 v[44:45], 2, v[4:5]
	v_add_f32_e32 v1, v1, v3
	v_ashrrev_i32_e32 v3, 31, v2
	s_delay_alu instid0(VALU_DEP_2) | instskip(SKIP_1) | instid1(VALU_DEP_2)
	v_exp_f32_e32 v48, v1
	v_ashrrev_i32_e32 v1, 31, v0
	v_lshlrev_b64 v[46:47], 2, v[2:3]
	s_waitcnt_depctr 0xfff
	v_ldexp_f32 v3, v48, v49
	v_lshlrev_b64 v[48:49], 2, v[0:1]
	v_cndmask_b32_e64 v1, 0x100, v51, s0
	v_cmp_ngt_f32_e64 s0, 0xc2ce8ed0, v50
	s_delay_alu instid0(VALU_DEP_1) | instskip(SKIP_1) | instid1(VALU_DEP_1)
	v_cndmask_b32_e64 v3, 0, v3, s0
	v_add_co_u32 v44, s0, s12, v44
	v_add_co_ci_u32_e64 v45, s0, s13, v45, s0
	v_cmp_nlt_f32_e64 s0, 0x42b17218, v50
	s_delay_alu instid0(VALU_DEP_1) | instskip(SKIP_2) | instid1(VALU_DEP_1)
	v_cndmask_b32_e64 v3, 0x7f800000, v3, s0
	s_waitcnt lgkmcnt(0)
	v_add_co_u32 v46, s0, s8, v46
	v_add_co_ci_u32_e64 v47, s0, s9, v47, s0
	s_delay_alu instid0(VALU_DEP_3) | instskip(SKIP_1) | instid1(VALU_DEP_1)
	v_add_f32_e32 v6, v6, v3
	v_add_co_u32 v48, s0, s10, v48
	v_add_co_ci_u32_e64 v49, s0, s11, v49, s0
	global_store_b32 v[44:45], v3, off
	global_store_b32 v[46:47], v1, off
	;; [unrolled: 1-line block ×3, first 2 shown]
.LBB288_14:                             ;   in Loop: Header=BB288_12 Depth=1
	s_or_b32 exec_lo, exec_lo, s2
	s_delay_alu instid0(VALU_DEP_1) | instskip(SKIP_1) | instid1(VALU_DEP_1)
	v_ashrrev_i32_e32 v3, 31, v43
	s_mov_b32 s1, exec_lo
	v_lshrrev_b32_e32 v1, 28, v3
	s_delay_alu instid0(VALU_DEP_1) | instskip(NEXT) | instid1(VALU_DEP_1)
	v_add_nc_u32_e32 v1, v43, v1
	v_ashrrev_i32_e32 v1, 4, v1
	s_delay_alu instid0(VALU_DEP_1) | instskip(NEXT) | instid1(VALU_DEP_1)
	v_lshrrev_b32_e32 v5, 28, v1
	v_add_nc_u32_e32 v5, v1, v5
	s_delay_alu instid0(VALU_DEP_1) | instskip(NEXT) | instid1(VALU_DEP_1)
	v_and_b32_e32 v5, -16, v5
	v_sub_nc_u32_e32 v5, v1, v5
	s_delay_alu instid0(VALU_DEP_1)
	v_cmpx_eq_u32_e64 v8, v5
	s_cbranch_execz .LBB288_11
; %bb.15:                               ;   in Loop: Header=BB288_12 Depth=1
	v_lshrrev_b32_e32 v3, 24, v3
	v_lshlrev_b32_e32 v1, 4, v1
	s_delay_alu instid0(VALU_DEP_2) | instskip(NEXT) | instid1(VALU_DEP_2)
	v_add_nc_u32_e32 v3, v43, v3
	v_sub_nc_u32_e32 v1, v43, v1
	s_delay_alu instid0(VALU_DEP_2) | instskip(NEXT) | instid1(VALU_DEP_1)
	v_ashrrev_i32_e32 v3, 8, v3
	v_lshl_add_u32 v1, v3, 4, v1
	s_delay_alu instid0(VALU_DEP_1) | instskip(NEXT) | instid1(VALU_DEP_1)
	v_cmp_ne_u32_e64 s0, 15, v1
	v_cndmask_b32_e64 v39, 0xff800000, v39, s0
	v_cmp_ne_u32_e64 s0, 14, v1
	s_delay_alu instid0(VALU_DEP_1) | instskip(SKIP_1) | instid1(VALU_DEP_1)
	v_cndmask_b32_e64 v37, 0xff800000, v37, s0
	v_cmp_ne_u32_e64 s0, 13, v1
	v_cndmask_b32_e64 v35, 0xff800000, v35, s0
	v_cmp_ne_u32_e64 s0, 12, v1
	s_delay_alu instid0(VALU_DEP_1) | instskip(SKIP_1) | instid1(VALU_DEP_1)
	v_cndmask_b32_e64 v33, 0xff800000, v33, s0
	;; [unrolled: 5-line block ×7, first 2 shown]
	v_cmp_ne_u32_e64 s0, 1, v1
	v_cndmask_b32_e64 v10, 0xff800000, v10, s0
	v_cmp_ne_u32_e64 s0, 0, v1
	s_delay_alu instid0(VALU_DEP_1)
	v_cndmask_b32_e64 v11, 0xff800000, v11, s0
	s_branch .LBB288_11
.LBB288_16:
	v_cmp_eq_u32_e32 vcc_lo, 0, v8
	v_cmp_neq_f32_e64 s0, 0, v6
	s_delay_alu instid0(VALU_DEP_1) | instskip(NEXT) | instid1(SALU_CYCLE_1)
	s_and_b32 s0, vcc_lo, s0
	s_and_b32 exec_lo, exec_lo, s0
	s_cbranch_execz .LBB288_20
; %bb.17:
	s_and_not1_b32 vcc_lo, exec_lo, s3
	s_cbranch_vccnz .LBB288_20
; %bb.18:
	v_div_scale_f32 v1, null, v6, v6, 1.0
	v_div_scale_f32 v3, vcc_lo, 1.0, v6, 1.0
	s_delay_alu instid0(VALU_DEP_2) | instskip(SKIP_2) | instid1(VALU_DEP_1)
	v_rcp_f32_e32 v2, v1
	s_waitcnt_depctr 0xfff
	v_fma_f32 v0, -v1, v2, 1.0
	v_fmac_f32_e32 v2, v0, v2
	v_mul_lo_u32 v0, v7, s7
	s_delay_alu instid0(VALU_DEP_2) | instskip(NEXT) | instid1(VALU_DEP_1)
	v_mul_f32_e32 v4, v3, v2
	v_fma_f32 v5, -v1, v4, v3
	s_delay_alu instid0(VALU_DEP_1) | instskip(NEXT) | instid1(VALU_DEP_1)
	v_fmac_f32_e32 v4, v5, v2
	v_fma_f32 v3, -v1, v4, v3
	v_ashrrev_i32_e32 v1, 31, v0
	s_delay_alu instid0(VALU_DEP_2) | instskip(NEXT) | instid1(VALU_DEP_2)
	v_div_fmas_f32 v2, v3, v2, v4
	v_lshlrev_b64 v[0:1], 2, v[0:1]
	s_delay_alu instid0(VALU_DEP_2) | instskip(NEXT) | instid1(VALU_DEP_2)
	v_div_fixup_f32 v2, v2, v6, 1.0
	v_add_co_u32 v0, vcc_lo, s12, v0
	s_delay_alu instid0(VALU_DEP_3)
	v_add_co_ci_u32_e32 v1, vcc_lo, s13, v1, vcc_lo
.LBB288_19:                             ; =>This Inner Loop Header: Depth=1
	global_load_b32 v3, v[0:1], off
	s_add_i32 s4, s4, -1
	s_delay_alu instid0(SALU_CYCLE_1)
	s_cmp_lg_u32 s4, 0
	s_waitcnt vmcnt(0)
	v_mul_f32_e32 v3, v2, v3
	global_store_b32 v[0:1], v3, off
	v_add_co_u32 v0, vcc_lo, v0, 4
	v_add_co_ci_u32_e32 v1, vcc_lo, 0, v1, vcc_lo
	s_cbranch_scc1 .LBB288_19
.LBB288_20:
	s_nop 0
	s_sendmsg sendmsg(MSG_DEALLOC_VGPRS)
	s_endpgm
	.section	.rodata,"a",@progbits
	.p2align	6, 0x0
	.amdhsa_kernel _ZN4vllm3moe17topkGatingSoftmaxItLi16ELi256ELi8ELi32ELb1ELi0ELNS0_23SharedExpertScoringFuncE0EEEvPKT_PKbPfiPiS9_iiiiii
		.amdhsa_group_segment_fixed_size 0
		.amdhsa_private_segment_fixed_size 0
		.amdhsa_kernarg_size 72
		.amdhsa_user_sgpr_count 15
		.amdhsa_user_sgpr_dispatch_ptr 0
		.amdhsa_user_sgpr_queue_ptr 0
		.amdhsa_user_sgpr_kernarg_segment_ptr 1
		.amdhsa_user_sgpr_dispatch_id 0
		.amdhsa_user_sgpr_private_segment_size 0
		.amdhsa_wavefront_size32 1
		.amdhsa_uses_dynamic_stack 0
		.amdhsa_enable_private_segment 0
		.amdhsa_system_sgpr_workgroup_id_x 1
		.amdhsa_system_sgpr_workgroup_id_y 0
		.amdhsa_system_sgpr_workgroup_id_z 0
		.amdhsa_system_sgpr_workgroup_info 0
		.amdhsa_system_vgpr_workitem_id 1
		.amdhsa_next_free_vgpr 53
		.amdhsa_next_free_sgpr 19
		.amdhsa_reserve_vcc 1
		.amdhsa_float_round_mode_32 0
		.amdhsa_float_round_mode_16_64 0
		.amdhsa_float_denorm_mode_32 3
		.amdhsa_float_denorm_mode_16_64 3
		.amdhsa_dx10_clamp 1
		.amdhsa_ieee_mode 1
		.amdhsa_fp16_overflow 0
		.amdhsa_workgroup_processor_mode 1
		.amdhsa_memory_ordered 1
		.amdhsa_forward_progress 0
		.amdhsa_shared_vgpr_count 0
		.amdhsa_exception_fp_ieee_invalid_op 0
		.amdhsa_exception_fp_denorm_src 0
		.amdhsa_exception_fp_ieee_div_zero 0
		.amdhsa_exception_fp_ieee_overflow 0
		.amdhsa_exception_fp_ieee_underflow 0
		.amdhsa_exception_fp_ieee_inexact 0
		.amdhsa_exception_int_div_zero 0
	.end_amdhsa_kernel
	.section	.text._ZN4vllm3moe17topkGatingSoftmaxItLi16ELi256ELi8ELi32ELb1ELi0ELNS0_23SharedExpertScoringFuncE0EEEvPKT_PKbPfiPiS9_iiiiii,"axG",@progbits,_ZN4vllm3moe17topkGatingSoftmaxItLi16ELi256ELi8ELi32ELb1ELi0ELNS0_23SharedExpertScoringFuncE0EEEvPKT_PKbPfiPiS9_iiiiii,comdat
.Lfunc_end288:
	.size	_ZN4vllm3moe17topkGatingSoftmaxItLi16ELi256ELi8ELi32ELb1ELi0ELNS0_23SharedExpertScoringFuncE0EEEvPKT_PKbPfiPiS9_iiiiii, .Lfunc_end288-_ZN4vllm3moe17topkGatingSoftmaxItLi16ELi256ELi8ELi32ELb1ELi0ELNS0_23SharedExpertScoringFuncE0EEEvPKT_PKbPfiPiS9_iiiiii
                                        ; -- End function
	.section	.AMDGPU.csdata,"",@progbits
; Kernel info:
; codeLenInByte = 3700
; NumSgprs: 21
; NumVgprs: 53
; ScratchSize: 0
; MemoryBound: 0
; FloatMode: 240
; IeeeMode: 1
; LDSByteSize: 0 bytes/workgroup (compile time only)
; SGPRBlocks: 2
; VGPRBlocks: 6
; NumSGPRsForWavesPerEU: 21
; NumVGPRsForWavesPerEU: 53
; Occupancy: 16
; WaveLimiterHint : 0
; COMPUTE_PGM_RSRC2:SCRATCH_EN: 0
; COMPUTE_PGM_RSRC2:USER_SGPR: 15
; COMPUTE_PGM_RSRC2:TRAP_HANDLER: 0
; COMPUTE_PGM_RSRC2:TGID_X_EN: 1
; COMPUTE_PGM_RSRC2:TGID_Y_EN: 0
; COMPUTE_PGM_RSRC2:TGID_Z_EN: 0
; COMPUTE_PGM_RSRC2:TIDIG_COMP_CNT: 1
	.section	.text._ZN4vllm3moe17topkGatingSoftmaxItLi16ELi256ELi8ELi32ELb0ELi0ELNS0_23SharedExpertScoringFuncE0EEEvPKT_PKbPfiPiS9_iiiiii,"axG",@progbits,_ZN4vllm3moe17topkGatingSoftmaxItLi16ELi256ELi8ELi32ELb0ELi0ELNS0_23SharedExpertScoringFuncE0EEEvPKT_PKbPfiPiS9_iiiiii,comdat
	.protected	_ZN4vllm3moe17topkGatingSoftmaxItLi16ELi256ELi8ELi32ELb0ELi0ELNS0_23SharedExpertScoringFuncE0EEEvPKT_PKbPfiPiS9_iiiiii ; -- Begin function _ZN4vllm3moe17topkGatingSoftmaxItLi16ELi256ELi8ELi32ELb0ELi0ELNS0_23SharedExpertScoringFuncE0EEEvPKT_PKbPfiPiS9_iiiiii
	.globl	_ZN4vllm3moe17topkGatingSoftmaxItLi16ELi256ELi8ELi32ELb0ELi0ELNS0_23SharedExpertScoringFuncE0EEEvPKT_PKbPfiPiS9_iiiiii
	.p2align	8
	.type	_ZN4vllm3moe17topkGatingSoftmaxItLi16ELi256ELi8ELi32ELb0ELi0ELNS0_23SharedExpertScoringFuncE0EEEvPKT_PKbPfiPiS9_iiiiii,@function
_ZN4vllm3moe17topkGatingSoftmaxItLi16ELi256ELi8ELi32ELb0ELi0ELNS0_23SharedExpertScoringFuncE0EEEvPKT_PKbPfiPiS9_iiiiii: ; @_ZN4vllm3moe17topkGatingSoftmaxItLi16ELi256ELi8ELi32ELb0ELi0ELNS0_23SharedExpertScoringFuncE0EEEvPKT_PKbPfiPiS9_iiiiii
; %bb.0:
	s_load_b32 s16, s[0:1], 0x18
	v_bfe_u32 v1, v0, 10, 10
	v_and_b32_e32 v0, 0x3ff, v0
	s_lshl_b32 s18, s15, 4
	s_mov_b32 s2, exec_lo
	s_delay_alu instid0(VALU_DEP_2) | instskip(NEXT) | instid1(VALU_DEP_2)
	v_lshlrev_b32_e32 v42, 1, v1
	v_lshrrev_b32_e32 v43, 4, v0
	s_delay_alu instid0(VALU_DEP_1) | instskip(SKIP_1) | instid1(VALU_DEP_1)
	v_add3_u32 v7, s18, v42, v43
	s_waitcnt lgkmcnt(0)
	v_cmpx_gt_i32_e64 s16, v7
	s_cbranch_execz .LBB289_21
; %bb.1:
	s_clause 0x1
	s_load_b128 s[4:7], s[0:1], 0x0
	s_load_b64 s[12:13], s[0:1], 0x10
	s_waitcnt lgkmcnt(0)
	s_cmp_eq_u64 s[6:7], 0
	s_cbranch_scc1 .LBB289_3
; %bb.2:
	v_ashrrev_i32_e32 v2, 31, v7
	v_add_co_u32 v1, vcc_lo, s6, v7
	s_delay_alu instid0(VALU_DEP_2) | instskip(SKIP_3) | instid1(VALU_DEP_1)
	v_add_co_ci_u32_e32 v2, vcc_lo, s7, v2, vcc_lo
	global_load_u8 v1, v[1:2], off
	s_waitcnt vmcnt(0)
	v_and_b32_e32 v1, 1, v1
	v_cmp_eq_u32_e32 vcc_lo, 1, v1
	s_xor_b32 s2, vcc_lo, -1
	s_delay_alu instid0(SALU_CYCLE_1)
	s_or_not1_b32 s17, s2, exec_lo
	s_branch .LBB289_4
.LBB289_3:
	s_mov_b32 s17, -1
.LBB289_4:
	s_load_b64 s[14:15], s[0:1], 0x40
	v_and_b32_e32 v8, 15, v0
	v_mov_b32_e32 v6, 0
	s_delay_alu instid0(VALU_DEP_2) | instskip(NEXT) | instid1(VALU_DEP_1)
	v_lshlrev_b32_e32 v26, 4, v8
	v_or_b32_e32 v27, 1, v26
	v_or_b32_e32 v28, 2, v26
	;; [unrolled: 1-line block ×6, first 2 shown]
	s_waitcnt lgkmcnt(0)
	v_mul_lo_u32 v1, v7, s15
	s_delay_alu instid0(VALU_DEP_1) | instskip(NEXT) | instid1(VALU_DEP_1)
	v_ashrrev_i32_e32 v2, 31, v1
	v_lshlrev_b64 v[0:1], 1, v[1:2]
	v_lshlrev_b32_e32 v2, 5, v8
	s_delay_alu instid0(VALU_DEP_2) | instskip(NEXT) | instid1(VALU_DEP_3)
	v_add_co_u32 v0, vcc_lo, s4, v0
	v_add_co_ci_u32_e32 v1, vcc_lo, s5, v1, vcc_lo
	s_load_b128 s[4:7], s[0:1], 0x30
	s_delay_alu instid0(VALU_DEP_2) | instskip(NEXT) | instid1(VALU_DEP_2)
	v_add_co_u32 v4, vcc_lo, v0, v2
	v_add_co_ci_u32_e32 v5, vcc_lo, 0, v1, vcc_lo
	s_clause 0x1
	global_load_b128 v[0:3], v[4:5], off
	global_load_b128 v[37:40], v[4:5], off offset:16
	s_waitcnt vmcnt(1)
	v_lshrrev_b32_e32 v4, 16, v0
	v_and_b32_e32 v0, 0xffff, v0
	s_delay_alu instid0(VALU_DEP_2) | instskip(NEXT) | instid1(VALU_DEP_2)
	v_cvt_f32_u32_e32 v21, v4
	v_cvt_f32_u32_e32 v23, v0
	v_and_b32_e32 v0, 0xffff, v1
	v_lshrrev_b32_e32 v1, 16, v1
	s_delay_alu instid0(VALU_DEP_3) | instskip(NEXT) | instid1(VALU_DEP_3)
	v_cmp_lt_f32_e32 vcc_lo, v23, v21
	v_cvt_f32_u32_e32 v25, v0
	s_delay_alu instid0(VALU_DEP_3) | instskip(SKIP_2) | instid1(VALU_DEP_2)
	v_cvt_f32_u32_e32 v24, v1
	v_cndmask_b32_e32 v4, v23, v21, vcc_lo
	v_cndmask_b32_e32 v0, v26, v27, vcc_lo
	v_cmp_lt_f32_e32 vcc_lo, v4, v25
	v_dual_cndmask_b32 v1, v4, v25 :: v_dual_and_b32 v4, 0xffff, v2
	v_lshrrev_b32_e32 v2, 16, v2
	s_delay_alu instid0(VALU_DEP_2) | instskip(NEXT) | instid1(VALU_DEP_2)
	v_cvt_f32_u32_e32 v22, v4
	v_cvt_f32_u32_e32 v20, v2
	v_and_b32_e32 v2, 0xffff, v3
	s_delay_alu instid0(VALU_DEP_1) | instskip(SKIP_1) | instid1(VALU_DEP_1)
	v_cvt_f32_u32_e32 v19, v2
	v_lshrrev_b32_e32 v2, 16, v3
	v_cvt_f32_u32_e32 v18, v2
	s_waitcnt vmcnt(0)
	v_and_b32_e32 v2, 0xffff, v37
	s_delay_alu instid0(VALU_DEP_1) | instskip(SKIP_3) | instid1(VALU_DEP_3)
	v_cvt_f32_u32_e32 v17, v2
	v_lshrrev_b32_e32 v2, 16, v37
	v_cndmask_b32_e32 v0, v0, v28, vcc_lo
	v_cmp_lt_f32_e32 vcc_lo, v1, v24
	v_cvt_f32_u32_e32 v16, v2
	v_dual_cndmask_b32 v1, v1, v24 :: v_dual_and_b32 v2, 0xffff, v38
	s_delay_alu instid0(VALU_DEP_1) | instskip(SKIP_1) | instid1(VALU_DEP_1)
	v_cvt_f32_u32_e32 v15, v2
	v_lshrrev_b32_e32 v2, 16, v38
	v_cvt_f32_u32_e32 v14, v2
	v_cndmask_b32_e32 v0, v0, v29, vcc_lo
	v_cmp_lt_f32_e32 vcc_lo, v1, v22
	v_dual_cndmask_b32 v1, v1, v22 :: v_dual_and_b32 v2, 0xffff, v39
	s_delay_alu instid0(VALU_DEP_1) | instskip(SKIP_2) | instid1(VALU_DEP_4)
	v_cvt_f32_u32_e32 v12, v2
	v_lshrrev_b32_e32 v2, 16, v39
	v_cndmask_b32_e32 v0, v0, v30, vcc_lo
	v_cmp_lt_f32_e32 vcc_lo, v1, v20
	s_delay_alu instid0(VALU_DEP_3) | instskip(SKIP_2) | instid1(VALU_DEP_2)
	v_cvt_f32_u32_e32 v11, v2
	v_and_b32_e32 v2, 0xffff, v40
	v_cndmask_b32_e32 v1, v1, v20, vcc_lo
	v_cvt_f32_u32_e32 v10, v2
	v_lshrrev_b32_e32 v2, 16, v40
	s_delay_alu instid0(VALU_DEP_1) | instskip(SKIP_2) | instid1(VALU_DEP_2)
	v_cvt_f32_u32_e32 v9, v2
	v_cndmask_b32_e32 v0, v0, v31, vcc_lo
	v_cmp_lt_f32_e32 vcc_lo, v1, v19
	v_dual_cndmask_b32 v1, v1, v19 :: v_dual_cndmask_b32 v0, v0, v32
	s_delay_alu instid0(VALU_DEP_1)
	v_cmp_lt_f32_e32 vcc_lo, v1, v18
	v_cndmask_b32_e32 v1, v1, v18, vcc_lo
	v_or_b32_e32 v33, 7, v26
	v_or_b32_e32 v34, 8, v26
	;; [unrolled: 1-line block ×5, first 2 shown]
	v_cndmask_b32_e32 v0, v0, v33, vcc_lo
	v_cmp_lt_f32_e32 vcc_lo, v1, v17
	v_or_b32_e32 v38, 12, v26
	v_or_b32_e32 v39, 13, v26
	;; [unrolled: 1-line block ×4, first 2 shown]
	v_dual_cndmask_b32 v1, v1, v17 :: v_dual_cndmask_b32 v0, v0, v34
	s_delay_alu instid0(VALU_DEP_1) | instskip(NEXT) | instid1(VALU_DEP_2)
	v_cmp_lt_f32_e32 vcc_lo, v1, v16
	v_dual_cndmask_b32 v1, v1, v16 :: v_dual_cndmask_b32 v0, v0, v35
	s_delay_alu instid0(VALU_DEP_1) | instskip(NEXT) | instid1(VALU_DEP_2)
	v_cmp_lt_f32_e32 vcc_lo, v1, v15
	;; [unrolled: 3-line block ×4, first 2 shown]
	v_dual_cndmask_b32 v1, v1, v12 :: v_dual_cndmask_b32 v0, v0, v38
	s_delay_alu instid0(VALU_DEP_1) | instskip(SKIP_1) | instid1(VALU_DEP_3)
	v_cmp_lt_f32_e32 vcc_lo, v1, v11
	v_cndmask_b32_e32 v1, v1, v11, vcc_lo
	v_cndmask_b32_e32 v0, v0, v39, vcc_lo
	s_delay_alu instid0(VALU_DEP_2) | instskip(NEXT) | instid1(VALU_DEP_2)
	v_cmp_lt_f32_e32 vcc_lo, v1, v10
	v_dual_cndmask_b32 v1, v1, v10 :: v_dual_cndmask_b32 v0, v0, v40
	s_delay_alu instid0(VALU_DEP_1) | instskip(NEXT) | instid1(VALU_DEP_2)
	v_cmp_lt_f32_e32 vcc_lo, v1, v9
	v_cndmask_b32_e32 v0, v0, v41, vcc_lo
	v_cndmask_b32_e32 v1, v1, v9, vcc_lo
	s_delay_alu instid0(VALU_DEP_2) | instskip(NEXT) | instid1(VALU_DEP_2)
	v_mov_b32_dpp v2, v0 quad_perm:[1,0,3,2] row_mask:0xf bank_mask:0xf
	v_mov_b32_dpp v3, v1 quad_perm:[1,0,3,2] row_mask:0xf bank_mask:0xf
	s_delay_alu instid0(VALU_DEP_2) | instskip(NEXT) | instid1(VALU_DEP_2)
	v_cmp_lt_i32_e32 vcc_lo, v2, v0
	v_cmp_eq_f32_e64 s2, v1, v3
	v_cmp_lt_f32_e64 s3, v1, v3
	s_delay_alu instid0(VALU_DEP_2)
	s_and_b32 s2, s2, vcc_lo
	s_delay_alu instid0(VALU_DEP_1) | instid1(SALU_CYCLE_1)
	s_or_b32 vcc_lo, s3, s2
	v_dual_cndmask_b32 v1, v1, v3 :: v_dual_cndmask_b32 v0, v0, v2
	s_delay_alu instid0(VALU_DEP_1) | instskip(NEXT) | instid1(VALU_DEP_2)
	v_mov_b32_dpp v2, v1 quad_perm:[2,3,0,1] row_mask:0xf bank_mask:0xf
	v_mov_b32_dpp v3, v0 quad_perm:[2,3,0,1] row_mask:0xf bank_mask:0xf
	s_delay_alu instid0(VALU_DEP_2) | instskip(NEXT) | instid1(VALU_DEP_2)
	v_cmp_eq_f32_e32 vcc_lo, v1, v2
	v_cmp_lt_i32_e64 s2, v3, v0
	v_cmp_lt_f32_e64 s3, v1, v2
	s_delay_alu instid0(VALU_DEP_2)
	s_and_b32 s2, vcc_lo, s2
	s_delay_alu instid0(VALU_DEP_1) | instid1(SALU_CYCLE_1)
	s_or_b32 vcc_lo, s3, s2
	v_dual_cndmask_b32 v1, v1, v2 :: v_dual_cndmask_b32 v0, v0, v3
	s_delay_alu instid0(VALU_DEP_1) | instskip(NEXT) | instid1(VALU_DEP_2)
	v_mov_b32_dpp v2, v1 row_half_mirror row_mask:0xf bank_mask:0xf
	v_mov_b32_dpp v3, v0 row_half_mirror row_mask:0xf bank_mask:0xf
	s_delay_alu instid0(VALU_DEP_2) | instskip(NEXT) | instid1(VALU_DEP_2)
	v_cmp_eq_f32_e32 vcc_lo, v1, v2
	v_cmp_lt_i32_e64 s2, v3, v0
	v_cmp_lt_f32_e64 s3, v1, v2
	s_delay_alu instid0(VALU_DEP_2)
	s_and_b32 s2, vcc_lo, s2
	s_delay_alu instid0(VALU_DEP_1) | instid1(SALU_CYCLE_1)
	s_or_b32 vcc_lo, s3, s2
	v_dual_cndmask_b32 v1, v1, v2 :: v_dual_cndmask_b32 v0, v0, v3
	s_delay_alu instid0(VALU_DEP_1) | instskip(NEXT) | instid1(VALU_DEP_2)
	v_mov_b32_dpp v3, v1 row_mirror row_mask:0xf bank_mask:0xf
	v_mov_b32_dpp v2, v0 row_mirror row_mask:0xf bank_mask:0xf
	s_delay_alu instid0(VALU_DEP_2) | instskip(NEXT) | instid1(VALU_DEP_2)
	v_cmp_eq_f32_e32 vcc_lo, v1, v3
	v_cmp_lt_i32_e64 s2, v2, v0
	v_cmp_lt_f32_e64 s3, v1, v3
	s_delay_alu instid0(VALU_DEP_2) | instskip(SKIP_1) | instid1(VALU_DEP_2)
	s_and_b32 s2, vcc_lo, s2
	v_cmp_eq_u32_e32 vcc_lo, 0, v8
	s_or_b32 s2, s3, s2
	s_waitcnt lgkmcnt(0)
	s_cmp_gt_i32 s4, 0
	v_cndmask_b32_e64 v13, v1, v3, s2
	s_cselect_b32 s3, -1, 0
	s_cmp_lt_i32 s4, 1
	s_cbranch_scc1 .LBB289_16
; %bb.5:
	s_load_b128 s[8:11], s[0:1], 0x20
	v_mul_lo_u32 v1, v7, s7
	v_mul_lo_u32 v3, v7, s14
	;; [unrolled: 1-line block ×3, first 2 shown]
	v_cndmask_b32_e64 v0, v0, v2, s2
	v_mov_b32_e32 v6, 0
	s_and_saveexec_b32 s2, vcc_lo
	s_cbranch_execz .LBB289_7
; %bb.6:
	v_sub_f32_e32 v50, v13, v13
	v_cmp_le_i32_e64 s0, s5, v0
	v_cmp_gt_i32_e64 s1, s6, v0
	v_subrev_nc_u32_e32 v51, s5, v0
	v_ashrrev_i32_e32 v6, 31, v5
	v_mul_f32_e32 v2, 0x3fb8aa3b, v50
	s_delay_alu instid0(VALU_DEP_4) | instskip(NEXT) | instid1(SALU_CYCLE_1)
	s_and_b32 s0, s0, s1
	s_and_b32 s0, s17, s0
	s_delay_alu instid0(VALU_DEP_1) | instskip(SKIP_2) | instid1(VALU_DEP_3)
	v_rndne_f32_e32 v46, v2
	v_fma_f32 v4, 0x3fb8aa3b, v50, -v2
	v_lshlrev_b64 v[48:49], 2, v[5:6]
	v_sub_f32_e32 v2, v2, v46
	s_delay_alu instid0(VALU_DEP_3) | instskip(NEXT) | instid1(VALU_DEP_1)
	v_fmamk_f32 v4, v50, 0x32a5705f, v4
	v_add_f32_e32 v4, v2, v4
	v_ashrrev_i32_e32 v2, 31, v1
	s_delay_alu instid0(VALU_DEP_2) | instskip(NEXT) | instid1(VALU_DEP_1)
	v_exp_f32_e32 v52, v4
	v_lshlrev_b64 v[44:45], 2, v[1:2]
	v_ashrrev_i32_e32 v4, 31, v3
	v_cvt_i32_f32_e32 v2, v46
	s_delay_alu instid0(VALU_DEP_2) | instskip(SKIP_2) | instid1(VALU_DEP_1)
	v_lshlrev_b64 v[46:47], 2, v[3:4]
	v_cndmask_b32_e64 v4, 0x100, v51, s0
	v_add_co_u32 v44, s0, s12, v44
	v_add_co_ci_u32_e64 v45, s0, s13, v45, s0
	s_delay_alu instid0(TRANS32_DEP_1) | instskip(SKIP_1) | instid1(VALU_DEP_1)
	v_ldexp_f32 v2, v52, v2
	v_cmp_ngt_f32_e64 s0, 0xc2ce8ed0, v50
	v_cndmask_b32_e64 v2, 0, v2, s0
	s_waitcnt lgkmcnt(0)
	v_add_co_u32 v46, s0, s8, v46
	s_delay_alu instid0(VALU_DEP_1) | instskip(SKIP_1) | instid1(VALU_DEP_1)
	v_add_co_ci_u32_e64 v47, s0, s9, v47, s0
	v_cmp_nlt_f32_e64 s0, 0x42b17218, v50
	v_cndmask_b32_e64 v6, 0x7f800000, v2, s0
	v_add_co_u32 v48, s0, s10, v48
	s_delay_alu instid0(VALU_DEP_1)
	v_add_co_ci_u32_e64 v49, s0, s11, v49, s0
	global_store_b32 v[46:47], v4, off
	global_store_b32 v[44:45], v6, off
	;; [unrolled: 1-line block ×3, first 2 shown]
.LBB289_7:
	s_or_b32 exec_lo, exec_lo, s2
	v_ashrrev_i32_e32 v4, 31, v0
	s_mov_b32 s1, exec_lo
	s_delay_alu instid0(VALU_DEP_1) | instskip(NEXT) | instid1(VALU_DEP_1)
	v_lshrrev_b32_e32 v2, 28, v4
	v_add_nc_u32_e32 v2, v0, v2
	s_delay_alu instid0(VALU_DEP_1) | instskip(NEXT) | instid1(VALU_DEP_1)
	v_ashrrev_i32_e32 v2, 4, v2
	v_lshrrev_b32_e32 v44, 28, v2
	s_delay_alu instid0(VALU_DEP_1) | instskip(NEXT) | instid1(VALU_DEP_1)
	v_add_nc_u32_e32 v44, v2, v44
	v_and_b32_e32 v44, -16, v44
	s_delay_alu instid0(VALU_DEP_1) | instskip(NEXT) | instid1(VALU_DEP_1)
	v_sub_nc_u32_e32 v44, v2, v44
	v_cmpx_eq_u32_e64 v8, v44
	s_cbranch_execz .LBB289_9
; %bb.8:
	v_lshrrev_b32_e32 v4, 24, v4
	v_lshlrev_b32_e32 v2, 4, v2
	s_delay_alu instid0(VALU_DEP_2) | instskip(NEXT) | instid1(VALU_DEP_2)
	v_add_nc_u32_e32 v4, v0, v4
	v_sub_nc_u32_e32 v0, v0, v2
	s_delay_alu instid0(VALU_DEP_2) | instskip(NEXT) | instid1(VALU_DEP_1)
	v_ashrrev_i32_e32 v2, 8, v4
	v_lshl_add_u32 v0, v2, 4, v0
	s_delay_alu instid0(VALU_DEP_1) | instskip(NEXT) | instid1(VALU_DEP_1)
	v_cmp_ne_u32_e64 s0, 15, v0
	v_cndmask_b32_e64 v9, 0xff800000, v9, s0
	v_cmp_ne_u32_e64 s0, 14, v0
	s_delay_alu instid0(VALU_DEP_1) | instskip(SKIP_1) | instid1(VALU_DEP_1)
	v_cndmask_b32_e64 v10, 0xff800000, v10, s0
	v_cmp_ne_u32_e64 s0, 13, v0
	v_cndmask_b32_e64 v11, 0xff800000, v11, s0
	v_cmp_ne_u32_e64 s0, 12, v0
	s_delay_alu instid0(VALU_DEP_1) | instskip(SKIP_1) | instid1(VALU_DEP_1)
	v_cndmask_b32_e64 v12, 0xff800000, v12, s0
	;; [unrolled: 5-line block ×7, first 2 shown]
	v_cmp_ne_u32_e64 s0, 1, v0
	v_cndmask_b32_e64 v21, 0xff800000, v21, s0
	v_cmp_ne_u32_e64 s0, 0, v0
	s_delay_alu instid0(VALU_DEP_1)
	v_cndmask_b32_e64 v23, 0xff800000, v23, s0
.LBB289_9:
	s_or_b32 exec_lo, exec_lo, s1
	s_cmp_eq_u32 s4, 1
	s_cbranch_scc1 .LBB289_16
; %bb.10:
	s_add_i32 s18, s18, s16
	v_add_nc_u32_e32 v0, 1, v5
	v_add3_u32 v42, s18, v43, v42
	v_add_nc_u32_e32 v2, 1, v3
	v_add_nc_u32_e32 v4, 1, v1
	s_add_i32 s14, s4, -1
	s_branch .LBB289_12
.LBB289_11:                             ;   in Loop: Header=BB289_12 Depth=1
	s_or_b32 exec_lo, exec_lo, s1
	v_add_nc_u32_e32 v42, s16, v42
	v_add_nc_u32_e32 v0, 1, v0
	v_add_nc_u32_e32 v2, 1, v2
	v_add_nc_u32_e32 v4, 1, v4
	s_add_i32 s14, s14, -1
	s_delay_alu instid0(SALU_CYCLE_1)
	s_cmp_eq_u32 s14, 0
	s_cbranch_scc1 .LBB289_16
.LBB289_12:                             ; =>This Inner Loop Header: Depth=1
	v_cmp_gt_f32_e64 s0, v21, v23
	s_delay_alu instid0(VALU_DEP_1) | instskip(SKIP_1) | instid1(VALU_DEP_2)
	v_cndmask_b32_e64 v3, v23, v21, s0
	v_cndmask_b32_e64 v1, v26, v27, s0
	v_cmp_gt_f32_e64 s0, v25, v3
	s_delay_alu instid0(VALU_DEP_1) | instskip(NEXT) | instid1(VALU_DEP_3)
	v_cndmask_b32_e64 v3, v3, v25, s0
	v_cndmask_b32_e64 v1, v1, v28, s0
	s_delay_alu instid0(VALU_DEP_2) | instskip(NEXT) | instid1(VALU_DEP_1)
	v_cmp_gt_f32_e64 s0, v24, v3
	v_cndmask_b32_e64 v3, v3, v24, s0
	s_delay_alu instid0(VALU_DEP_3) | instskip(NEXT) | instid1(VALU_DEP_2)
	v_cndmask_b32_e64 v1, v1, v29, s0
	v_cmp_gt_f32_e64 s0, v22, v3
	s_delay_alu instid0(VALU_DEP_1) | instskip(NEXT) | instid1(VALU_DEP_3)
	v_cndmask_b32_e64 v3, v3, v22, s0
	v_cndmask_b32_e64 v1, v1, v30, s0
	s_delay_alu instid0(VALU_DEP_2) | instskip(NEXT) | instid1(VALU_DEP_1)
	v_cmp_gt_f32_e64 s0, v20, v3
	v_cndmask_b32_e64 v3, v3, v20, s0
	s_delay_alu instid0(VALU_DEP_3) | instskip(NEXT) | instid1(VALU_DEP_2)
	;; [unrolled: 9-line block ×6, first 2 shown]
	v_cndmask_b32_e64 v1, v1, v39, s0
	v_cmp_gt_f32_e64 s0, v10, v3
	s_delay_alu instid0(VALU_DEP_1) | instskip(NEXT) | instid1(VALU_DEP_3)
	v_cndmask_b32_e64 v3, v3, v10, s0
	v_cndmask_b32_e64 v1, v1, v40, s0
	s_delay_alu instid0(VALU_DEP_2) | instskip(NEXT) | instid1(VALU_DEP_1)
	v_cmp_gt_f32_e64 s0, v9, v3
	v_cndmask_b32_e64 v1, v1, v41, s0
	v_cndmask_b32_e64 v3, v3, v9, s0
	s_delay_alu instid0(VALU_DEP_2) | instskip(NEXT) | instid1(VALU_DEP_2)
	v_mov_b32_dpp v5, v1 quad_perm:[1,0,3,2] row_mask:0xf bank_mask:0xf
	v_mov_b32_dpp v43, v3 quad_perm:[1,0,3,2] row_mask:0xf bank_mask:0xf
	s_delay_alu instid0(VALU_DEP_2) | instskip(NEXT) | instid1(VALU_DEP_2)
	v_cmp_lt_i32_e64 s0, v5, v1
	v_cmp_eq_f32_e64 s1, v3, v43
	v_cmp_lt_f32_e64 s2, v3, v43
	s_delay_alu instid0(VALU_DEP_2)
	s_and_b32 s0, s1, s0
	s_delay_alu instid0(VALU_DEP_1) | instid1(SALU_CYCLE_1)
	s_or_b32 s0, s2, s0
	s_delay_alu instid0(SALU_CYCLE_1) | instskip(SKIP_1) | instid1(VALU_DEP_2)
	v_cndmask_b32_e64 v3, v3, v43, s0
	v_cndmask_b32_e64 v1, v1, v5, s0
	v_mov_b32_dpp v5, v3 quad_perm:[2,3,0,1] row_mask:0xf bank_mask:0xf
	s_delay_alu instid0(VALU_DEP_2) | instskip(NEXT) | instid1(VALU_DEP_2)
	v_mov_b32_dpp v43, v1 quad_perm:[2,3,0,1] row_mask:0xf bank_mask:0xf
	v_cmp_eq_f32_e64 s0, v3, v5
	s_delay_alu instid0(VALU_DEP_2) | instskip(SKIP_1) | instid1(VALU_DEP_2)
	v_cmp_lt_i32_e64 s1, v43, v1
	v_cmp_lt_f32_e64 s2, v3, v5
	s_and_b32 s0, s0, s1
	s_delay_alu instid0(VALU_DEP_1) | instid1(SALU_CYCLE_1)
	s_or_b32 s0, s2, s0
	s_delay_alu instid0(SALU_CYCLE_1) | instskip(SKIP_1) | instid1(VALU_DEP_2)
	v_cndmask_b32_e64 v3, v3, v5, s0
	v_cndmask_b32_e64 v5, v1, v43, s0
	v_mov_b32_dpp v1, v3 row_half_mirror row_mask:0xf bank_mask:0xf
	s_delay_alu instid0(VALU_DEP_2) | instskip(NEXT) | instid1(VALU_DEP_2)
	v_mov_b32_dpp v43, v5 row_half_mirror row_mask:0xf bank_mask:0xf
	v_cmp_eq_f32_e64 s0, v3, v1
	s_delay_alu instid0(VALU_DEP_2) | instskip(SKIP_1) | instid1(VALU_DEP_2)
	v_cmp_lt_i32_e64 s1, v43, v5
	v_cmp_lt_f32_e64 s2, v3, v1
	s_and_b32 s0, s0, s1
	s_delay_alu instid0(VALU_DEP_1) | instid1(SALU_CYCLE_1)
	s_or_b32 s0, s2, s0
	s_delay_alu instid0(SALU_CYCLE_1) | instskip(SKIP_1) | instid1(VALU_DEP_2)
	v_cndmask_b32_e64 v1, v3, v1, s0
	v_cndmask_b32_e64 v5, v5, v43, s0
	v_mov_b32_dpp v3, v1 row_mirror row_mask:0xf bank_mask:0xf
	s_delay_alu instid0(VALU_DEP_2) | instskip(NEXT) | instid1(VALU_DEP_2)
	v_mov_b32_dpp v43, v5 row_mirror row_mask:0xf bank_mask:0xf
	v_cmp_eq_f32_e64 s0, v1, v3
	s_delay_alu instid0(VALU_DEP_2) | instskip(SKIP_1) | instid1(VALU_DEP_2)
	v_cmp_lt_i32_e64 s1, v43, v5
	v_cmp_lt_f32_e64 s2, v1, v3
	s_and_b32 s0, s0, s1
	s_delay_alu instid0(VALU_DEP_1) | instid1(SALU_CYCLE_1)
	s_or_b32 s0, s2, s0
	s_delay_alu instid0(SALU_CYCLE_1)
	v_cndmask_b32_e64 v43, v5, v43, s0
	s_and_saveexec_b32 s2, vcc_lo
	s_cbranch_execz .LBB289_14
; %bb.13:                               ;   in Loop: Header=BB289_12 Depth=1
	v_cndmask_b32_e64 v1, v1, v3, s0
	s_delay_alu instid0(VALU_DEP_2) | instskip(SKIP_4) | instid1(VALU_DEP_4)
	v_cmp_le_i32_e64 s0, s5, v43
	v_cmp_gt_i32_e64 s1, s6, v43
	v_ashrrev_i32_e32 v5, 31, v4
	v_subrev_nc_u32_e32 v51, s5, v43
	v_sub_f32_e32 v50, v1, v13
	s_and_b32 s0, s0, s1
	s_delay_alu instid0(SALU_CYCLE_1) | instskip(NEXT) | instid1(VALU_DEP_1)
	s_and_b32 s0, s17, s0
	v_mul_f32_e32 v1, 0x3fb8aa3b, v50
	s_delay_alu instid0(VALU_DEP_1) | instskip(SKIP_1) | instid1(VALU_DEP_2)
	v_fma_f32 v3, 0x3fb8aa3b, v50, -v1
	v_rndne_f32_e32 v44, v1
	v_fmac_f32_e32 v3, 0x32a5705f, v50
	s_delay_alu instid0(VALU_DEP_2) | instskip(SKIP_2) | instid1(VALU_DEP_3)
	v_sub_f32_e32 v1, v1, v44
	v_cvt_i32_f32_e32 v49, v44
	v_lshlrev_b64 v[44:45], 2, v[4:5]
	v_add_f32_e32 v1, v1, v3
	v_ashrrev_i32_e32 v3, 31, v2
	s_delay_alu instid0(VALU_DEP_2) | instskip(SKIP_1) | instid1(VALU_DEP_2)
	v_exp_f32_e32 v48, v1
	v_ashrrev_i32_e32 v1, 31, v0
	v_lshlrev_b64 v[46:47], 2, v[2:3]
	s_waitcnt_depctr 0xfff
	v_ldexp_f32 v3, v48, v49
	v_lshlrev_b64 v[48:49], 2, v[0:1]
	v_cndmask_b32_e64 v1, 0x100, v51, s0
	v_cmp_ngt_f32_e64 s0, 0xc2ce8ed0, v50
	s_delay_alu instid0(VALU_DEP_1) | instskip(SKIP_1) | instid1(VALU_DEP_1)
	v_cndmask_b32_e64 v3, 0, v3, s0
	v_add_co_u32 v44, s0, s12, v44
	v_add_co_ci_u32_e64 v45, s0, s13, v45, s0
	v_cmp_nlt_f32_e64 s0, 0x42b17218, v50
	s_delay_alu instid0(VALU_DEP_1) | instskip(SKIP_2) | instid1(VALU_DEP_1)
	v_cndmask_b32_e64 v3, 0x7f800000, v3, s0
	s_waitcnt lgkmcnt(0)
	v_add_co_u32 v46, s0, s8, v46
	v_add_co_ci_u32_e64 v47, s0, s9, v47, s0
	s_delay_alu instid0(VALU_DEP_3) | instskip(SKIP_1) | instid1(VALU_DEP_1)
	v_add_f32_e32 v6, v6, v3
	v_add_co_u32 v48, s0, s10, v48
	v_add_co_ci_u32_e64 v49, s0, s11, v49, s0
	global_store_b32 v[44:45], v3, off
	global_store_b32 v[46:47], v1, off
	;; [unrolled: 1-line block ×3, first 2 shown]
.LBB289_14:                             ;   in Loop: Header=BB289_12 Depth=1
	s_or_b32 exec_lo, exec_lo, s2
	s_delay_alu instid0(VALU_DEP_1) | instskip(SKIP_1) | instid1(VALU_DEP_1)
	v_ashrrev_i32_e32 v3, 31, v43
	s_mov_b32 s1, exec_lo
	v_lshrrev_b32_e32 v1, 28, v3
	s_delay_alu instid0(VALU_DEP_1) | instskip(NEXT) | instid1(VALU_DEP_1)
	v_add_nc_u32_e32 v1, v43, v1
	v_ashrrev_i32_e32 v1, 4, v1
	s_delay_alu instid0(VALU_DEP_1) | instskip(NEXT) | instid1(VALU_DEP_1)
	v_lshrrev_b32_e32 v5, 28, v1
	v_add_nc_u32_e32 v5, v1, v5
	s_delay_alu instid0(VALU_DEP_1) | instskip(NEXT) | instid1(VALU_DEP_1)
	v_and_b32_e32 v5, -16, v5
	v_sub_nc_u32_e32 v5, v1, v5
	s_delay_alu instid0(VALU_DEP_1)
	v_cmpx_eq_u32_e64 v8, v5
	s_cbranch_execz .LBB289_11
; %bb.15:                               ;   in Loop: Header=BB289_12 Depth=1
	v_lshrrev_b32_e32 v3, 24, v3
	v_lshlrev_b32_e32 v1, 4, v1
	s_delay_alu instid0(VALU_DEP_2) | instskip(NEXT) | instid1(VALU_DEP_2)
	v_add_nc_u32_e32 v3, v43, v3
	v_sub_nc_u32_e32 v1, v43, v1
	s_delay_alu instid0(VALU_DEP_2) | instskip(NEXT) | instid1(VALU_DEP_1)
	v_ashrrev_i32_e32 v3, 8, v3
	v_lshl_add_u32 v1, v3, 4, v1
	s_delay_alu instid0(VALU_DEP_1) | instskip(NEXT) | instid1(VALU_DEP_1)
	v_cmp_ne_u32_e64 s0, 15, v1
	v_cndmask_b32_e64 v9, 0xff800000, v9, s0
	v_cmp_ne_u32_e64 s0, 14, v1
	s_delay_alu instid0(VALU_DEP_1) | instskip(SKIP_1) | instid1(VALU_DEP_1)
	v_cndmask_b32_e64 v10, 0xff800000, v10, s0
	v_cmp_ne_u32_e64 s0, 13, v1
	v_cndmask_b32_e64 v11, 0xff800000, v11, s0
	v_cmp_ne_u32_e64 s0, 12, v1
	s_delay_alu instid0(VALU_DEP_1) | instskip(SKIP_1) | instid1(VALU_DEP_1)
	v_cndmask_b32_e64 v12, 0xff800000, v12, s0
	;; [unrolled: 5-line block ×7, first 2 shown]
	v_cmp_ne_u32_e64 s0, 1, v1
	v_cndmask_b32_e64 v21, 0xff800000, v21, s0
	v_cmp_ne_u32_e64 s0, 0, v1
	s_delay_alu instid0(VALU_DEP_1)
	v_cndmask_b32_e64 v23, 0xff800000, v23, s0
	s_branch .LBB289_11
.LBB289_16:
	s_delay_alu instid0(VALU_DEP_1)
	v_sub_f32_e32 v0, v23, v13
	v_sub_f32_e32 v1, v21, v13
	;; [unrolled: 1-line block ×5, first 2 shown]
	v_mul_f32_e32 v2, 0x3fb8aa3b, v0
	v_cmp_ngt_f32_e32 vcc_lo, 0xc2ce8ed0, v0
	v_sub_f32_e32 v14, v14, v13
	v_sub_f32_e32 v10, v10, v13
	;; [unrolled: 1-line block ×3, first 2 shown]
	v_fma_f32 v22, 0x3fb8aa3b, v0, -v2
	v_sub_f32_e32 v3, v25, v13
	v_rndne_f32_e32 v23, v2
	v_sub_f32_e32 v11, v11, v13
	s_delay_alu instid0(VALU_DEP_4) | instskip(NEXT) | instid1(VALU_DEP_4)
	v_dual_sub_f32 v9, v9, v13 :: v_dual_fmac_f32 v22, 0x32a5705f, v0
	v_dual_sub_f32 v5, v24, v13 :: v_dual_mul_f32 v26, 0x3fb8aa3b, v3
	s_delay_alu instid0(VALU_DEP_4) | instskip(SKIP_1) | instid1(VALU_DEP_3)
	v_sub_f32_e32 v2, v2, v23
	v_cvt_i32_f32_e32 v23, v23
	v_mul_f32_e32 v27, 0x3fb8aa3b, v5
	s_delay_alu instid0(VALU_DEP_1) | instskip(NEXT) | instid1(VALU_DEP_4)
	v_fma_f32 v29, 0x3fb8aa3b, v5, -v27
	v_add_f32_e32 v2, v2, v22
	v_rndne_f32_e32 v30, v27
	v_mul_f32_e32 v4, 0x3fb8aa3b, v1
	v_fma_f32 v22, 0x3fb8aa3b, v3, -v26
	v_fmac_f32_e32 v29, 0x32a5705f, v5
	v_exp_f32_e32 v2, v2
	s_waitcnt_depctr 0xfff
	v_ldexp_f32 v2, v2, v23
	v_sub_f32_e32 v23, v27, v30
	v_fma_f32 v24, 0x3fb8aa3b, v1, -v4
	v_rndne_f32_e32 v25, v4
	v_fmac_f32_e32 v22, 0x32a5705f, v3
	v_cndmask_b32_e32 v2, 0, v2, vcc_lo
	v_cmp_ngt_f32_e32 vcc_lo, 0xc2ce8ed0, v1
	v_fmac_f32_e32 v24, 0x32a5705f, v1
	v_sub_f32_e32 v4, v4, v25
	v_cvt_i32_f32_e32 v25, v25
	s_delay_alu instid0(VALU_DEP_2) | instskip(SKIP_1) | instid1(VALU_DEP_2)
	v_dual_add_f32 v23, v23, v29 :: v_dual_add_f32 v4, v4, v24
	v_rndne_f32_e32 v24, v26
	v_exp_f32_e32 v23, v23
	v_mul_f32_e32 v28, 0x3fb8aa3b, v21
	s_delay_alu instid0(VALU_DEP_3) | instskip(NEXT) | instid1(VALU_DEP_2)
	v_exp_f32_e32 v4, v4
	v_sub_f32_e32 v26, v26, v24
	v_cvt_i32_f32_e32 v24, v24
	s_delay_alu instid0(VALU_DEP_2) | instskip(SKIP_3) | instid1(VALU_DEP_1)
	v_add_f32_e32 v22, v26, v22
	s_waitcnt_depctr 0xfff
	v_ldexp_f32 v4, v4, v25
	v_exp_f32_e32 v22, v22
	v_cndmask_b32_e32 v4, 0, v4, vcc_lo
	v_cmp_nlt_f32_e32 vcc_lo, 0x42b17218, v0
	v_cndmask_b32_e32 v0, 0x7f800000, v2, vcc_lo
	v_cmp_nlt_f32_e32 vcc_lo, 0x42b17218, v1
	v_fma_f32 v2, 0x3fb8aa3b, v21, -v28
	v_cndmask_b32_e32 v1, 0x7f800000, v4, vcc_lo
	s_delay_alu instid0(TRANS32_DEP_1) | instskip(SKIP_3) | instid1(VALU_DEP_4)
	v_ldexp_f32 v4, v22, v24
	v_cmp_ngt_f32_e32 vcc_lo, 0xc2ce8ed0, v3
	v_rndne_f32_e32 v22, v28
	v_fmac_f32_e32 v2, 0x32a5705f, v21
	v_dual_add_f32 v0, v0, v1 :: v_dual_cndmask_b32 v1, 0, v4
	v_cvt_i32_f32_e32 v4, v30
	v_cmp_nlt_f32_e32 vcc_lo, 0x42b17218, v3
	s_delay_alu instid0(VALU_DEP_2) | instskip(NEXT) | instid1(VALU_DEP_4)
	v_ldexp_f32 v3, v23, v4
	v_cndmask_b32_e32 v1, 0x7f800000, v1, vcc_lo
	v_cmp_ngt_f32_e32 vcc_lo, 0xc2ce8ed0, v5
	v_mul_f32_e32 v4, 0x3fb8aa3b, v20
	s_delay_alu instid0(VALU_DEP_3) | instskip(SKIP_2) | instid1(VALU_DEP_4)
	v_dual_add_f32 v0, v0, v1 :: v_dual_cndmask_b32 v1, 0, v3
	v_cmp_nlt_f32_e32 vcc_lo, 0x42b17218, v5
	v_sub_f32_e32 v24, v28, v22
	v_fma_f32 v3, 0x3fb8aa3b, v20, -v4
	v_rndne_f32_e32 v23, v4
	v_cvt_i32_f32_e32 v5, v22
	s_delay_alu instid0(VALU_DEP_4) | instskip(NEXT) | instid1(VALU_DEP_3)
	v_dual_cndmask_b32 v1, 0x7f800000, v1 :: v_dual_add_f32 v2, v24, v2
	v_dual_fmac_f32 v3, 0x32a5705f, v20 :: v_dual_sub_f32 v4, v4, v23
	v_mul_f32_e32 v22, 0x3fb8aa3b, v19
	s_delay_alu instid0(VALU_DEP_3) | instskip(NEXT) | instid1(VALU_DEP_4)
	v_add_f32_e32 v0, v0, v1
	v_exp_f32_e32 v2, v2
	v_cmp_ngt_f32_e32 vcc_lo, 0xc2ce8ed0, v21
	s_waitcnt_depctr 0xfff
	v_ldexp_f32 v1, v2, v5
	v_add_f32_e32 v2, v4, v3
	v_fma_f32 v3, 0x3fb8aa3b, v19, -v22
	v_rndne_f32_e32 v4, v22
	s_delay_alu instid0(VALU_DEP_4) | instskip(NEXT) | instid1(VALU_DEP_4)
	v_cndmask_b32_e32 v1, 0, v1, vcc_lo
	v_exp_f32_e32 v2, v2
	s_delay_alu instid0(VALU_DEP_3) | instskip(NEXT) | instid1(VALU_DEP_3)
	v_fmac_f32_e32 v3, 0x32a5705f, v19
	v_sub_f32_e32 v5, v22, v4
	v_cmp_nlt_f32_e32 vcc_lo, 0x42b17218, v21
	v_cvt_i32_f32_e32 v21, v23
	v_cvt_i32_f32_e32 v4, v4
	s_delay_alu instid0(VALU_DEP_4) | instskip(SKIP_3) | instid1(VALU_DEP_3)
	v_add_f32_e32 v3, v5, v3
	v_cndmask_b32_e32 v1, 0x7f800000, v1, vcc_lo
	v_mul_f32_e32 v5, 0x3fb8aa3b, v18
	v_cmp_ngt_f32_e32 vcc_lo, 0xc2ce8ed0, v20
	v_add_f32_e32 v0, v0, v1
	v_ldexp_f32 v1, v2, v21
	v_exp_f32_e32 v2, v3
	v_fma_f32 v3, 0x3fb8aa3b, v18, -v5
	v_rndne_f32_e32 v21, v5
	s_delay_alu instid0(VALU_DEP_3) | instskip(SKIP_1) | instid1(VALU_DEP_4)
	v_cndmask_b32_e32 v1, 0, v1, vcc_lo
	v_cmp_nlt_f32_e32 vcc_lo, 0x42b17218, v20
	v_fmac_f32_e32 v3, 0x32a5705f, v18
	s_delay_alu instid0(VALU_DEP_4) | instskip(NEXT) | instid1(VALU_DEP_4)
	v_sub_f32_e32 v5, v5, v21
	v_cndmask_b32_e32 v1, 0x7f800000, v1, vcc_lo
	s_delay_alu instid0(TRANS32_DEP_1) | instskip(NEXT) | instid1(VALU_DEP_3)
	v_ldexp_f32 v2, v2, v4
	v_add_f32_e32 v3, v5, v3
	v_cmp_ngt_f32_e32 vcc_lo, 0xc2ce8ed0, v19
	v_sub_f32_e32 v5, v16, v13
	v_cvt_i32_f32_e32 v16, v21
	v_mul_f32_e32 v21, 0x3fb8aa3b, v14
	v_sub_f32_e32 v15, v15, v13
	v_dual_add_f32 v0, v0, v1 :: v_dual_cndmask_b32 v1, 0, v2
	v_exp_f32_e32 v2, v3
	v_cmp_nlt_f32_e32 vcc_lo, 0x42b17218, v19
	v_mul_f32_e32 v20, 0x3fb8aa3b, v5
	s_delay_alu instid0(VALU_DEP_3) | instskip(NEXT) | instid1(VALU_DEP_1)
	v_cndmask_b32_e32 v1, 0x7f800000, v1, vcc_lo
	v_add_f32_e32 v0, v0, v1
	s_waitcnt_depctr 0xfff
	v_ldexp_f32 v1, v2, v16
	v_rndne_f32_e32 v16, v20
	v_sub_f32_e32 v4, v17, v13
	s_delay_alu instid0(VALU_DEP_1) | instskip(NEXT) | instid1(VALU_DEP_1)
	v_mul_f32_e32 v3, 0x3fb8aa3b, v4
	v_fma_f32 v17, 0x3fb8aa3b, v4, -v3
	v_rndne_f32_e32 v19, v3
	s_delay_alu instid0(VALU_DEP_1) | instskip(SKIP_3) | instid1(VALU_DEP_4)
	v_dual_fmac_f32 v17, 0x32a5705f, v4 :: v_dual_sub_f32 v2, v3, v19
	v_cmp_ngt_f32_e32 vcc_lo, 0xc2ce8ed0, v18
	v_fma_f32 v3, 0x3fb8aa3b, v5, -v20
	v_cvt_i32_f32_e32 v19, v19
	v_add_f32_e32 v2, v2, v17
	v_cndmask_b32_e32 v1, 0, v1, vcc_lo
	v_cmp_nlt_f32_e32 vcc_lo, 0x42b17218, v18
	v_dual_sub_f32 v17, v20, v16 :: v_dual_mul_f32 v20, 0x3fb8aa3b, v15
	s_delay_alu instid0(VALU_DEP_4) | instskip(NEXT) | instid1(VALU_DEP_3)
	v_exp_f32_e32 v2, v2
	v_cndmask_b32_e32 v1, 0x7f800000, v1, vcc_lo
	v_cmp_ngt_f32_e32 vcc_lo, 0xc2ce8ed0, v4
	s_delay_alu instid0(VALU_DEP_3) | instskip(NEXT) | instid1(VALU_DEP_3)
	v_rndne_f32_e32 v18, v20
	v_add_f32_e32 v0, v0, v1
	s_waitcnt_depctr 0xfff
	v_ldexp_f32 v1, v2, v19
	v_cvt_i32_f32_e32 v2, v16
	v_rndne_f32_e32 v19, v21
	s_delay_alu instid0(VALU_DEP_3) | instskip(SKIP_2) | instid1(VALU_DEP_3)
	v_cndmask_b32_e32 v1, 0, v1, vcc_lo
	v_cmp_nlt_f32_e32 vcc_lo, 0x42b17218, v4
	v_cvt_i32_f32_e32 v4, v18
	v_cndmask_b32_e32 v1, 0x7f800000, v1, vcc_lo
	v_cmp_ngt_f32_e32 vcc_lo, 0xc2ce8ed0, v5
	v_fmac_f32_e32 v3, 0x32a5705f, v5
	s_delay_alu instid0(VALU_DEP_1) | instskip(SKIP_2) | instid1(VALU_DEP_3)
	v_dual_add_f32 v0, v0, v1 :: v_dual_add_f32 v3, v17, v3
	v_fma_f32 v17, 0x3fb8aa3b, v15, -v20
	v_sub_f32_e32 v20, v20, v18
	v_exp_f32_e32 v3, v3
	s_delay_alu instid0(VALU_DEP_2) | instskip(NEXT) | instid1(VALU_DEP_1)
	v_fmac_f32_e32 v17, 0x32a5705f, v15
	v_add_f32_e32 v16, v20, v17
	s_waitcnt_depctr 0xfff
	v_ldexp_f32 v2, v3, v2
	v_exp_f32_e32 v3, v16
	v_sub_f32_e32 v16, v21, v19
	s_delay_alu instid0(VALU_DEP_2)
	v_cndmask_b32_e32 v2, 0, v2, vcc_lo
	v_cmp_nlt_f32_e32 vcc_lo, 0x42b17218, v5
	s_waitcnt_depctr 0xfff
	v_ldexp_f32 v1, v3, v4
	v_cndmask_b32_e32 v2, 0x7f800000, v2, vcc_lo
	v_cmp_ngt_f32_e32 vcc_lo, 0xc2ce8ed0, v15
	v_sub_f32_e32 v4, v12, v13
	v_mul_f32_e32 v12, 0x3fb8aa3b, v11
	s_delay_alu instid0(VALU_DEP_4) | instskip(SKIP_1) | instid1(VALU_DEP_4)
	v_dual_add_f32 v0, v0, v2 :: v_dual_cndmask_b32 v1, 0, v1
	v_cmp_nlt_f32_e32 vcc_lo, 0x42b17218, v15
	v_mul_f32_e32 v5, 0x3fb8aa3b, v4
	v_cvt_i32_f32_e32 v2, v19
	s_delay_alu instid0(VALU_DEP_4) | instskip(NEXT) | instid1(VALU_DEP_1)
	v_cndmask_b32_e32 v1, 0x7f800000, v1, vcc_lo
	v_add_f32_e32 v0, v0, v1
	s_delay_alu instid0(VALU_DEP_4) | instskip(NEXT) | instid1(VALU_DEP_1)
	v_fma_f32 v1, 0x3fb8aa3b, v4, -v5
	v_fmac_f32_e32 v1, 0x32a5705f, v4
	v_fma_f32 v17, 0x3fb8aa3b, v14, -v21
	v_cmp_ngt_f32_e32 vcc_lo, 0xc2ce8ed0, v14
	s_delay_alu instid0(VALU_DEP_2) | instskip(NEXT) | instid1(VALU_DEP_1)
	v_fmac_f32_e32 v17, 0x32a5705f, v14
	v_add_f32_e32 v16, v16, v17
	s_delay_alu instid0(VALU_DEP_1) | instskip(SKIP_1) | instid1(VALU_DEP_1)
	v_exp_f32_e32 v3, v16
	v_mul_f32_e32 v16, 0x3fb8aa3b, v9
	v_rndne_f32_e32 v17, v16
	s_waitcnt_depctr 0xfff
	v_ldexp_f32 v2, v3, v2
	v_rndne_f32_e32 v3, v5
	s_delay_alu instid0(VALU_DEP_1) | instskip(SKIP_3) | instid1(VALU_DEP_4)
	v_dual_cndmask_b32 v2, 0, v2 :: v_dual_sub_f32 v5, v5, v3
	v_cmp_nlt_f32_e32 vcc_lo, 0x42b17218, v14
	v_mul_f32_e32 v14, 0x3fb8aa3b, v10
	v_cvt_i32_f32_e32 v3, v3
	v_dual_add_f32 v1, v5, v1 :: v_dual_cndmask_b32 v2, 0x7f800000, v2
	v_rndne_f32_e32 v5, v12
	s_delay_alu instid0(VALU_DEP_4) | instskip(SKIP_1) | instid1(VALU_DEP_4)
	v_fma_f32 v13, 0x3fb8aa3b, v10, -v14
	v_rndne_f32_e32 v15, v14
	v_exp_f32_e32 v1, v1
	v_add_f32_e32 v0, v0, v2
	v_fma_f32 v2, 0x3fb8aa3b, v11, -v12
	v_dual_sub_f32 v12, v12, v5 :: v_dual_fmac_f32 v13, 0x32a5705f, v10
	v_cmp_ngt_f32_e32 vcc_lo, 0xc2ce8ed0, v4
	v_cvt_i32_f32_e32 v5, v5
	s_delay_alu instid0(VALU_DEP_4) | instskip(NEXT) | instid1(TRANS32_DEP_1)
	v_fmac_f32_e32 v2, 0x32a5705f, v11
	v_ldexp_f32 v1, v1, v3
	s_delay_alu instid0(VALU_DEP_2) | instskip(SKIP_2) | instid1(VALU_DEP_4)
	v_add_f32_e32 v2, v12, v2
	v_sub_f32_e32 v12, v14, v15
	v_fma_f32 v14, 0x3fb8aa3b, v9, -v16
	v_cndmask_b32_e32 v1, 0, v1, vcc_lo
	v_cmp_nlt_f32_e32 vcc_lo, 0x42b17218, v4
	v_exp_f32_e32 v2, v2
	v_add_f32_e32 v3, v12, v13
	v_fmac_f32_e32 v14, 0x32a5705f, v9
	v_sub_f32_e32 v12, v16, v17
	v_cndmask_b32_e32 v1, 0x7f800000, v1, vcc_lo
	v_cvt_i32_f32_e32 v4, v15
	v_exp_f32_e32 v3, v3
	v_cmp_ngt_f32_e32 vcc_lo, 0xc2ce8ed0, v11
	v_add_f32_e32 v12, v12, v14
	v_add_f32_e32 v0, v0, v1
	v_ldexp_f32 v2, v2, v5
	s_delay_alu instid0(VALU_DEP_3)
	v_exp_f32_e32 v5, v12
	s_waitcnt_depctr 0xfff
	v_ldexp_f32 v1, v3, v4
	v_cndmask_b32_e32 v2, 0, v2, vcc_lo
	v_cmp_nlt_f32_e32 vcc_lo, 0x42b17218, v11
	v_cvt_i32_f32_e32 v3, v17
	s_delay_alu instid0(VALU_DEP_3) | instskip(SKIP_1) | instid1(VALU_DEP_3)
	v_cndmask_b32_e32 v2, 0x7f800000, v2, vcc_lo
	v_cmp_ngt_f32_e32 vcc_lo, 0xc2ce8ed0, v10
	v_ldexp_f32 v3, v5, v3
	v_cndmask_b32_e32 v1, 0, v1, vcc_lo
	v_cmp_nlt_f32_e32 vcc_lo, 0x42b17218, v10
	s_delay_alu instid0(VALU_DEP_2) | instskip(SKIP_1) | instid1(VALU_DEP_2)
	v_dual_add_f32 v0, v0, v2 :: v_dual_cndmask_b32 v1, 0x7f800000, v1
	v_cmp_ngt_f32_e32 vcc_lo, 0xc2ce8ed0, v9
	v_add_f32_e32 v0, v0, v1
	v_cndmask_b32_e32 v2, 0, v3, vcc_lo
	v_cmp_nlt_f32_e32 vcc_lo, 0x42b17218, v9
	s_delay_alu instid0(VALU_DEP_2) | instskip(SKIP_1) | instid1(VALU_DEP_2)
	v_cndmask_b32_e32 v1, 0x7f800000, v2, vcc_lo
	v_cmp_eq_u32_e32 vcc_lo, 0, v8
	v_add_f32_e32 v0, v0, v1
	s_delay_alu instid0(VALU_DEP_1) | instskip(NEXT) | instid1(VALU_DEP_1)
	v_mov_b32_dpp v1, v0 quad_perm:[1,0,3,2] row_mask:0xf bank_mask:0xf
	v_add_f32_e32 v0, v0, v1
	s_delay_alu instid0(VALU_DEP_1) | instskip(NEXT) | instid1(VALU_DEP_1)
	v_mov_b32_dpp v1, v0 quad_perm:[2,3,0,1] row_mask:0xf bank_mask:0xf
	v_add_f32_e32 v0, v0, v1
	s_delay_alu instid0(VALU_DEP_1) | instskip(NEXT) | instid1(VALU_DEP_1)
	v_mov_b32_dpp v1, v0 row_half_mirror row_mask:0xf bank_mask:0xf
	v_add_f32_e32 v0, v0, v1
	s_delay_alu instid0(VALU_DEP_1)
	v_mov_b32_dpp v1, v0 row_mirror row_mask:0xf bank_mask:0xf
	s_and_b32 exec_lo, exec_lo, vcc_lo
	s_cbranch_execz .LBB289_21
; %bb.17:
	s_delay_alu instid0(VALU_DEP_1) | instskip(NEXT) | instid1(VALU_DEP_1)
	v_add_f32_e32 v0, v0, v1
	v_add_f32_e32 v0, v6, v0
	s_delay_alu instid0(VALU_DEP_1)
	v_cmp_neq_f32_e32 vcc_lo, 0, v0
	s_and_b32 exec_lo, exec_lo, vcc_lo
	s_cbranch_execz .LBB289_21
; %bb.18:
	s_and_not1_b32 vcc_lo, exec_lo, s3
	s_cbranch_vccnz .LBB289_21
; %bb.19:
	v_div_scale_f32 v2, null, v0, v0, 1.0
	v_div_scale_f32 v4, vcc_lo, 1.0, v0, 1.0
	s_delay_alu instid0(VALU_DEP_2) | instskip(SKIP_2) | instid1(VALU_DEP_1)
	v_rcp_f32_e32 v3, v2
	s_waitcnt_depctr 0xfff
	v_fma_f32 v1, -v2, v3, 1.0
	v_fmac_f32_e32 v3, v1, v3
	v_mul_lo_u32 v1, v7, s7
	s_delay_alu instid0(VALU_DEP_2) | instskip(NEXT) | instid1(VALU_DEP_1)
	v_mul_f32_e32 v5, v4, v3
	v_fma_f32 v6, -v2, v5, v4
	s_delay_alu instid0(VALU_DEP_1) | instskip(NEXT) | instid1(VALU_DEP_1)
	v_fmac_f32_e32 v5, v6, v3
	v_fma_f32 v4, -v2, v5, v4
	v_ashrrev_i32_e32 v2, 31, v1
	s_delay_alu instid0(VALU_DEP_2) | instskip(NEXT) | instid1(VALU_DEP_2)
	v_div_fmas_f32 v5, v4, v3, v5
	v_lshlrev_b64 v[3:4], 2, v[1:2]
	s_delay_alu instid0(VALU_DEP_2) | instskip(NEXT) | instid1(VALU_DEP_2)
	v_div_fixup_f32 v2, v5, v0, 1.0
	v_add_co_u32 v0, vcc_lo, s12, v3
	s_delay_alu instid0(VALU_DEP_3)
	v_add_co_ci_u32_e32 v1, vcc_lo, s13, v4, vcc_lo
.LBB289_20:                             ; =>This Inner Loop Header: Depth=1
	global_load_b32 v3, v[0:1], off
	s_add_i32 s4, s4, -1
	s_delay_alu instid0(SALU_CYCLE_1)
	s_cmp_lg_u32 s4, 0
	s_waitcnt vmcnt(0)
	v_mul_f32_e32 v3, v2, v3
	global_store_b32 v[0:1], v3, off
	v_add_co_u32 v0, vcc_lo, v0, 4
	v_add_co_ci_u32_e32 v1, vcc_lo, 0, v1, vcc_lo
	s_cbranch_scc1 .LBB289_20
.LBB289_21:
	s_nop 0
	s_sendmsg sendmsg(MSG_DEALLOC_VGPRS)
	s_endpgm
	.section	.rodata,"a",@progbits
	.p2align	6, 0x0
	.amdhsa_kernel _ZN4vllm3moe17topkGatingSoftmaxItLi16ELi256ELi8ELi32ELb0ELi0ELNS0_23SharedExpertScoringFuncE0EEEvPKT_PKbPfiPiS9_iiiiii
		.amdhsa_group_segment_fixed_size 0
		.amdhsa_private_segment_fixed_size 0
		.amdhsa_kernarg_size 72
		.amdhsa_user_sgpr_count 15
		.amdhsa_user_sgpr_dispatch_ptr 0
		.amdhsa_user_sgpr_queue_ptr 0
		.amdhsa_user_sgpr_kernarg_segment_ptr 1
		.amdhsa_user_sgpr_dispatch_id 0
		.amdhsa_user_sgpr_private_segment_size 0
		.amdhsa_wavefront_size32 1
		.amdhsa_uses_dynamic_stack 0
		.amdhsa_enable_private_segment 0
		.amdhsa_system_sgpr_workgroup_id_x 1
		.amdhsa_system_sgpr_workgroup_id_y 0
		.amdhsa_system_sgpr_workgroup_id_z 0
		.amdhsa_system_sgpr_workgroup_info 0
		.amdhsa_system_vgpr_workitem_id 1
		.amdhsa_next_free_vgpr 53
		.amdhsa_next_free_sgpr 19
		.amdhsa_reserve_vcc 1
		.amdhsa_float_round_mode_32 0
		.amdhsa_float_round_mode_16_64 0
		.amdhsa_float_denorm_mode_32 3
		.amdhsa_float_denorm_mode_16_64 3
		.amdhsa_dx10_clamp 1
		.amdhsa_ieee_mode 1
		.amdhsa_fp16_overflow 0
		.amdhsa_workgroup_processor_mode 1
		.amdhsa_memory_ordered 1
		.amdhsa_forward_progress 0
		.amdhsa_shared_vgpr_count 0
		.amdhsa_exception_fp_ieee_invalid_op 0
		.amdhsa_exception_fp_denorm_src 0
		.amdhsa_exception_fp_ieee_div_zero 0
		.amdhsa_exception_fp_ieee_overflow 0
		.amdhsa_exception_fp_ieee_underflow 0
		.amdhsa_exception_fp_ieee_inexact 0
		.amdhsa_exception_int_div_zero 0
	.end_amdhsa_kernel
	.section	.text._ZN4vllm3moe17topkGatingSoftmaxItLi16ELi256ELi8ELi32ELb0ELi0ELNS0_23SharedExpertScoringFuncE0EEEvPKT_PKbPfiPiS9_iiiiii,"axG",@progbits,_ZN4vllm3moe17topkGatingSoftmaxItLi16ELi256ELi8ELi32ELb0ELi0ELNS0_23SharedExpertScoringFuncE0EEEvPKT_PKbPfiPiS9_iiiiii,comdat
.Lfunc_end289:
	.size	_ZN4vllm3moe17topkGatingSoftmaxItLi16ELi256ELi8ELi32ELb0ELi0ELNS0_23SharedExpertScoringFuncE0EEEvPKT_PKbPfiPiS9_iiiiii, .Lfunc_end289-_ZN4vllm3moe17topkGatingSoftmaxItLi16ELi256ELi8ELi32ELb0ELi0ELNS0_23SharedExpertScoringFuncE0EEEvPKT_PKbPfiPiS9_iiiiii
                                        ; -- End function
	.section	.AMDGPU.csdata,"",@progbits
; Kernel info:
; codeLenInByte = 5440
; NumSgprs: 21
; NumVgprs: 53
; ScratchSize: 0
; MemoryBound: 0
; FloatMode: 240
; IeeeMode: 1
; LDSByteSize: 0 bytes/workgroup (compile time only)
; SGPRBlocks: 2
; VGPRBlocks: 6
; NumSGPRsForWavesPerEU: 21
; NumVGPRsForWavesPerEU: 53
; Occupancy: 16
; WaveLimiterHint : 0
; COMPUTE_PGM_RSRC2:SCRATCH_EN: 0
; COMPUTE_PGM_RSRC2:USER_SGPR: 15
; COMPUTE_PGM_RSRC2:TRAP_HANDLER: 0
; COMPUTE_PGM_RSRC2:TGID_X_EN: 1
; COMPUTE_PGM_RSRC2:TGID_Y_EN: 0
; COMPUTE_PGM_RSRC2:TGID_Z_EN: 0
; COMPUTE_PGM_RSRC2:TIDIG_COMP_CNT: 1
	.section	.text._ZN4vllm3moe17topkGatingSoftmaxItLi16ELi256ELi8ELi32ELb1ELi1ELNS0_23SharedExpertScoringFuncE1EEEvPKT_PKbPfiPiS9_iiiiii,"axG",@progbits,_ZN4vllm3moe17topkGatingSoftmaxItLi16ELi256ELi8ELi32ELb1ELi1ELNS0_23SharedExpertScoringFuncE1EEEvPKT_PKbPfiPiS9_iiiiii,comdat
	.protected	_ZN4vllm3moe17topkGatingSoftmaxItLi16ELi256ELi8ELi32ELb1ELi1ELNS0_23SharedExpertScoringFuncE1EEEvPKT_PKbPfiPiS9_iiiiii ; -- Begin function _ZN4vllm3moe17topkGatingSoftmaxItLi16ELi256ELi8ELi32ELb1ELi1ELNS0_23SharedExpertScoringFuncE1EEEvPKT_PKbPfiPiS9_iiiiii
	.globl	_ZN4vllm3moe17topkGatingSoftmaxItLi16ELi256ELi8ELi32ELb1ELi1ELNS0_23SharedExpertScoringFuncE1EEEvPKT_PKbPfiPiS9_iiiiii
	.p2align	8
	.type	_ZN4vllm3moe17topkGatingSoftmaxItLi16ELi256ELi8ELi32ELb1ELi1ELNS0_23SharedExpertScoringFuncE1EEEvPKT_PKbPfiPiS9_iiiiii,@function
_ZN4vllm3moe17topkGatingSoftmaxItLi16ELi256ELi8ELi32ELb1ELi1ELNS0_23SharedExpertScoringFuncE1EEEvPKT_PKbPfiPiS9_iiiiii: ; @_ZN4vllm3moe17topkGatingSoftmaxItLi16ELi256ELi8ELi32ELb1ELi1ELNS0_23SharedExpertScoringFuncE1EEEvPKT_PKbPfiPiS9_iiiiii
; %bb.0:
	s_load_b32 s16, s[0:1], 0x18
	v_bfe_u32 v1, v0, 10, 10
	v_and_b32_e32 v0, 0x3ff, v0
	s_lshl_b32 s18, s15, 4
	s_mov_b32 s2, exec_lo
	s_delay_alu instid0(VALU_DEP_2) | instskip(NEXT) | instid1(VALU_DEP_2)
	v_lshlrev_b32_e32 v42, 1, v1
	v_lshrrev_b32_e32 v43, 4, v0
	s_delay_alu instid0(VALU_DEP_1) | instskip(SKIP_1) | instid1(VALU_DEP_1)
	v_add3_u32 v10, s18, v42, v43
	s_waitcnt lgkmcnt(0)
	v_cmpx_gt_i32_e64 s16, v10
	s_cbranch_execz .LBB290_22
; %bb.1:
	s_clause 0x1
	s_load_b128 s[4:7], s[0:1], 0x0
	s_load_b64 s[12:13], s[0:1], 0x10
	s_waitcnt lgkmcnt(0)
	s_cmp_eq_u64 s[6:7], 0
	s_cbranch_scc1 .LBB290_3
; %bb.2:
	v_ashrrev_i32_e32 v2, 31, v10
	v_add_co_u32 v1, vcc_lo, s6, v10
	s_delay_alu instid0(VALU_DEP_2) | instskip(SKIP_3) | instid1(VALU_DEP_1)
	v_add_co_ci_u32_e32 v2, vcc_lo, s7, v2, vcc_lo
	global_load_u8 v1, v[1:2], off
	s_waitcnt vmcnt(0)
	v_and_b32_e32 v1, 1, v1
	v_cmp_eq_u32_e32 vcc_lo, 1, v1
	s_xor_b32 s2, vcc_lo, -1
	s_delay_alu instid0(SALU_CYCLE_1)
	s_or_not1_b32 s17, s2, exec_lo
	s_branch .LBB290_4
.LBB290_3:
	s_mov_b32 s17, -1
.LBB290_4:
	s_clause 0x1
	s_load_b64 s[14:15], s[0:1], 0x40
	s_load_b128 s[8:11], s[0:1], 0x30
	v_and_b32_e32 v11, 15, v0
	s_delay_alu instid0(VALU_DEP_1) | instskip(SKIP_3) | instid1(VALU_DEP_1)
	v_dual_mov_b32 v13, 0 :: v_dual_lshlrev_b32 v12, 4, v11
	v_cmp_eq_u32_e64 s2, 0, v11
	s_waitcnt lgkmcnt(0)
	v_mul_lo_u32 v1, v10, s15
	v_ashrrev_i32_e32 v2, 31, v1
	s_delay_alu instid0(VALU_DEP_1) | instskip(SKIP_1) | instid1(VALU_DEP_2)
	v_lshlrev_b64 v[0:1], 1, v[1:2]
	v_lshlrev_b32_e32 v2, 5, v11
	v_add_co_u32 v8, vcc_lo, s4, v0
	s_delay_alu instid0(VALU_DEP_3) | instskip(NEXT) | instid1(VALU_DEP_2)
	v_add_co_ci_u32_e32 v9, vcc_lo, s5, v1, vcc_lo
	v_add_co_u32 v4, vcc_lo, v8, v2
	s_delay_alu instid0(VALU_DEP_2)
	v_add_co_ci_u32_e32 v5, vcc_lo, 0, v9, vcc_lo
	s_clause 0x1
	global_load_b128 v[0:3], v[4:5], off offset:16
	global_load_b128 v[4:7], v[4:5], off
	s_and_saveexec_b32 s3, s2
	s_cbranch_execz .LBB290_6
; %bb.5:
	global_load_u16 v8, v[8:9], off offset:512
	s_waitcnt vmcnt(0)
	v_cvt_f32_u32_e32 v8, v8
	s_delay_alu instid0(VALU_DEP_1) | instskip(SKIP_1) | instid1(VALU_DEP_2)
	v_mul_f32_e32 v9, 0xbfb8aa3b, v8
	v_cmp_nlt_f32_e32 vcc_lo, 0x42ce8ed0, v8
	v_rndne_f32_e32 v14, v9
	v_fma_f32 v15, 0xbfb8aa3b, v8, -v9
	s_delay_alu instid0(VALU_DEP_2) | instskip(NEXT) | instid1(VALU_DEP_2)
	v_sub_f32_e32 v9, v9, v14
	v_fmamk_f32 v15, v8, 0xb2a5705f, v15
	v_cvt_i32_f32_e32 v14, v14
	s_delay_alu instid0(VALU_DEP_2) | instskip(NEXT) | instid1(VALU_DEP_1)
	v_add_f32_e32 v9, v9, v15
	v_exp_f32_e32 v9, v9
	s_waitcnt_depctr 0xfff
	v_ldexp_f32 v9, v9, v14
	s_delay_alu instid0(VALU_DEP_1) | instskip(SKIP_1) | instid1(VALU_DEP_2)
	v_cndmask_b32_e32 v9, 0, v9, vcc_lo
	v_cmp_ngt_f32_e32 vcc_lo, 0xc2b17218, v8
	v_cndmask_b32_e32 v8, 0x7f800000, v9, vcc_lo
	s_delay_alu instid0(VALU_DEP_1) | instskip(NEXT) | instid1(VALU_DEP_1)
	v_add_f32_e32 v14, 1.0, v8
	v_div_scale_f32 v15, null, v14, v14, 1.0
	v_div_scale_f32 v17, vcc_lo, 1.0, v14, 1.0
	s_delay_alu instid0(VALU_DEP_2) | instskip(SKIP_2) | instid1(VALU_DEP_1)
	v_rcp_f32_e32 v16, v15
	s_waitcnt_depctr 0xfff
	v_fma_f32 v8, -v15, v16, 1.0
	v_fmac_f32_e32 v16, v8, v16
	v_mad_u64_u32 v[8:9], null, v10, s11, s[8:9]
	s_delay_alu instid0(VALU_DEP_2) | instskip(NEXT) | instid1(VALU_DEP_2)
	v_mul_f32_e32 v18, v17, v16
	v_ashrrev_i32_e32 v9, 31, v8
	s_delay_alu instid0(VALU_DEP_2) | instskip(NEXT) | instid1(VALU_DEP_2)
	v_fma_f32 v19, -v15, v18, v17
	v_lshlrev_b64 v[8:9], 2, v[8:9]
	s_delay_alu instid0(VALU_DEP_2) | instskip(NEXT) | instid1(VALU_DEP_1)
	v_fmac_f32_e32 v18, v19, v16
	v_fma_f32 v15, -v15, v18, v17
	s_delay_alu instid0(VALU_DEP_1) | instskip(NEXT) | instid1(VALU_DEP_4)
	v_div_fmas_f32 v15, v15, v16, v18
	v_add_co_u32 v8, vcc_lo, s12, v8
	v_add_co_ci_u32_e32 v9, vcc_lo, s13, v9, vcc_lo
	s_delay_alu instid0(VALU_DEP_3)
	v_div_fixup_f32 v14, v15, v14, 1.0
	global_store_b32 v[8:9], v14, off
.LBB290_6:
	s_or_b32 exec_lo, exec_lo, s3
	s_waitcnt vmcnt(0)
	v_and_b32_e32 v8, 0xffff, v4
	v_lshrrev_b32_e32 v4, 16, v4
	v_or_b32_e32 v14, 1, v12
	v_or_b32_e32 v16, 2, v12
	;; [unrolled: 1-line block ×3, first 2 shown]
	v_cvt_f32_u32_e32 v8, v8
	v_cvt_f32_u32_e32 v9, v4
	v_or_b32_e32 v22, 5, v12
	v_or_b32_e32 v25, 7, v12
	;; [unrolled: 1-line block ×4, first 2 shown]
	v_cmp_lt_f32_e32 vcc_lo, v8, v9
	v_or_b32_e32 v31, 10, v12
	v_or_b32_e32 v33, 11, v12
	;; [unrolled: 1-line block ×3, first 2 shown]
	v_dual_cndmask_b32 v18, v8, v9 :: v_dual_and_b32 v19, 0xffff, v6
	v_lshrrev_b32_e32 v6, 16, v6
	v_or_b32_e32 v37, 13, v12
	v_or_b32_e32 v39, 14, v12
	s_delay_alu instid0(VALU_DEP_4)
	v_cvt_f32_u32_e32 v19, v19
	v_and_b32_e32 v4, 0xffff, v5
	v_lshrrev_b32_e32 v5, 16, v5
	v_cvt_f32_u32_e32 v21, v6
	v_and_b32_e32 v6, 0xffff, v7
	v_or_b32_e32 v41, 15, v12
	v_cvt_f32_u32_e32 v15, v4
	v_cvt_f32_u32_e32 v17, v5
	v_cndmask_b32_e32 v4, v12, v14, vcc_lo
	v_cvt_f32_u32_e32 v23, v6
	v_lshrrev_b32_e32 v6, 16, v7
	v_cmp_lt_f32_e32 vcc_lo, v18, v15
	v_or_b32_e32 v7, 6, v12
	s_delay_alu instid0(VALU_DEP_3) | instskip(SKIP_4) | instid1(VALU_DEP_4)
	v_cvt_f32_u32_e32 v24, v6
	v_dual_cndmask_b32 v5, v18, v15 :: v_dual_cndmask_b32 v4, v4, v16
	v_or_b32_e32 v18, 3, v12
	v_and_b32_e32 v6, 0xffff, v0
	v_lshrrev_b32_e32 v0, 16, v0
	v_cmp_lt_f32_e32 vcc_lo, v5, v17
	s_delay_alu instid0(VALU_DEP_3) | instskip(NEXT) | instid1(VALU_DEP_3)
	v_cvt_f32_u32_e32 v26, v6
	v_cvt_f32_u32_e32 v28, v0
	v_dual_cndmask_b32 v5, v5, v17 :: v_dual_cndmask_b32 v4, v4, v18
	s_delay_alu instid0(VALU_DEP_1) | instskip(NEXT) | instid1(VALU_DEP_2)
	v_cmp_lt_f32_e32 vcc_lo, v5, v19
	v_dual_cndmask_b32 v5, v5, v19 :: v_dual_cndmask_b32 v4, v4, v20
	s_delay_alu instid0(VALU_DEP_1) | instskip(NEXT) | instid1(VALU_DEP_2)
	v_cmp_lt_f32_e32 vcc_lo, v5, v21
	v_dual_cndmask_b32 v5, v5, v21 :: v_dual_cndmask_b32 v4, v4, v22
	s_delay_alu instid0(VALU_DEP_1) | instskip(SKIP_1) | instid1(VALU_DEP_3)
	v_cmp_lt_f32_e32 vcc_lo, v5, v23
	v_cndmask_b32_e32 v5, v5, v23, vcc_lo
	v_cndmask_b32_e32 v4, v4, v7, vcc_lo
	s_delay_alu instid0(VALU_DEP_2) | instskip(NEXT) | instid1(VALU_DEP_2)
	v_cmp_lt_f32_e32 vcc_lo, v5, v24
	v_dual_cndmask_b32 v5, v5, v24 :: v_dual_cndmask_b32 v4, v4, v25
	s_delay_alu instid0(VALU_DEP_1) | instskip(NEXT) | instid1(VALU_DEP_2)
	v_cmp_lt_f32_e32 vcc_lo, v5, v26
	v_cndmask_b32_e32 v0, v4, v27, vcc_lo
	v_dual_cndmask_b32 v4, v5, v26 :: v_dual_and_b32 v5, 0xffff, v1
	v_lshrrev_b32_e32 v1, 16, v1
	s_delay_alu instid0(VALU_DEP_2) | instskip(NEXT) | instid1(VALU_DEP_3)
	v_cmp_lt_f32_e32 vcc_lo, v4, v28
	v_cvt_f32_u32_e32 v30, v5
	s_delay_alu instid0(VALU_DEP_3) | instskip(SKIP_2) | instid1(VALU_DEP_2)
	v_cvt_f32_u32_e32 v32, v1
	v_cndmask_b32_e32 v4, v4, v28, vcc_lo
	v_cndmask_b32_e32 v0, v0, v29, vcc_lo
	v_cmp_lt_f32_e32 vcc_lo, v4, v30
	v_cndmask_b32_e32 v1, v4, v30, vcc_lo
	s_delay_alu instid0(VALU_DEP_3) | instskip(SKIP_2) | instid1(VALU_DEP_4)
	v_cndmask_b32_e32 v0, v0, v31, vcc_lo
	v_and_b32_e32 v4, 0xffff, v2
	v_lshrrev_b32_e32 v2, 16, v2
	v_cmp_lt_f32_e32 vcc_lo, v1, v32
	s_delay_alu instid0(VALU_DEP_3) | instskip(NEXT) | instid1(VALU_DEP_3)
	v_cvt_f32_u32_e32 v34, v4
	v_cvt_f32_u32_e32 v36, v2
	v_dual_cndmask_b32 v1, v1, v32 :: v_dual_and_b32 v2, 0xffff, v3
	v_cndmask_b32_e32 v0, v0, v33, vcc_lo
	s_delay_alu instid0(VALU_DEP_2) | instskip(NEXT) | instid1(VALU_DEP_3)
	v_cvt_f32_u32_e32 v38, v2
	v_cmp_lt_f32_e32 vcc_lo, v1, v34
	v_lshrrev_b32_e32 v2, 16, v3
	s_delay_alu instid0(VALU_DEP_4) | instskip(NEXT) | instid1(VALU_DEP_2)
	v_dual_cndmask_b32 v1, v1, v34 :: v_dual_cndmask_b32 v0, v0, v35
	v_cvt_f32_u32_e32 v40, v2
	s_delay_alu instid0(VALU_DEP_2) | instskip(NEXT) | instid1(VALU_DEP_3)
	v_cmp_lt_f32_e32 vcc_lo, v1, v36
	v_dual_cndmask_b32 v1, v1, v36 :: v_dual_cndmask_b32 v0, v0, v37
	s_delay_alu instid0(VALU_DEP_1) | instskip(NEXT) | instid1(VALU_DEP_2)
	v_cmp_lt_f32_e32 vcc_lo, v1, v38
	v_dual_cndmask_b32 v1, v1, v38 :: v_dual_cndmask_b32 v0, v0, v39
	s_delay_alu instid0(VALU_DEP_1) | instskip(NEXT) | instid1(VALU_DEP_2)
	;; [unrolled: 3-line block ×3, first 2 shown]
	v_mov_b32_dpp v2, v0 quad_perm:[1,0,3,2] row_mask:0xf bank_mask:0xf
	v_mov_b32_dpp v3, v1 quad_perm:[1,0,3,2] row_mask:0xf bank_mask:0xf
	s_delay_alu instid0(VALU_DEP_2) | instskip(NEXT) | instid1(VALU_DEP_2)
	v_cmp_lt_i32_e32 vcc_lo, v2, v0
	v_cmp_eq_f32_e64 s3, v1, v3
	v_cmp_lt_f32_e64 s4, v1, v3
	s_delay_alu instid0(VALU_DEP_2)
	s_and_b32 s3, s3, vcc_lo
	s_delay_alu instid0(VALU_DEP_1) | instid1(SALU_CYCLE_1)
	s_or_b32 vcc_lo, s4, s3
	v_dual_cndmask_b32 v1, v1, v3 :: v_dual_cndmask_b32 v0, v0, v2
	s_delay_alu instid0(VALU_DEP_1) | instskip(NEXT) | instid1(VALU_DEP_2)
	v_mov_b32_dpp v2, v1 quad_perm:[2,3,0,1] row_mask:0xf bank_mask:0xf
	v_mov_b32_dpp v3, v0 quad_perm:[2,3,0,1] row_mask:0xf bank_mask:0xf
	s_delay_alu instid0(VALU_DEP_2) | instskip(NEXT) | instid1(VALU_DEP_2)
	v_cmp_eq_f32_e32 vcc_lo, v1, v2
	v_cmp_lt_i32_e64 s3, v3, v0
	v_cmp_lt_f32_e64 s4, v1, v2
	s_delay_alu instid0(VALU_DEP_2)
	s_and_b32 s3, vcc_lo, s3
	s_delay_alu instid0(VALU_DEP_1) | instid1(SALU_CYCLE_1)
	s_or_b32 vcc_lo, s4, s3
	v_dual_cndmask_b32 v1, v1, v2 :: v_dual_cndmask_b32 v0, v0, v3
	s_delay_alu instid0(VALU_DEP_1) | instskip(NEXT) | instid1(VALU_DEP_2)
	v_mov_b32_dpp v2, v1 row_half_mirror row_mask:0xf bank_mask:0xf
	v_mov_b32_dpp v3, v0 row_half_mirror row_mask:0xf bank_mask:0xf
	s_delay_alu instid0(VALU_DEP_2) | instskip(NEXT) | instid1(VALU_DEP_2)
	v_cmp_eq_f32_e32 vcc_lo, v1, v2
	v_cmp_lt_i32_e64 s3, v3, v0
	v_cmp_lt_f32_e64 s4, v1, v2
	s_delay_alu instid0(VALU_DEP_2)
	s_and_b32 s3, vcc_lo, s3
	s_delay_alu instid0(VALU_DEP_1) | instid1(SALU_CYCLE_1)
	s_or_b32 vcc_lo, s4, s3
	s_cmp_gt_i32 s8, 0
	v_cndmask_b32_e32 v2, v1, v2, vcc_lo
	v_cndmask_b32_e32 v0, v0, v3, vcc_lo
	s_cselect_b32 s3, -1, 0
	s_delay_alu instid0(SALU_CYCLE_1) | instskip(NEXT) | instid1(VALU_DEP_2)
	s_and_b32 vcc_lo, exec_lo, s3
	v_mov_b32_dpp v4, v2 row_mirror row_mask:0xf bank_mask:0xf
	s_delay_alu instid0(VALU_DEP_2)
	v_mov_b32_dpp v6, v0 row_mirror row_mask:0xf bank_mask:0xf
	s_cbranch_vccz .LBB290_18
; %bb.7:
	s_load_b128 s[4:7], s[0:1], 0x20
	s_delay_alu instid0(VALU_DEP_2) | instskip(NEXT) | instid1(VALU_DEP_2)
	v_cmp_eq_f32_e32 vcc_lo, v2, v4
	v_cmp_lt_i32_e64 s0, v6, v0
	v_cmp_lt_f32_e64 s1, v2, v4
	v_mul_lo_u32 v1, v10, s11
	v_mul_lo_u32 v3, v10, s14
	;; [unrolled: 1-line block ×3, first 2 shown]
	s_and_b32 s0, vcc_lo, s0
	v_mov_b32_e32 v13, 0
	s_or_b32 vcc_lo, s1, s0
	v_cndmask_b32_e32 v0, v0, v6, vcc_lo
	v_cndmask_b32_e32 v44, v2, v4, vcc_lo
	s_and_saveexec_b32 s1, s2
	s_cbranch_execz .LBB290_9
; %bb.8:
	s_delay_alu instid0(VALU_DEP_1)
	v_sub_f32_e32 v13, v44, v44
	v_cmp_le_i32_e32 vcc_lo, s9, v0
	v_cmp_gt_i32_e64 s0, s10, v0
	v_subrev_nc_u32_e32 v51, s9, v0
	v_ashrrev_i32_e32 v6, 31, v5
	v_mul_f32_e32 v2, 0x3fb8aa3b, v13
	s_delay_alu instid0(VALU_DEP_4) | instskip(NEXT) | instid1(SALU_CYCLE_1)
	s_and_b32 s0, vcc_lo, s0
	s_and_b32 vcc_lo, s17, s0
	s_delay_alu instid0(VALU_DEP_1) | instskip(SKIP_2) | instid1(VALU_DEP_3)
	v_rndne_f32_e32 v47, v2
	v_fma_f32 v4, 0x3fb8aa3b, v13, -v2
	v_lshlrev_b64 v[49:50], 2, v[5:6]
	v_sub_f32_e32 v2, v2, v47
	s_delay_alu instid0(VALU_DEP_3) | instskip(NEXT) | instid1(VALU_DEP_1)
	v_fmamk_f32 v4, v13, 0x32a5705f, v4
	v_add_f32_e32 v4, v2, v4
	v_ashrrev_i32_e32 v2, 31, v1
	s_delay_alu instid0(VALU_DEP_2) | instskip(NEXT) | instid1(VALU_DEP_1)
	v_exp_f32_e32 v52, v4
	v_lshlrev_b64 v[45:46], 2, v[1:2]
	v_ashrrev_i32_e32 v4, 31, v3
	v_cvt_i32_f32_e32 v2, v47
	s_delay_alu instid0(VALU_DEP_2) | instskip(SKIP_3) | instid1(TRANS32_DEP_1)
	v_lshlrev_b64 v[47:48], 2, v[3:4]
	v_cndmask_b32_e32 v4, 0x100, v51, vcc_lo
	v_add_co_u32 v45, vcc_lo, s12, v45
	v_add_co_ci_u32_e32 v46, vcc_lo, s13, v46, vcc_lo
	v_ldexp_f32 v2, v52, v2
	v_cmp_ngt_f32_e32 vcc_lo, 0xc2ce8ed0, v13
	s_delay_alu instid0(VALU_DEP_2)
	v_cndmask_b32_e32 v2, 0, v2, vcc_lo
	s_waitcnt lgkmcnt(0)
	v_add_co_u32 v47, vcc_lo, s4, v47
	v_add_co_ci_u32_e32 v48, vcc_lo, s5, v48, vcc_lo
	v_cmp_nlt_f32_e32 vcc_lo, 0x42b17218, v13
	v_cndmask_b32_e32 v13, 0x7f800000, v2, vcc_lo
	v_add_co_u32 v49, vcc_lo, s6, v49
	v_add_co_ci_u32_e32 v50, vcc_lo, s7, v50, vcc_lo
	global_store_b32 v[47:48], v4, off
	global_store_b32 v[45:46], v13, off
	;; [unrolled: 1-line block ×3, first 2 shown]
.LBB290_9:
	s_or_b32 exec_lo, exec_lo, s1
	v_ashrrev_i32_e32 v4, 31, v0
	s_mov_b32 s0, exec_lo
	s_delay_alu instid0(VALU_DEP_1) | instskip(NEXT) | instid1(VALU_DEP_1)
	v_lshrrev_b32_e32 v2, 28, v4
	v_add_nc_u32_e32 v2, v0, v2
	s_delay_alu instid0(VALU_DEP_1) | instskip(NEXT) | instid1(VALU_DEP_1)
	v_ashrrev_i32_e32 v2, 4, v2
	v_lshrrev_b32_e32 v6, 28, v2
	s_delay_alu instid0(VALU_DEP_1) | instskip(NEXT) | instid1(VALU_DEP_1)
	v_add_nc_u32_e32 v6, v2, v6
	v_and_b32_e32 v6, -16, v6
	s_delay_alu instid0(VALU_DEP_1) | instskip(NEXT) | instid1(VALU_DEP_1)
	v_sub_nc_u32_e32 v6, v2, v6
	v_cmpx_eq_u32_e64 v11, v6
	s_cbranch_execz .LBB290_11
; %bb.10:
	v_lshrrev_b32_e32 v4, 24, v4
	v_lshlrev_b32_e32 v2, 4, v2
	s_delay_alu instid0(VALU_DEP_2) | instskip(NEXT) | instid1(VALU_DEP_2)
	v_add_nc_u32_e32 v4, v0, v4
	v_sub_nc_u32_e32 v0, v0, v2
	s_delay_alu instid0(VALU_DEP_2) | instskip(NEXT) | instid1(VALU_DEP_1)
	v_ashrrev_i32_e32 v2, 8, v4
	v_lshl_add_u32 v0, v2, 4, v0
	s_delay_alu instid0(VALU_DEP_1)
	v_cmp_ne_u32_e32 vcc_lo, 15, v0
	v_cndmask_b32_e32 v40, 0xff800000, v40, vcc_lo
	v_cmp_ne_u32_e32 vcc_lo, 14, v0
	v_cndmask_b32_e32 v38, 0xff800000, v38, vcc_lo
	;; [unrolled: 2-line block ×16, first 2 shown]
.LBB290_11:
	s_or_b32 exec_lo, exec_lo, s0
	s_cmp_eq_u32 s8, 1
	s_cbranch_scc1 .LBB290_18
; %bb.12:
	s_add_i32 s18, s18, s16
	v_add_nc_u32_e32 v0, 1, v5
	v_add3_u32 v6, s18, v43, v42
	v_add_nc_u32_e32 v2, 1, v3
	v_add_nc_u32_e32 v4, 1, v1
	s_add_i32 s14, s8, -1
	s_branch .LBB290_14
.LBB290_13:                             ;   in Loop: Header=BB290_14 Depth=1
	s_or_b32 exec_lo, exec_lo, s0
	v_add_nc_u32_e32 v6, s16, v6
	v_add_nc_u32_e32 v0, 1, v0
	;; [unrolled: 1-line block ×4, first 2 shown]
	s_add_i32 s14, s14, -1
	s_delay_alu instid0(SALU_CYCLE_1)
	s_cmp_eq_u32 s14, 0
	s_cbranch_scc1 .LBB290_18
.LBB290_14:                             ; =>This Inner Loop Header: Depth=1
	v_cmp_gt_f32_e32 vcc_lo, v9, v8
	v_cndmask_b32_e32 v3, v8, v9, vcc_lo
	v_cndmask_b32_e32 v1, v12, v14, vcc_lo
	s_delay_alu instid0(VALU_DEP_2) | instskip(SKIP_1) | instid1(VALU_DEP_3)
	v_cmp_gt_f32_e32 vcc_lo, v15, v3
	v_cndmask_b32_e32 v3, v3, v15, vcc_lo
	v_cndmask_b32_e32 v1, v1, v16, vcc_lo
	s_delay_alu instid0(VALU_DEP_2) | instskip(SKIP_1) | instid1(VALU_DEP_3)
	;; [unrolled: 4-line block ×13, first 2 shown]
	v_cmp_gt_f32_e32 vcc_lo, v38, v3
	v_cndmask_b32_e32 v3, v3, v38, vcc_lo
	v_cndmask_b32_e32 v1, v1, v39, vcc_lo
	s_delay_alu instid0(VALU_DEP_2) | instskip(NEXT) | instid1(VALU_DEP_2)
	v_cmp_gt_f32_e32 vcc_lo, v40, v3
	v_cndmask_b32_e32 v1, v1, v41, vcc_lo
	v_cndmask_b32_e32 v3, v3, v40, vcc_lo
	s_delay_alu instid0(VALU_DEP_2) | instskip(NEXT) | instid1(VALU_DEP_2)
	v_mov_b32_dpp v5, v1 quad_perm:[1,0,3,2] row_mask:0xf bank_mask:0xf
	v_mov_b32_dpp v42, v3 quad_perm:[1,0,3,2] row_mask:0xf bank_mask:0xf
	s_delay_alu instid0(VALU_DEP_2) | instskip(NEXT) | instid1(VALU_DEP_2)
	v_cmp_lt_i32_e32 vcc_lo, v5, v1
	v_cmp_eq_f32_e64 s0, v3, v42
	v_cmp_lt_f32_e64 s1, v3, v42
	s_delay_alu instid0(VALU_DEP_2)
	s_and_b32 s0, s0, vcc_lo
	s_delay_alu instid0(VALU_DEP_1) | instid1(SALU_CYCLE_1)
	s_or_b32 vcc_lo, s1, s0
	v_cndmask_b32_e32 v3, v3, v42, vcc_lo
	v_cndmask_b32_e32 v1, v1, v5, vcc_lo
	s_delay_alu instid0(VALU_DEP_2) | instskip(NEXT) | instid1(VALU_DEP_2)
	v_mov_b32_dpp v5, v3 quad_perm:[2,3,0,1] row_mask:0xf bank_mask:0xf
	v_mov_b32_dpp v42, v1 quad_perm:[2,3,0,1] row_mask:0xf bank_mask:0xf
	s_delay_alu instid0(VALU_DEP_2) | instskip(NEXT) | instid1(VALU_DEP_2)
	v_cmp_eq_f32_e32 vcc_lo, v3, v5
	v_cmp_lt_i32_e64 s0, v42, v1
	v_cmp_lt_f32_e64 s1, v3, v5
	s_delay_alu instid0(VALU_DEP_2)
	s_and_b32 s0, vcc_lo, s0
	s_delay_alu instid0(VALU_DEP_1) | instid1(SALU_CYCLE_1)
	s_or_b32 vcc_lo, s1, s0
	v_cndmask_b32_e32 v3, v3, v5, vcc_lo
	v_cndmask_b32_e32 v5, v1, v42, vcc_lo
	s_delay_alu instid0(VALU_DEP_2) | instskip(NEXT) | instid1(VALU_DEP_2)
	v_mov_b32_dpp v1, v3 row_half_mirror row_mask:0xf bank_mask:0xf
	v_mov_b32_dpp v42, v5 row_half_mirror row_mask:0xf bank_mask:0xf
	s_delay_alu instid0(VALU_DEP_2) | instskip(NEXT) | instid1(VALU_DEP_2)
	v_cmp_eq_f32_e32 vcc_lo, v3, v1
	v_cmp_lt_i32_e64 s0, v42, v5
	v_cmp_lt_f32_e64 s1, v3, v1
	s_delay_alu instid0(VALU_DEP_2)
	s_and_b32 s0, vcc_lo, s0
	s_delay_alu instid0(VALU_DEP_1) | instid1(SALU_CYCLE_1)
	s_or_b32 vcc_lo, s1, s0
	v_cndmask_b32_e32 v1, v3, v1, vcc_lo
	v_cndmask_b32_e32 v5, v5, v42, vcc_lo
	s_delay_alu instid0(VALU_DEP_2) | instskip(NEXT) | instid1(VALU_DEP_2)
	v_mov_b32_dpp v3, v1 row_mirror row_mask:0xf bank_mask:0xf
	v_mov_b32_dpp v42, v5 row_mirror row_mask:0xf bank_mask:0xf
	s_delay_alu instid0(VALU_DEP_2) | instskip(NEXT) | instid1(VALU_DEP_2)
	v_cmp_eq_f32_e32 vcc_lo, v1, v3
	v_cmp_lt_i32_e64 s0, v42, v5
	v_cmp_lt_f32_e64 s1, v1, v3
	s_delay_alu instid0(VALU_DEP_2)
	s_and_b32 s0, vcc_lo, s0
	s_delay_alu instid0(VALU_DEP_1) | instid1(SALU_CYCLE_1)
	s_or_b32 vcc_lo, s1, s0
	v_cndmask_b32_e32 v42, v5, v42, vcc_lo
	s_and_saveexec_b32 s1, s2
	s_cbranch_execz .LBB290_16
; %bb.15:                               ;   in Loop: Header=BB290_14 Depth=1
	v_cndmask_b32_e32 v1, v1, v3, vcc_lo
	s_delay_alu instid0(VALU_DEP_2) | instskip(SKIP_4) | instid1(VALU_DEP_4)
	v_cmp_le_i32_e32 vcc_lo, s9, v42
	v_cmp_gt_i32_e64 s0, s10, v42
	v_ashrrev_i32_e32 v5, 31, v4
	v_subrev_nc_u32_e32 v51, s9, v42
	v_sub_f32_e32 v43, v1, v44
	s_and_b32 s0, vcc_lo, s0
	s_delay_alu instid0(SALU_CYCLE_1) | instskip(NEXT) | instid1(VALU_DEP_1)
	s_and_b32 vcc_lo, s17, s0
	v_mul_f32_e32 v1, 0x3fb8aa3b, v43
	s_delay_alu instid0(VALU_DEP_1) | instskip(SKIP_1) | instid1(VALU_DEP_2)
	v_fma_f32 v3, 0x3fb8aa3b, v43, -v1
	v_rndne_f32_e32 v45, v1
	v_fmac_f32_e32 v3, 0x32a5705f, v43
	s_delay_alu instid0(VALU_DEP_2) | instskip(SKIP_2) | instid1(VALU_DEP_3)
	v_sub_f32_e32 v1, v1, v45
	v_cvt_i32_f32_e32 v50, v45
	v_lshlrev_b64 v[45:46], 2, v[4:5]
	v_add_f32_e32 v1, v1, v3
	v_ashrrev_i32_e32 v3, 31, v2
	s_delay_alu instid0(VALU_DEP_2) | instskip(SKIP_1) | instid1(VALU_DEP_2)
	v_exp_f32_e32 v49, v1
	v_ashrrev_i32_e32 v1, 31, v0
	v_lshlrev_b64 v[47:48], 2, v[2:3]
	s_waitcnt_depctr 0xfff
	v_ldexp_f32 v3, v49, v50
	v_lshlrev_b64 v[49:50], 2, v[0:1]
	v_cndmask_b32_e32 v1, 0x100, v51, vcc_lo
	v_cmp_ngt_f32_e32 vcc_lo, 0xc2ce8ed0, v43
	s_delay_alu instid0(VALU_DEP_4) | instskip(SKIP_3) | instid1(VALU_DEP_4)
	v_cndmask_b32_e32 v3, 0, v3, vcc_lo
	v_add_co_u32 v45, vcc_lo, s12, v45
	v_add_co_ci_u32_e32 v46, vcc_lo, s13, v46, vcc_lo
	v_cmp_nlt_f32_e32 vcc_lo, 0x42b17218, v43
	v_cndmask_b32_e32 v3, 0x7f800000, v3, vcc_lo
	s_waitcnt lgkmcnt(0)
	v_add_co_u32 v47, vcc_lo, s4, v47
	v_add_co_ci_u32_e32 v48, vcc_lo, s5, v48, vcc_lo
	v_add_co_u32 v49, vcc_lo, s6, v49
	v_add_f32_e32 v13, v13, v3
	v_add_co_ci_u32_e32 v50, vcc_lo, s7, v50, vcc_lo
	global_store_b32 v[45:46], v3, off
	global_store_b32 v[47:48], v1, off
	;; [unrolled: 1-line block ×3, first 2 shown]
.LBB290_16:                             ;   in Loop: Header=BB290_14 Depth=1
	s_or_b32 exec_lo, exec_lo, s1
	s_delay_alu instid0(VALU_DEP_1) | instskip(SKIP_1) | instid1(VALU_DEP_1)
	v_ashrrev_i32_e32 v3, 31, v42
	s_mov_b32 s0, exec_lo
	v_lshrrev_b32_e32 v1, 28, v3
	s_delay_alu instid0(VALU_DEP_1) | instskip(NEXT) | instid1(VALU_DEP_1)
	v_add_nc_u32_e32 v1, v42, v1
	v_ashrrev_i32_e32 v1, 4, v1
	s_delay_alu instid0(VALU_DEP_1) | instskip(NEXT) | instid1(VALU_DEP_1)
	v_lshrrev_b32_e32 v5, 28, v1
	v_add_nc_u32_e32 v5, v1, v5
	s_delay_alu instid0(VALU_DEP_1) | instskip(NEXT) | instid1(VALU_DEP_1)
	v_and_b32_e32 v5, -16, v5
	v_sub_nc_u32_e32 v5, v1, v5
	s_delay_alu instid0(VALU_DEP_1)
	v_cmpx_eq_u32_e64 v11, v5
	s_cbranch_execz .LBB290_13
; %bb.17:                               ;   in Loop: Header=BB290_14 Depth=1
	v_lshrrev_b32_e32 v3, 24, v3
	v_lshlrev_b32_e32 v1, 4, v1
	s_delay_alu instid0(VALU_DEP_2) | instskip(NEXT) | instid1(VALU_DEP_2)
	v_add_nc_u32_e32 v3, v42, v3
	v_sub_nc_u32_e32 v1, v42, v1
	s_delay_alu instid0(VALU_DEP_2) | instskip(NEXT) | instid1(VALU_DEP_1)
	v_ashrrev_i32_e32 v3, 8, v3
	v_lshl_add_u32 v1, v3, 4, v1
	s_delay_alu instid0(VALU_DEP_1)
	v_cmp_ne_u32_e32 vcc_lo, 15, v1
	v_cndmask_b32_e32 v40, 0xff800000, v40, vcc_lo
	v_cmp_ne_u32_e32 vcc_lo, 14, v1
	v_cndmask_b32_e32 v38, 0xff800000, v38, vcc_lo
	;; [unrolled: 2-line block ×16, first 2 shown]
	s_branch .LBB290_13
.LBB290_18:
	v_cmp_neq_f32_e32 vcc_lo, 0, v13
	s_and_b32 s0, s2, vcc_lo
	s_delay_alu instid0(SALU_CYCLE_1)
	s_and_b32 exec_lo, exec_lo, s0
	s_cbranch_execz .LBB290_22
; %bb.19:
	s_and_not1_b32 vcc_lo, exec_lo, s3
	s_cbranch_vccnz .LBB290_22
; %bb.20:
	v_div_scale_f32 v1, null, v13, v13, 1.0
	v_div_scale_f32 v3, vcc_lo, 1.0, v13, 1.0
	s_delay_alu instid0(VALU_DEP_2) | instskip(SKIP_2) | instid1(VALU_DEP_1)
	v_rcp_f32_e32 v2, v1
	s_waitcnt_depctr 0xfff
	v_fma_f32 v0, -v1, v2, 1.0
	v_fmac_f32_e32 v2, v0, v2
	v_mul_lo_u32 v0, v10, s11
	s_delay_alu instid0(VALU_DEP_2) | instskip(NEXT) | instid1(VALU_DEP_1)
	v_mul_f32_e32 v4, v3, v2
	v_fma_f32 v5, -v1, v4, v3
	s_delay_alu instid0(VALU_DEP_1) | instskip(NEXT) | instid1(VALU_DEP_1)
	v_fmac_f32_e32 v4, v5, v2
	v_fma_f32 v3, -v1, v4, v3
	v_ashrrev_i32_e32 v1, 31, v0
	s_delay_alu instid0(VALU_DEP_2) | instskip(NEXT) | instid1(VALU_DEP_2)
	v_div_fmas_f32 v2, v3, v2, v4
	v_lshlrev_b64 v[0:1], 2, v[0:1]
	s_delay_alu instid0(VALU_DEP_2) | instskip(NEXT) | instid1(VALU_DEP_2)
	v_div_fixup_f32 v2, v2, v13, 1.0
	v_add_co_u32 v0, vcc_lo, s12, v0
	s_delay_alu instid0(VALU_DEP_3)
	v_add_co_ci_u32_e32 v1, vcc_lo, s13, v1, vcc_lo
.LBB290_21:                             ; =>This Inner Loop Header: Depth=1
	global_load_b32 v3, v[0:1], off
	s_add_i32 s8, s8, -1
	s_delay_alu instid0(SALU_CYCLE_1)
	s_cmp_lg_u32 s8, 0
	s_waitcnt vmcnt(0)
	v_mul_f32_e32 v3, v2, v3
	global_store_b32 v[0:1], v3, off
	v_add_co_u32 v0, vcc_lo, v0, 4
	v_add_co_ci_u32_e32 v1, vcc_lo, 0, v1, vcc_lo
	s_cbranch_scc1 .LBB290_21
.LBB290_22:
	s_nop 0
	s_sendmsg sendmsg(MSG_DEALLOC_VGPRS)
	s_endpgm
	.section	.rodata,"a",@progbits
	.p2align	6, 0x0
	.amdhsa_kernel _ZN4vllm3moe17topkGatingSoftmaxItLi16ELi256ELi8ELi32ELb1ELi1ELNS0_23SharedExpertScoringFuncE1EEEvPKT_PKbPfiPiS9_iiiiii
		.amdhsa_group_segment_fixed_size 0
		.amdhsa_private_segment_fixed_size 0
		.amdhsa_kernarg_size 72
		.amdhsa_user_sgpr_count 15
		.amdhsa_user_sgpr_dispatch_ptr 0
		.amdhsa_user_sgpr_queue_ptr 0
		.amdhsa_user_sgpr_kernarg_segment_ptr 1
		.amdhsa_user_sgpr_dispatch_id 0
		.amdhsa_user_sgpr_private_segment_size 0
		.amdhsa_wavefront_size32 1
		.amdhsa_uses_dynamic_stack 0
		.amdhsa_enable_private_segment 0
		.amdhsa_system_sgpr_workgroup_id_x 1
		.amdhsa_system_sgpr_workgroup_id_y 0
		.amdhsa_system_sgpr_workgroup_id_z 0
		.amdhsa_system_sgpr_workgroup_info 0
		.amdhsa_system_vgpr_workitem_id 1
		.amdhsa_next_free_vgpr 53
		.amdhsa_next_free_sgpr 19
		.amdhsa_reserve_vcc 1
		.amdhsa_float_round_mode_32 0
		.amdhsa_float_round_mode_16_64 0
		.amdhsa_float_denorm_mode_32 3
		.amdhsa_float_denorm_mode_16_64 3
		.amdhsa_dx10_clamp 1
		.amdhsa_ieee_mode 1
		.amdhsa_fp16_overflow 0
		.amdhsa_workgroup_processor_mode 1
		.amdhsa_memory_ordered 1
		.amdhsa_forward_progress 0
		.amdhsa_shared_vgpr_count 0
		.amdhsa_exception_fp_ieee_invalid_op 0
		.amdhsa_exception_fp_denorm_src 0
		.amdhsa_exception_fp_ieee_div_zero 0
		.amdhsa_exception_fp_ieee_overflow 0
		.amdhsa_exception_fp_ieee_underflow 0
		.amdhsa_exception_fp_ieee_inexact 0
		.amdhsa_exception_int_div_zero 0
	.end_amdhsa_kernel
	.section	.text._ZN4vllm3moe17topkGatingSoftmaxItLi16ELi256ELi8ELi32ELb1ELi1ELNS0_23SharedExpertScoringFuncE1EEEvPKT_PKbPfiPiS9_iiiiii,"axG",@progbits,_ZN4vllm3moe17topkGatingSoftmaxItLi16ELi256ELi8ELi32ELb1ELi1ELNS0_23SharedExpertScoringFuncE1EEEvPKT_PKbPfiPiS9_iiiiii,comdat
.Lfunc_end290:
	.size	_ZN4vllm3moe17topkGatingSoftmaxItLi16ELi256ELi8ELi32ELb1ELi1ELNS0_23SharedExpertScoringFuncE1EEEvPKT_PKbPfiPiS9_iiiiii, .Lfunc_end290-_ZN4vllm3moe17topkGatingSoftmaxItLi16ELi256ELi8ELi32ELb1ELi1ELNS0_23SharedExpertScoringFuncE1EEEvPKT_PKbPfiPiS9_iiiiii
                                        ; -- End function
	.section	.AMDGPU.csdata,"",@progbits
; Kernel info:
; codeLenInByte = 3300
; NumSgprs: 21
; NumVgprs: 53
; ScratchSize: 0
; MemoryBound: 0
; FloatMode: 240
; IeeeMode: 1
; LDSByteSize: 0 bytes/workgroup (compile time only)
; SGPRBlocks: 2
; VGPRBlocks: 6
; NumSGPRsForWavesPerEU: 21
; NumVGPRsForWavesPerEU: 53
; Occupancy: 16
; WaveLimiterHint : 0
; COMPUTE_PGM_RSRC2:SCRATCH_EN: 0
; COMPUTE_PGM_RSRC2:USER_SGPR: 15
; COMPUTE_PGM_RSRC2:TRAP_HANDLER: 0
; COMPUTE_PGM_RSRC2:TGID_X_EN: 1
; COMPUTE_PGM_RSRC2:TGID_Y_EN: 0
; COMPUTE_PGM_RSRC2:TGID_Z_EN: 0
; COMPUTE_PGM_RSRC2:TIDIG_COMP_CNT: 1
	.section	.text._ZN4vllm3moe17topkGatingSoftmaxItLi16ELi256ELi8ELi32ELb0ELi1ELNS0_23SharedExpertScoringFuncE1EEEvPKT_PKbPfiPiS9_iiiiii,"axG",@progbits,_ZN4vllm3moe17topkGatingSoftmaxItLi16ELi256ELi8ELi32ELb0ELi1ELNS0_23SharedExpertScoringFuncE1EEEvPKT_PKbPfiPiS9_iiiiii,comdat
	.protected	_ZN4vllm3moe17topkGatingSoftmaxItLi16ELi256ELi8ELi32ELb0ELi1ELNS0_23SharedExpertScoringFuncE1EEEvPKT_PKbPfiPiS9_iiiiii ; -- Begin function _ZN4vllm3moe17topkGatingSoftmaxItLi16ELi256ELi8ELi32ELb0ELi1ELNS0_23SharedExpertScoringFuncE1EEEvPKT_PKbPfiPiS9_iiiiii
	.globl	_ZN4vllm3moe17topkGatingSoftmaxItLi16ELi256ELi8ELi32ELb0ELi1ELNS0_23SharedExpertScoringFuncE1EEEvPKT_PKbPfiPiS9_iiiiii
	.p2align	8
	.type	_ZN4vllm3moe17topkGatingSoftmaxItLi16ELi256ELi8ELi32ELb0ELi1ELNS0_23SharedExpertScoringFuncE1EEEvPKT_PKbPfiPiS9_iiiiii,@function
_ZN4vllm3moe17topkGatingSoftmaxItLi16ELi256ELi8ELi32ELb0ELi1ELNS0_23SharedExpertScoringFuncE1EEEvPKT_PKbPfiPiS9_iiiiii: ; @_ZN4vllm3moe17topkGatingSoftmaxItLi16ELi256ELi8ELi32ELb0ELi1ELNS0_23SharedExpertScoringFuncE1EEEvPKT_PKbPfiPiS9_iiiiii
; %bb.0:
	s_load_b32 s16, s[0:1], 0x18
	v_bfe_u32 v1, v0, 10, 10
	v_and_b32_e32 v0, 0x3ff, v0
	s_lshl_b32 s18, s15, 4
	s_mov_b32 s2, exec_lo
	s_delay_alu instid0(VALU_DEP_2) | instskip(NEXT) | instid1(VALU_DEP_2)
	v_lshlrev_b32_e32 v43, 1, v1
	v_lshrrev_b32_e32 v44, 4, v0
	s_delay_alu instid0(VALU_DEP_1) | instskip(SKIP_1) | instid1(VALU_DEP_1)
	v_add3_u32 v10, s18, v43, v44
	s_waitcnt lgkmcnt(0)
	v_cmpx_gt_i32_e64 s16, v10
	s_cbranch_execz .LBB291_23
; %bb.1:
	s_clause 0x1
	s_load_b128 s[4:7], s[0:1], 0x0
	s_load_b64 s[12:13], s[0:1], 0x10
	s_waitcnt lgkmcnt(0)
	s_cmp_eq_u64 s[6:7], 0
	s_cbranch_scc1 .LBB291_3
; %bb.2:
	v_ashrrev_i32_e32 v2, 31, v10
	v_add_co_u32 v1, vcc_lo, s6, v10
	s_delay_alu instid0(VALU_DEP_2) | instskip(SKIP_3) | instid1(VALU_DEP_1)
	v_add_co_ci_u32_e32 v2, vcc_lo, s7, v2, vcc_lo
	global_load_u8 v1, v[1:2], off
	s_waitcnt vmcnt(0)
	v_and_b32_e32 v1, 1, v1
	v_cmp_eq_u32_e32 vcc_lo, 1, v1
	s_xor_b32 s2, vcc_lo, -1
	s_delay_alu instid0(SALU_CYCLE_1)
	s_or_not1_b32 s17, s2, exec_lo
	s_branch .LBB291_4
.LBB291_3:
	s_mov_b32 s17, -1
.LBB291_4:
	s_clause 0x1
	s_load_b64 s[14:15], s[0:1], 0x40
	s_load_b128 s[8:11], s[0:1], 0x30
	v_and_b32_e32 v21, 15, v0
	s_delay_alu instid0(VALU_DEP_1) | instskip(SKIP_3) | instid1(VALU_DEP_1)
	v_dual_mov_b32 v11, 0 :: v_dual_lshlrev_b32 v22, 4, v21
	v_cmp_eq_u32_e64 s2, 0, v21
	s_waitcnt lgkmcnt(0)
	v_mul_lo_u32 v1, v10, s15
	v_ashrrev_i32_e32 v2, 31, v1
	s_delay_alu instid0(VALU_DEP_1) | instskip(SKIP_1) | instid1(VALU_DEP_2)
	v_lshlrev_b64 v[0:1], 1, v[1:2]
	v_lshlrev_b32_e32 v2, 5, v21
	v_add_co_u32 v8, vcc_lo, s4, v0
	s_delay_alu instid0(VALU_DEP_3) | instskip(NEXT) | instid1(VALU_DEP_2)
	v_add_co_ci_u32_e32 v9, vcc_lo, s5, v1, vcc_lo
	v_add_co_u32 v4, vcc_lo, v8, v2
	s_delay_alu instid0(VALU_DEP_2)
	v_add_co_ci_u32_e32 v5, vcc_lo, 0, v9, vcc_lo
	s_clause 0x1
	global_load_b128 v[0:3], v[4:5], off offset:16
	global_load_b128 v[4:7], v[4:5], off
	s_and_saveexec_b32 s3, s2
	s_cbranch_execz .LBB291_6
; %bb.5:
	global_load_u16 v8, v[8:9], off offset:512
	s_waitcnt vmcnt(0)
	v_cvt_f32_u32_e32 v8, v8
	s_delay_alu instid0(VALU_DEP_1) | instskip(SKIP_1) | instid1(VALU_DEP_2)
	v_mul_f32_e32 v9, 0xbfb8aa3b, v8
	v_cmp_nlt_f32_e32 vcc_lo, 0x42ce8ed0, v8
	v_rndne_f32_e32 v12, v9
	v_fma_f32 v13, 0xbfb8aa3b, v8, -v9
	s_delay_alu instid0(VALU_DEP_2) | instskip(NEXT) | instid1(VALU_DEP_2)
	v_sub_f32_e32 v9, v9, v12
	v_fmamk_f32 v13, v8, 0xb2a5705f, v13
	v_cvt_i32_f32_e32 v12, v12
	s_delay_alu instid0(VALU_DEP_2) | instskip(NEXT) | instid1(VALU_DEP_1)
	v_add_f32_e32 v9, v9, v13
	v_exp_f32_e32 v9, v9
	s_waitcnt_depctr 0xfff
	v_ldexp_f32 v9, v9, v12
	s_delay_alu instid0(VALU_DEP_1) | instskip(SKIP_1) | instid1(VALU_DEP_2)
	v_cndmask_b32_e32 v9, 0, v9, vcc_lo
	v_cmp_ngt_f32_e32 vcc_lo, 0xc2b17218, v8
	v_cndmask_b32_e32 v8, 0x7f800000, v9, vcc_lo
	s_delay_alu instid0(VALU_DEP_1) | instskip(NEXT) | instid1(VALU_DEP_1)
	v_add_f32_e32 v12, 1.0, v8
	v_div_scale_f32 v13, null, v12, v12, 1.0
	v_div_scale_f32 v15, vcc_lo, 1.0, v12, 1.0
	s_delay_alu instid0(VALU_DEP_2) | instskip(SKIP_2) | instid1(VALU_DEP_1)
	v_rcp_f32_e32 v14, v13
	s_waitcnt_depctr 0xfff
	v_fma_f32 v8, -v13, v14, 1.0
	v_fmac_f32_e32 v14, v8, v14
	v_mad_u64_u32 v[8:9], null, v10, s11, s[8:9]
	s_delay_alu instid0(VALU_DEP_2) | instskip(NEXT) | instid1(VALU_DEP_2)
	v_mul_f32_e32 v16, v15, v14
	v_ashrrev_i32_e32 v9, 31, v8
	s_delay_alu instid0(VALU_DEP_2) | instskip(NEXT) | instid1(VALU_DEP_2)
	v_fma_f32 v17, -v13, v16, v15
	v_lshlrev_b64 v[8:9], 2, v[8:9]
	s_delay_alu instid0(VALU_DEP_2) | instskip(NEXT) | instid1(VALU_DEP_1)
	v_fmac_f32_e32 v16, v17, v14
	v_fma_f32 v13, -v13, v16, v15
	s_delay_alu instid0(VALU_DEP_1) | instskip(NEXT) | instid1(VALU_DEP_4)
	v_div_fmas_f32 v13, v13, v14, v16
	v_add_co_u32 v8, vcc_lo, s12, v8
	v_add_co_ci_u32_e32 v9, vcc_lo, s13, v9, vcc_lo
	s_delay_alu instid0(VALU_DEP_3)
	v_div_fixup_f32 v12, v13, v12, 1.0
	global_store_b32 v[8:9], v12, off
.LBB291_6:
	s_or_b32 exec_lo, exec_lo, s3
	s_waitcnt vmcnt(0)
	v_and_b32_e32 v8, 0xffff, v4
	v_lshrrev_b32_e32 v4, 16, v4
	v_or_b32_e32 v28, 1, v22
	v_or_b32_e32 v29, 2, v22
	v_or_b32_e32 v30, 3, v22
	v_cvt_f32_u32_e32 v25, v8
	v_cvt_f32_u32_e32 v23, v4
	v_or_b32_e32 v31, 4, v22
	v_or_b32_e32 v32, 5, v22
	;; [unrolled: 1-line block ×4, first 2 shown]
	v_cmp_lt_f32_e32 vcc_lo, v25, v23
	v_or_b32_e32 v35, 8, v22
	v_or_b32_e32 v36, 9, v22
	;; [unrolled: 1-line block ×4, first 2 shown]
	v_cndmask_b32_e32 v8, v25, v23, vcc_lo
	v_and_b32_e32 v4, 0xffff, v5
	v_lshrrev_b32_e32 v5, 16, v5
	v_or_b32_e32 v39, 12, v22
	v_or_b32_e32 v40, 13, v22
	;; [unrolled: 1-line block ×3, first 2 shown]
	v_cvt_f32_u32_e32 v27, v4
	v_cndmask_b32_e32 v4, v22, v28, vcc_lo
	v_cvt_f32_u32_e32 v26, v5
	v_or_b32_e32 v42, 15, v22
	s_delay_alu instid0(VALU_DEP_4) | instskip(SKIP_2) | instid1(VALU_DEP_2)
	v_cmp_lt_f32_e32 vcc_lo, v8, v27
	v_dual_cndmask_b32 v5, v8, v27 :: v_dual_and_b32 v8, 0xffff, v6
	v_lshrrev_b32_e32 v6, 16, v6
	v_cvt_f32_u32_e32 v24, v8
	v_cndmask_b32_e32 v4, v4, v29, vcc_lo
	s_delay_alu instid0(VALU_DEP_4) | instskip(NEXT) | instid1(VALU_DEP_4)
	v_cmp_lt_f32_e32 vcc_lo, v5, v26
	v_cvt_f32_u32_e32 v20, v6
	v_dual_cndmask_b32 v5, v5, v26 :: v_dual_and_b32 v6, 0xffff, v7
	s_delay_alu instid0(VALU_DEP_4) | instskip(NEXT) | instid1(VALU_DEP_2)
	v_cndmask_b32_e32 v4, v4, v30, vcc_lo
	v_cvt_f32_u32_e32 v19, v6
	v_lshrrev_b32_e32 v6, 16, v7
	s_delay_alu instid0(VALU_DEP_4) | instskip(NEXT) | instid1(VALU_DEP_2)
	v_cmp_lt_f32_e32 vcc_lo, v5, v24
	v_cvt_f32_u32_e32 v18, v6
	v_and_b32_e32 v6, 0xffff, v0
	v_dual_cndmask_b32 v5, v5, v24 :: v_dual_cndmask_b32 v4, v4, v31
	v_lshrrev_b32_e32 v0, 16, v0
	s_delay_alu instid0(VALU_DEP_3) | instskip(NEXT) | instid1(VALU_DEP_3)
	v_cvt_f32_u32_e32 v17, v6
	v_cmp_lt_f32_e32 vcc_lo, v5, v20
	s_delay_alu instid0(VALU_DEP_3) | instskip(SKIP_2) | instid1(VALU_DEP_2)
	v_cvt_f32_u32_e32 v16, v0
	v_cndmask_b32_e32 v5, v5, v20, vcc_lo
	v_cndmask_b32_e32 v4, v4, v32, vcc_lo
	v_cmp_lt_f32_e32 vcc_lo, v5, v19
	s_delay_alu instid0(VALU_DEP_2) | instskip(NEXT) | instid1(VALU_DEP_1)
	v_dual_cndmask_b32 v5, v5, v19 :: v_dual_cndmask_b32 v4, v4, v33
	v_cmp_lt_f32_e32 vcc_lo, v5, v18
	v_cndmask_b32_e32 v5, v5, v18, vcc_lo
	s_delay_alu instid0(VALU_DEP_3) | instskip(NEXT) | instid1(VALU_DEP_2)
	v_cndmask_b32_e32 v4, v4, v34, vcc_lo
	v_cmp_lt_f32_e32 vcc_lo, v5, v17
	s_delay_alu instid0(VALU_DEP_2) | instskip(SKIP_3) | instid1(VALU_DEP_3)
	v_cndmask_b32_e32 v0, v4, v35, vcc_lo
	v_cndmask_b32_e32 v4, v5, v17, vcc_lo
	v_and_b32_e32 v5, 0xffff, v1
	v_lshrrev_b32_e32 v1, 16, v1
	v_cmp_lt_f32_e32 vcc_lo, v4, v16
	s_delay_alu instid0(VALU_DEP_3) | instskip(NEXT) | instid1(VALU_DEP_3)
	v_cvt_f32_u32_e32 v15, v5
	v_cvt_f32_u32_e32 v14, v1
	v_cndmask_b32_e32 v4, v4, v16, vcc_lo
	v_cndmask_b32_e32 v0, v0, v36, vcc_lo
	s_delay_alu instid0(VALU_DEP_2) | instskip(SKIP_1) | instid1(VALU_DEP_3)
	v_cmp_lt_f32_e32 vcc_lo, v4, v15
	v_cndmask_b32_e32 v1, v4, v15, vcc_lo
	v_cndmask_b32_e32 v0, v0, v37, vcc_lo
	v_and_b32_e32 v4, 0xffff, v2
	v_lshrrev_b32_e32 v2, 16, v2
	s_delay_alu instid0(VALU_DEP_4) | instskip(NEXT) | instid1(VALU_DEP_3)
	v_cmp_lt_f32_e32 vcc_lo, v1, v14
	v_cvt_f32_u32_e32 v12, v4
	s_delay_alu instid0(VALU_DEP_3) | instskip(SKIP_2) | instid1(VALU_DEP_2)
	v_cvt_f32_u32_e32 v9, v2
	v_dual_cndmask_b32 v1, v1, v14 :: v_dual_and_b32 v2, 0xffff, v3
	v_cndmask_b32_e32 v0, v0, v38, vcc_lo
	v_cvt_f32_u32_e32 v8, v2
	s_delay_alu instid0(VALU_DEP_3) | instskip(SKIP_1) | instid1(VALU_DEP_4)
	v_cmp_lt_f32_e32 vcc_lo, v1, v12
	v_lshrrev_b32_e32 v2, 16, v3
	v_dual_cndmask_b32 v1, v1, v12 :: v_dual_cndmask_b32 v0, v0, v39
	s_delay_alu instid0(VALU_DEP_2) | instskip(NEXT) | instid1(VALU_DEP_2)
	v_cvt_f32_u32_e32 v7, v2
	v_cmp_lt_f32_e32 vcc_lo, v1, v9
	s_delay_alu instid0(VALU_DEP_3) | instskip(NEXT) | instid1(VALU_DEP_1)
	v_dual_cndmask_b32 v1, v1, v9 :: v_dual_cndmask_b32 v0, v0, v40
	v_cmp_lt_f32_e32 vcc_lo, v1, v8
	s_delay_alu instid0(VALU_DEP_2) | instskip(NEXT) | instid1(VALU_DEP_1)
	v_dual_cndmask_b32 v1, v1, v8 :: v_dual_cndmask_b32 v0, v0, v41
	v_cmp_lt_f32_e32 vcc_lo, v1, v7
	s_delay_alu instid0(VALU_DEP_2) | instskip(NEXT) | instid1(VALU_DEP_1)
	v_dual_cndmask_b32 v0, v0, v42 :: v_dual_cndmask_b32 v1, v1, v7
	v_mov_b32_dpp v3, v0 quad_perm:[1,0,3,2] row_mask:0xf bank_mask:0xf
	s_delay_alu instid0(VALU_DEP_2) | instskip(NEXT) | instid1(VALU_DEP_2)
	v_mov_b32_dpp v2, v1 quad_perm:[1,0,3,2] row_mask:0xf bank_mask:0xf
	v_cmp_lt_i32_e64 s3, v3, v0
	s_delay_alu instid0(VALU_DEP_2) | instskip(SKIP_1) | instid1(VALU_DEP_3)
	v_cmp_eq_f32_e32 vcc_lo, v1, v2
	v_cmp_lt_f32_e64 s4, v1, v2
	s_and_b32 s3, vcc_lo, s3
	s_delay_alu instid0(VALU_DEP_1) | instid1(SALU_CYCLE_1)
	s_or_b32 vcc_lo, s4, s3
	v_dual_cndmask_b32 v1, v1, v2 :: v_dual_cndmask_b32 v0, v0, v3
	s_delay_alu instid0(VALU_DEP_1) | instskip(NEXT) | instid1(VALU_DEP_2)
	v_mov_b32_dpp v2, v1 quad_perm:[2,3,0,1] row_mask:0xf bank_mask:0xf
	v_mov_b32_dpp v3, v0 quad_perm:[2,3,0,1] row_mask:0xf bank_mask:0xf
	s_delay_alu instid0(VALU_DEP_2) | instskip(NEXT) | instid1(VALU_DEP_2)
	v_cmp_eq_f32_e32 vcc_lo, v1, v2
	v_cmp_lt_i32_e64 s3, v3, v0
	v_cmp_lt_f32_e64 s4, v1, v2
	s_delay_alu instid0(VALU_DEP_2)
	s_and_b32 s3, vcc_lo, s3
	s_delay_alu instid0(VALU_DEP_1) | instid1(SALU_CYCLE_1)
	s_or_b32 vcc_lo, s4, s3
	v_dual_cndmask_b32 v1, v1, v2 :: v_dual_cndmask_b32 v0, v0, v3
	s_delay_alu instid0(VALU_DEP_1) | instskip(NEXT) | instid1(VALU_DEP_2)
	v_mov_b32_dpp v2, v1 row_half_mirror row_mask:0xf bank_mask:0xf
	v_mov_b32_dpp v3, v0 row_half_mirror row_mask:0xf bank_mask:0xf
	s_delay_alu instid0(VALU_DEP_2) | instskip(NEXT) | instid1(VALU_DEP_2)
	v_cmp_eq_f32_e32 vcc_lo, v1, v2
	v_cmp_lt_i32_e64 s3, v3, v0
	v_cmp_lt_f32_e64 s4, v1, v2
	s_delay_alu instid0(VALU_DEP_2)
	s_and_b32 s3, vcc_lo, s3
	s_delay_alu instid0(VALU_DEP_1) | instid1(SALU_CYCLE_1)
	s_or_b32 vcc_lo, s4, s3
	v_dual_cndmask_b32 v1, v1, v2 :: v_dual_cndmask_b32 v0, v0, v3
	s_delay_alu instid0(VALU_DEP_1) | instskip(NEXT) | instid1(VALU_DEP_2)
	v_mov_b32_dpp v3, v1 row_mirror row_mask:0xf bank_mask:0xf
	v_mov_b32_dpp v2, v0 row_mirror row_mask:0xf bank_mask:0xf
	s_delay_alu instid0(VALU_DEP_2) | instskip(NEXT) | instid1(VALU_DEP_2)
	v_cmp_eq_f32_e32 vcc_lo, v1, v3
	v_cmp_lt_i32_e64 s3, v2, v0
	v_cmp_lt_f32_e64 s4, v1, v3
	s_delay_alu instid0(VALU_DEP_2)
	s_and_b32 s3, vcc_lo, s3
	s_delay_alu instid0(VALU_DEP_1) | instid1(SALU_CYCLE_1)
	s_or_b32 s3, s4, s3
	s_cmp_gt_i32 s8, 0
	v_cndmask_b32_e64 v13, v1, v3, s3
	s_cselect_b32 s15, -1, 0
	s_delay_alu instid0(SALU_CYCLE_1)
	s_and_b32 vcc_lo, exec_lo, s15
	s_cbranch_vccz .LBB291_18
; %bb.7:
	s_load_b128 s[4:7], s[0:1], 0x20
	v_mul_lo_u32 v1, v10, s11
	v_mul_lo_u32 v3, v10, s14
	;; [unrolled: 1-line block ×3, first 2 shown]
	v_cndmask_b32_e64 v0, v0, v2, s3
	v_mov_b32_e32 v11, 0
	s_and_saveexec_b32 s1, s2
	s_cbranch_execz .LBB291_9
; %bb.8:
	v_sub_f32_e32 v11, v13, v13
	v_cmp_le_i32_e32 vcc_lo, s9, v0
	v_cmp_gt_i32_e64 s0, s10, v0
	v_subrev_nc_u32_e32 v51, s9, v0
	v_ashrrev_i32_e32 v6, 31, v5
	v_mul_f32_e32 v2, 0x3fb8aa3b, v11
	s_delay_alu instid0(VALU_DEP_4) | instskip(NEXT) | instid1(SALU_CYCLE_1)
	s_and_b32 s0, vcc_lo, s0
	s_and_b32 vcc_lo, s17, s0
	s_delay_alu instid0(VALU_DEP_1) | instskip(SKIP_2) | instid1(VALU_DEP_3)
	v_rndne_f32_e32 v47, v2
	v_fma_f32 v4, 0x3fb8aa3b, v11, -v2
	v_lshlrev_b64 v[49:50], 2, v[5:6]
	v_sub_f32_e32 v2, v2, v47
	s_delay_alu instid0(VALU_DEP_3) | instskip(NEXT) | instid1(VALU_DEP_1)
	v_fmamk_f32 v4, v11, 0x32a5705f, v4
	v_add_f32_e32 v4, v2, v4
	v_ashrrev_i32_e32 v2, 31, v1
	s_delay_alu instid0(VALU_DEP_2) | instskip(NEXT) | instid1(VALU_DEP_1)
	v_exp_f32_e32 v52, v4
	v_lshlrev_b64 v[45:46], 2, v[1:2]
	v_ashrrev_i32_e32 v4, 31, v3
	v_cvt_i32_f32_e32 v2, v47
	s_delay_alu instid0(VALU_DEP_2) | instskip(SKIP_3) | instid1(TRANS32_DEP_1)
	v_lshlrev_b64 v[47:48], 2, v[3:4]
	v_cndmask_b32_e32 v4, 0x100, v51, vcc_lo
	v_add_co_u32 v45, vcc_lo, s12, v45
	v_add_co_ci_u32_e32 v46, vcc_lo, s13, v46, vcc_lo
	v_ldexp_f32 v2, v52, v2
	v_cmp_ngt_f32_e32 vcc_lo, 0xc2ce8ed0, v11
	s_delay_alu instid0(VALU_DEP_2)
	v_cndmask_b32_e32 v2, 0, v2, vcc_lo
	s_waitcnt lgkmcnt(0)
	v_add_co_u32 v47, vcc_lo, s4, v47
	v_add_co_ci_u32_e32 v48, vcc_lo, s5, v48, vcc_lo
	v_cmp_nlt_f32_e32 vcc_lo, 0x42b17218, v11
	v_cndmask_b32_e32 v11, 0x7f800000, v2, vcc_lo
	v_add_co_u32 v49, vcc_lo, s6, v49
	v_add_co_ci_u32_e32 v50, vcc_lo, s7, v50, vcc_lo
	global_store_b32 v[47:48], v4, off
	global_store_b32 v[45:46], v11, off
	;; [unrolled: 1-line block ×3, first 2 shown]
.LBB291_9:
	s_or_b32 exec_lo, exec_lo, s1
	v_ashrrev_i32_e32 v4, 31, v0
	s_mov_b32 s0, exec_lo
	s_delay_alu instid0(VALU_DEP_1) | instskip(NEXT) | instid1(VALU_DEP_1)
	v_lshrrev_b32_e32 v2, 28, v4
	v_add_nc_u32_e32 v2, v0, v2
	s_delay_alu instid0(VALU_DEP_1) | instskip(NEXT) | instid1(VALU_DEP_1)
	v_ashrrev_i32_e32 v2, 4, v2
	v_lshrrev_b32_e32 v6, 28, v2
	s_delay_alu instid0(VALU_DEP_1) | instskip(NEXT) | instid1(VALU_DEP_1)
	v_add_nc_u32_e32 v6, v2, v6
	v_and_b32_e32 v6, -16, v6
	s_delay_alu instid0(VALU_DEP_1) | instskip(NEXT) | instid1(VALU_DEP_1)
	v_sub_nc_u32_e32 v6, v2, v6
	v_cmpx_eq_u32_e64 v21, v6
	s_cbranch_execz .LBB291_11
; %bb.10:
	v_lshrrev_b32_e32 v4, 24, v4
	v_lshlrev_b32_e32 v2, 4, v2
	s_delay_alu instid0(VALU_DEP_2) | instskip(NEXT) | instid1(VALU_DEP_2)
	v_add_nc_u32_e32 v4, v0, v4
	v_sub_nc_u32_e32 v0, v0, v2
	s_delay_alu instid0(VALU_DEP_2) | instskip(NEXT) | instid1(VALU_DEP_1)
	v_ashrrev_i32_e32 v2, 8, v4
	v_lshl_add_u32 v0, v2, 4, v0
	s_delay_alu instid0(VALU_DEP_1)
	v_cmp_ne_u32_e32 vcc_lo, 15, v0
	v_cndmask_b32_e32 v7, 0xff800000, v7, vcc_lo
	v_cmp_ne_u32_e32 vcc_lo, 14, v0
	v_cndmask_b32_e32 v8, 0xff800000, v8, vcc_lo
	;; [unrolled: 2-line block ×16, first 2 shown]
.LBB291_11:
	s_or_b32 exec_lo, exec_lo, s0
	s_cmp_eq_u32 s8, 1
	s_cbranch_scc1 .LBB291_18
; %bb.12:
	s_add_i32 s18, s18, s16
	v_add_nc_u32_e32 v0, 1, v5
	v_add3_u32 v6, s18, v44, v43
	v_add_nc_u32_e32 v2, 1, v3
	v_add_nc_u32_e32 v4, 1, v1
	s_add_i32 s3, s8, -1
	s_branch .LBB291_14
.LBB291_13:                             ;   in Loop: Header=BB291_14 Depth=1
	s_or_b32 exec_lo, exec_lo, s0
	v_add_nc_u32_e32 v6, s16, v6
	v_add_nc_u32_e32 v0, 1, v0
	;; [unrolled: 1-line block ×4, first 2 shown]
	s_add_i32 s3, s3, -1
	s_delay_alu instid0(SALU_CYCLE_1)
	s_cmp_eq_u32 s3, 0
	s_cbranch_scc1 .LBB291_18
.LBB291_14:                             ; =>This Inner Loop Header: Depth=1
	v_cmp_gt_f32_e32 vcc_lo, v23, v25
	v_cndmask_b32_e32 v3, v25, v23, vcc_lo
	v_cndmask_b32_e32 v1, v22, v28, vcc_lo
	s_delay_alu instid0(VALU_DEP_2) | instskip(SKIP_1) | instid1(VALU_DEP_3)
	v_cmp_gt_f32_e32 vcc_lo, v27, v3
	v_cndmask_b32_e32 v3, v3, v27, vcc_lo
	v_cndmask_b32_e32 v1, v1, v29, vcc_lo
	s_delay_alu instid0(VALU_DEP_2) | instskip(SKIP_1) | instid1(VALU_DEP_3)
	;; [unrolled: 4-line block ×13, first 2 shown]
	v_cmp_gt_f32_e32 vcc_lo, v8, v3
	v_cndmask_b32_e32 v3, v3, v8, vcc_lo
	v_cndmask_b32_e32 v1, v1, v41, vcc_lo
	s_delay_alu instid0(VALU_DEP_2) | instskip(NEXT) | instid1(VALU_DEP_2)
	v_cmp_gt_f32_e32 vcc_lo, v7, v3
	v_cndmask_b32_e32 v1, v1, v42, vcc_lo
	v_cndmask_b32_e32 v3, v3, v7, vcc_lo
	s_delay_alu instid0(VALU_DEP_2) | instskip(NEXT) | instid1(VALU_DEP_2)
	v_mov_b32_dpp v5, v1 quad_perm:[1,0,3,2] row_mask:0xf bank_mask:0xf
	v_mov_b32_dpp v43, v3 quad_perm:[1,0,3,2] row_mask:0xf bank_mask:0xf
	s_delay_alu instid0(VALU_DEP_2) | instskip(NEXT) | instid1(VALU_DEP_2)
	v_cmp_lt_i32_e32 vcc_lo, v5, v1
	v_cmp_eq_f32_e64 s0, v3, v43
	v_cmp_lt_f32_e64 s1, v3, v43
	s_delay_alu instid0(VALU_DEP_2)
	s_and_b32 s0, s0, vcc_lo
	s_delay_alu instid0(VALU_DEP_1) | instid1(SALU_CYCLE_1)
	s_or_b32 vcc_lo, s1, s0
	v_cndmask_b32_e32 v3, v3, v43, vcc_lo
	v_cndmask_b32_e32 v1, v1, v5, vcc_lo
	s_delay_alu instid0(VALU_DEP_2) | instskip(NEXT) | instid1(VALU_DEP_2)
	v_mov_b32_dpp v5, v3 quad_perm:[2,3,0,1] row_mask:0xf bank_mask:0xf
	v_mov_b32_dpp v43, v1 quad_perm:[2,3,0,1] row_mask:0xf bank_mask:0xf
	s_delay_alu instid0(VALU_DEP_2) | instskip(NEXT) | instid1(VALU_DEP_2)
	v_cmp_eq_f32_e32 vcc_lo, v3, v5
	v_cmp_lt_i32_e64 s0, v43, v1
	v_cmp_lt_f32_e64 s1, v3, v5
	s_delay_alu instid0(VALU_DEP_2)
	s_and_b32 s0, vcc_lo, s0
	s_delay_alu instid0(VALU_DEP_1) | instid1(SALU_CYCLE_1)
	s_or_b32 vcc_lo, s1, s0
	v_cndmask_b32_e32 v3, v3, v5, vcc_lo
	v_cndmask_b32_e32 v5, v1, v43, vcc_lo
	s_delay_alu instid0(VALU_DEP_2) | instskip(NEXT) | instid1(VALU_DEP_2)
	v_mov_b32_dpp v1, v3 row_half_mirror row_mask:0xf bank_mask:0xf
	v_mov_b32_dpp v43, v5 row_half_mirror row_mask:0xf bank_mask:0xf
	s_delay_alu instid0(VALU_DEP_2) | instskip(NEXT) | instid1(VALU_DEP_2)
	v_cmp_eq_f32_e32 vcc_lo, v3, v1
	v_cmp_lt_i32_e64 s0, v43, v5
	v_cmp_lt_f32_e64 s1, v3, v1
	s_delay_alu instid0(VALU_DEP_2)
	s_and_b32 s0, vcc_lo, s0
	s_delay_alu instid0(VALU_DEP_1) | instid1(SALU_CYCLE_1)
	s_or_b32 vcc_lo, s1, s0
	v_cndmask_b32_e32 v1, v3, v1, vcc_lo
	v_cndmask_b32_e32 v5, v5, v43, vcc_lo
	s_delay_alu instid0(VALU_DEP_2) | instskip(NEXT) | instid1(VALU_DEP_2)
	v_mov_b32_dpp v3, v1 row_mirror row_mask:0xf bank_mask:0xf
	v_mov_b32_dpp v43, v5 row_mirror row_mask:0xf bank_mask:0xf
	s_delay_alu instid0(VALU_DEP_2) | instskip(NEXT) | instid1(VALU_DEP_2)
	v_cmp_eq_f32_e32 vcc_lo, v1, v3
	v_cmp_lt_i32_e64 s0, v43, v5
	v_cmp_lt_f32_e64 s1, v1, v3
	s_delay_alu instid0(VALU_DEP_2)
	s_and_b32 s0, vcc_lo, s0
	s_delay_alu instid0(VALU_DEP_1) | instid1(SALU_CYCLE_1)
	s_or_b32 vcc_lo, s1, s0
	v_cndmask_b32_e32 v43, v5, v43, vcc_lo
	s_and_saveexec_b32 s1, s2
	s_cbranch_execz .LBB291_16
; %bb.15:                               ;   in Loop: Header=BB291_14 Depth=1
	v_cndmask_b32_e32 v1, v1, v3, vcc_lo
	s_delay_alu instid0(VALU_DEP_2) | instskip(SKIP_3) | instid1(VALU_DEP_3)
	v_cmp_le_i32_e32 vcc_lo, s9, v43
	v_cmp_gt_i32_e64 s0, s10, v43
	v_subrev_nc_u32_e32 v51, s9, v43
	v_ashrrev_i32_e32 v5, 31, v4
	s_and_b32 s0, vcc_lo, s0
	s_delay_alu instid0(SALU_CYCLE_1) | instskip(SKIP_1) | instid1(VALU_DEP_1)
	s_and_b32 vcc_lo, s17, s0
	v_sub_f32_e32 v50, v1, v13
	v_mul_f32_e32 v1, 0x3fb8aa3b, v50
	s_delay_alu instid0(VALU_DEP_1) | instskip(SKIP_1) | instid1(VALU_DEP_2)
	v_fma_f32 v3, 0x3fb8aa3b, v50, -v1
	v_rndne_f32_e32 v44, v1
	v_fmac_f32_e32 v3, 0x32a5705f, v50
	s_delay_alu instid0(VALU_DEP_2) | instskip(SKIP_2) | instid1(VALU_DEP_3)
	v_sub_f32_e32 v1, v1, v44
	v_cvt_i32_f32_e32 v49, v44
	v_lshlrev_b64 v[44:45], 2, v[4:5]
	v_add_f32_e32 v1, v1, v3
	v_ashrrev_i32_e32 v3, 31, v2
	s_delay_alu instid0(VALU_DEP_2) | instskip(SKIP_1) | instid1(VALU_DEP_2)
	v_exp_f32_e32 v48, v1
	v_ashrrev_i32_e32 v1, 31, v0
	v_lshlrev_b64 v[46:47], 2, v[2:3]
	s_waitcnt_depctr 0xfff
	v_ldexp_f32 v3, v48, v49
	v_lshlrev_b64 v[48:49], 2, v[0:1]
	v_cndmask_b32_e32 v1, 0x100, v51, vcc_lo
	v_cmp_ngt_f32_e32 vcc_lo, 0xc2ce8ed0, v50
	s_delay_alu instid0(VALU_DEP_4) | instskip(SKIP_3) | instid1(VALU_DEP_4)
	v_cndmask_b32_e32 v3, 0, v3, vcc_lo
	v_add_co_u32 v44, vcc_lo, s12, v44
	v_add_co_ci_u32_e32 v45, vcc_lo, s13, v45, vcc_lo
	v_cmp_nlt_f32_e32 vcc_lo, 0x42b17218, v50
	v_cndmask_b32_e32 v3, 0x7f800000, v3, vcc_lo
	s_waitcnt lgkmcnt(0)
	v_add_co_u32 v46, vcc_lo, s4, v46
	v_add_co_ci_u32_e32 v47, vcc_lo, s5, v47, vcc_lo
	v_add_co_u32 v48, vcc_lo, s6, v48
	v_add_f32_e32 v11, v11, v3
	v_add_co_ci_u32_e32 v49, vcc_lo, s7, v49, vcc_lo
	global_store_b32 v[44:45], v3, off
	global_store_b32 v[46:47], v1, off
	;; [unrolled: 1-line block ×3, first 2 shown]
.LBB291_16:                             ;   in Loop: Header=BB291_14 Depth=1
	s_or_b32 exec_lo, exec_lo, s1
	s_delay_alu instid0(VALU_DEP_1) | instskip(SKIP_1) | instid1(VALU_DEP_1)
	v_ashrrev_i32_e32 v3, 31, v43
	s_mov_b32 s0, exec_lo
	v_lshrrev_b32_e32 v1, 28, v3
	s_delay_alu instid0(VALU_DEP_1) | instskip(NEXT) | instid1(VALU_DEP_1)
	v_add_nc_u32_e32 v1, v43, v1
	v_ashrrev_i32_e32 v1, 4, v1
	s_delay_alu instid0(VALU_DEP_1) | instskip(NEXT) | instid1(VALU_DEP_1)
	v_lshrrev_b32_e32 v5, 28, v1
	v_add_nc_u32_e32 v5, v1, v5
	s_delay_alu instid0(VALU_DEP_1) | instskip(NEXT) | instid1(VALU_DEP_1)
	v_and_b32_e32 v5, -16, v5
	v_sub_nc_u32_e32 v5, v1, v5
	s_delay_alu instid0(VALU_DEP_1)
	v_cmpx_eq_u32_e64 v21, v5
	s_cbranch_execz .LBB291_13
; %bb.17:                               ;   in Loop: Header=BB291_14 Depth=1
	v_lshrrev_b32_e32 v3, 24, v3
	v_lshlrev_b32_e32 v1, 4, v1
	s_delay_alu instid0(VALU_DEP_2) | instskip(NEXT) | instid1(VALU_DEP_2)
	v_add_nc_u32_e32 v3, v43, v3
	v_sub_nc_u32_e32 v1, v43, v1
	s_delay_alu instid0(VALU_DEP_2) | instskip(NEXT) | instid1(VALU_DEP_1)
	v_ashrrev_i32_e32 v3, 8, v3
	v_lshl_add_u32 v1, v3, 4, v1
	s_delay_alu instid0(VALU_DEP_1)
	v_cmp_ne_u32_e32 vcc_lo, 15, v1
	v_cndmask_b32_e32 v7, 0xff800000, v7, vcc_lo
	v_cmp_ne_u32_e32 vcc_lo, 14, v1
	v_cndmask_b32_e32 v8, 0xff800000, v8, vcc_lo
	;; [unrolled: 2-line block ×16, first 2 shown]
	s_branch .LBB291_13
.LBB291_18:
	s_delay_alu instid0(VALU_DEP_1)
	v_sub_f32_e32 v3, v27, v13
	v_sub_f32_e32 v0, v25, v13
	v_sub_f32_e32 v18, v18, v13
	v_sub_f32_e32 v14, v14, v13
	v_sub_f32_e32 v15, v15, v13
	v_mul_f32_e32 v25, 0x3fb8aa3b, v3
	v_dual_sub_f32 v1, v23, v13 :: v_dual_mul_f32 v2, 0x3fb8aa3b, v0
	v_cmp_ngt_f32_e32 vcc_lo, 0xc2ce8ed0, v0
	v_sub_f32_e32 v8, v8, v13
	v_sub_f32_e32 v7, v7, v13
	;; [unrolled: 1-line block ×3, first 2 shown]
	v_fma_f32 v21, 0x3fb8aa3b, v0, -v2
	v_rndne_f32_e32 v22, v2
	v_sub_f32_e32 v6, v24, v13
	s_delay_alu instid0(VALU_DEP_3) | instskip(NEXT) | instid1(VALU_DEP_3)
	v_dual_sub_f32 v20, v20, v13 :: v_dual_fmac_f32 v21, 0x32a5705f, v0
	v_sub_f32_e32 v2, v2, v22
	s_delay_alu instid0(VALU_DEP_3) | instskip(SKIP_1) | instid1(VALU_DEP_3)
	v_dual_mul_f32 v4, 0x3fb8aa3b, v1 :: v_dual_mul_f32 v27, 0x3fb8aa3b, v6
	v_cvt_i32_f32_e32 v22, v22
	v_add_f32_e32 v2, v2, v21
	v_fma_f32 v21, 0x3fb8aa3b, v3, -v25
	s_delay_alu instid0(VALU_DEP_4) | instskip(SKIP_2) | instid1(VALU_DEP_4)
	v_fma_f32 v23, 0x3fb8aa3b, v1, -v4
	v_rndne_f32_e32 v24, v4
	v_sub_f32_e32 v5, v26, v13
	v_fmac_f32_e32 v21, 0x32a5705f, v3
	v_exp_f32_e32 v2, v2
	s_delay_alu instid0(VALU_DEP_3) | instskip(SKIP_3) | instid1(VALU_DEP_1)
	v_sub_f32_e32 v4, v4, v24
	v_cvt_i32_f32_e32 v24, v24
	s_waitcnt_depctr 0xfff
	v_ldexp_f32 v2, v2, v22
	v_dual_fmac_f32 v23, 0x32a5705f, v1 :: v_dual_cndmask_b32 v2, 0, v2
	s_delay_alu instid0(VALU_DEP_1) | instskip(SKIP_3) | instid1(VALU_DEP_3)
	v_add_f32_e32 v4, v4, v23
	v_rndne_f32_e32 v23, v25
	v_mul_f32_e32 v26, 0x3fb8aa3b, v5
	v_cmp_ngt_f32_e32 vcc_lo, 0xc2ce8ed0, v1
	v_sub_f32_e32 v25, v25, v23
	s_delay_alu instid0(VALU_DEP_3) | instskip(SKIP_2) | instid1(VALU_DEP_4)
	v_fma_f32 v28, 0x3fb8aa3b, v5, -v26
	v_rndne_f32_e32 v29, v26
	v_cvt_i32_f32_e32 v23, v23
	v_add_f32_e32 v21, v25, v21
	v_exp_f32_e32 v4, v4
	s_delay_alu instid0(VALU_DEP_1) | instskip(SKIP_2) | instid1(VALU_DEP_1)
	v_exp_f32_e32 v21, v21
	s_waitcnt_depctr 0xfff
	v_ldexp_f32 v4, v4, v24
	v_cndmask_b32_e32 v4, 0, v4, vcc_lo
	v_cmp_nlt_f32_e32 vcc_lo, 0x42b17218, v0
	v_cndmask_b32_e32 v0, 0x7f800000, v2, vcc_lo
	v_cmp_nlt_f32_e32 vcc_lo, 0x42b17218, v1
	v_sub_f32_e32 v22, v26, v29
	v_fma_f32 v2, 0x3fb8aa3b, v6, -v27
	v_cndmask_b32_e32 v1, 0x7f800000, v4, vcc_lo
	v_ldexp_f32 v4, v21, v23
	v_cmp_ngt_f32_e32 vcc_lo, 0xc2ce8ed0, v3
	v_fmac_f32_e32 v28, 0x32a5705f, v5
	v_rndne_f32_e32 v21, v27
	s_delay_alu instid0(VALU_DEP_4) | instskip(SKIP_1) | instid1(VALU_DEP_4)
	v_dual_add_f32 v0, v0, v1 :: v_dual_cndmask_b32 v1, 0, v4
	v_cmp_nlt_f32_e32 vcc_lo, 0x42b17218, v3
	v_add_f32_e32 v22, v22, v28
	v_cvt_i32_f32_e32 v4, v29
	v_sub_f32_e32 v23, v27, v21
	v_cndmask_b32_e32 v1, 0x7f800000, v1, vcc_lo
	s_delay_alu instid0(VALU_DEP_4) | instskip(SKIP_1) | instid1(VALU_DEP_2)
	v_exp_f32_e32 v22, v22
	v_cmp_ngt_f32_e32 vcc_lo, 0xc2ce8ed0, v5
	v_add_f32_e32 v0, v0, v1
	s_waitcnt_depctr 0xfff
	v_ldexp_f32 v3, v22, v4
	s_delay_alu instid0(VALU_DEP_1) | instskip(SKIP_3) | instid1(VALU_DEP_4)
	v_cndmask_b32_e32 v1, 0, v3, vcc_lo
	v_cmp_nlt_f32_e32 vcc_lo, 0x42b17218, v5
	v_cvt_i32_f32_e32 v5, v21
	v_dual_mul_f32 v21, 0x3fb8aa3b, v19 :: v_dual_mul_f32 v4, 0x3fb8aa3b, v20
	v_cndmask_b32_e32 v1, 0x7f800000, v1, vcc_lo
	v_cmp_ngt_f32_e32 vcc_lo, 0xc2ce8ed0, v6
	s_delay_alu instid0(VALU_DEP_3) | instskip(SKIP_1) | instid1(VALU_DEP_2)
	v_fma_f32 v3, 0x3fb8aa3b, v20, -v4
	v_fmac_f32_e32 v2, 0x32a5705f, v6
	v_dual_add_f32 v0, v0, v1 :: v_dual_fmac_f32 v3, 0x32a5705f, v20
	s_delay_alu instid0(VALU_DEP_2) | instskip(NEXT) | instid1(VALU_DEP_1)
	v_add_f32_e32 v2, v23, v2
	v_exp_f32_e32 v2, v2
	s_waitcnt_depctr 0xfff
	v_ldexp_f32 v1, v2, v5
	s_delay_alu instid0(VALU_DEP_1) | instskip(SKIP_2) | instid1(VALU_DEP_2)
	v_cndmask_b32_e32 v1, 0, v1, vcc_lo
	v_rndne_f32_e32 v22, v4
	v_cmp_nlt_f32_e32 vcc_lo, 0x42b17218, v6
	v_dual_sub_f32 v4, v4, v22 :: v_dual_cndmask_b32 v1, 0x7f800000, v1
	v_cvt_i32_f32_e32 v6, v22
	v_cmp_ngt_f32_e32 vcc_lo, 0xc2ce8ed0, v20
	s_delay_alu instid0(VALU_DEP_3) | instskip(SKIP_2) | instid1(VALU_DEP_2)
	v_add_f32_e32 v2, v4, v3
	v_fma_f32 v3, 0x3fb8aa3b, v19, -v21
	v_rndne_f32_e32 v4, v21
	v_fmac_f32_e32 v3, 0x32a5705f, v19
	s_delay_alu instid0(VALU_DEP_2) | instskip(SKIP_1) | instid1(VALU_DEP_2)
	v_sub_f32_e32 v5, v21, v4
	v_cvt_i32_f32_e32 v4, v4
	v_add_f32_e32 v3, v5, v3
	v_mul_f32_e32 v5, 0x3fb8aa3b, v18
	v_exp_f32_e32 v2, v2
	v_add_f32_e32 v0, v0, v1
	s_waitcnt_depctr 0xfff
	v_ldexp_f32 v1, v2, v6
	v_exp_f32_e32 v2, v3
	v_fma_f32 v3, 0x3fb8aa3b, v18, -v5
	v_rndne_f32_e32 v6, v5
	s_delay_alu instid0(VALU_DEP_2)
	v_fmac_f32_e32 v3, 0x32a5705f, v18
	s_waitcnt_depctr 0xfff
	v_ldexp_f32 v2, v2, v4
	v_sub_f32_e32 v4, v17, v13
	v_cndmask_b32_e32 v1, 0, v1, vcc_lo
	v_cmp_nlt_f32_e32 vcc_lo, 0x42b17218, v20
	v_mul_f32_e32 v20, 0x3fb8aa3b, v14
	s_delay_alu instid0(VALU_DEP_3) | instskip(SKIP_3) | instid1(VALU_DEP_4)
	v_cndmask_b32_e32 v1, 0x7f800000, v1, vcc_lo
	v_cmp_ngt_f32_e32 vcc_lo, 0xc2ce8ed0, v19
	v_sub_f32_e32 v5, v5, v6
	v_cvt_i32_f32_e32 v6, v6
	v_dual_add_f32 v0, v0, v1 :: v_dual_cndmask_b32 v1, 0, v2
	v_cmp_nlt_f32_e32 vcc_lo, 0x42b17218, v19
	s_delay_alu instid0(VALU_DEP_2) | instskip(SKIP_3) | instid1(VALU_DEP_4)
	v_cndmask_b32_e32 v1, 0x7f800000, v1, vcc_lo
	v_add_f32_e32 v3, v5, v3
	v_sub_f32_e32 v5, v16, v13
	v_cmp_ngt_f32_e32 vcc_lo, 0xc2ce8ed0, v18
	v_add_f32_e32 v0, v0, v1
	s_delay_alu instid0(VALU_DEP_4) | instskip(NEXT) | instid1(VALU_DEP_3)
	v_exp_f32_e32 v2, v3
	v_mul_f32_e32 v19, 0x3fb8aa3b, v5
	s_waitcnt_depctr 0xfff
	v_ldexp_f32 v1, v2, v6
	v_rndne_f32_e32 v6, v19
	v_mul_f32_e32 v3, 0x3fb8aa3b, v4
	s_delay_alu instid0(VALU_DEP_3) | instskip(SKIP_1) | instid1(VALU_DEP_3)
	v_cndmask_b32_e32 v1, 0, v1, vcc_lo
	v_cmp_nlt_f32_e32 vcc_lo, 0x42b17218, v18
	v_fma_f32 v16, 0x3fb8aa3b, v4, -v3
	v_rndne_f32_e32 v17, v3
	s_delay_alu instid0(VALU_DEP_4) | instskip(NEXT) | instid1(VALU_DEP_3)
	v_cndmask_b32_e32 v1, 0x7f800000, v1, vcc_lo
	v_fmac_f32_e32 v16, 0x32a5705f, v4
	s_delay_alu instid0(VALU_DEP_3) | instskip(SKIP_4) | instid1(VALU_DEP_4)
	v_sub_f32_e32 v2, v3, v17
	v_fma_f32 v3, 0x3fb8aa3b, v5, -v19
	v_cvt_i32_f32_e32 v17, v17
	v_add_f32_e32 v0, v0, v1
	v_cmp_ngt_f32_e32 vcc_lo, 0xc2ce8ed0, v4
	v_dual_add_f32 v2, v2, v16 :: v_dual_fmac_f32 v3, 0x32a5705f, v5
	v_dual_sub_f32 v16, v19, v6 :: v_dual_mul_f32 v19, 0x3fb8aa3b, v15
	s_delay_alu instid0(VALU_DEP_2) | instskip(NEXT) | instid1(VALU_DEP_1)
	v_exp_f32_e32 v2, v2
	v_add_f32_e32 v3, v16, v3
	s_delay_alu instid0(VALU_DEP_2) | instskip(SKIP_1) | instid1(VALU_DEP_3)
	v_fma_f32 v16, 0x3fb8aa3b, v15, -v19
	v_rndne_f32_e32 v18, v19
	v_exp_f32_e32 v3, v3
	s_delay_alu instid0(VALU_DEP_1) | instskip(SKIP_4) | instid1(VALU_DEP_3)
	v_dual_fmac_f32 v16, 0x32a5705f, v15 :: v_dual_sub_f32 v19, v19, v18
	s_waitcnt_depctr 0xfff
	v_ldexp_f32 v1, v2, v17
	v_cvt_i32_f32_e32 v2, v6
	v_rndne_f32_e32 v17, v20
	v_dual_add_f32 v6, v19, v16 :: v_dual_cndmask_b32 v1, 0, v1
	v_cmp_nlt_f32_e32 vcc_lo, 0x42b17218, v4
	s_delay_alu instid0(VALU_DEP_4) | instskip(SKIP_1) | instid1(VALU_DEP_4)
	v_ldexp_f32 v2, v3, v2
	v_fma_f32 v16, 0x3fb8aa3b, v14, -v20
	v_exp_f32_e32 v3, v6
	v_cvt_i32_f32_e32 v4, v18
	v_cndmask_b32_e32 v1, 0x7f800000, v1, vcc_lo
	v_cmp_ngt_f32_e32 vcc_lo, 0xc2ce8ed0, v5
	v_fmac_f32_e32 v16, 0x32a5705f, v14
	s_delay_alu instid0(VALU_DEP_3) | instskip(SKIP_2) | instid1(TRANS32_DEP_1)
	v_add_f32_e32 v0, v0, v1
	v_cndmask_b32_e32 v2, 0, v2, vcc_lo
	v_cmp_nlt_f32_e32 vcc_lo, 0x42b17218, v5
	v_ldexp_f32 v1, v3, v4
	v_sub_f32_e32 v4, v12, v13
	v_mul_f32_e32 v12, 0x3fb8aa3b, v8
	v_cndmask_b32_e32 v2, 0x7f800000, v2, vcc_lo
	v_cmp_ngt_f32_e32 vcc_lo, 0xc2ce8ed0, v15
	s_delay_alu instid0(VALU_DEP_2) | instskip(SKIP_4) | instid1(VALU_DEP_4)
	v_dual_mul_f32 v5, 0x3fb8aa3b, v4 :: v_dual_add_f32 v0, v0, v2
	v_cndmask_b32_e32 v1, 0, v1, vcc_lo
	v_cmp_nlt_f32_e32 vcc_lo, 0x42b17218, v15
	v_cvt_i32_f32_e32 v2, v17
	v_mul_f32_e32 v15, 0x3fb8aa3b, v7
	v_cndmask_b32_e32 v1, 0x7f800000, v1, vcc_lo
	v_cmp_ngt_f32_e32 vcc_lo, 0xc2ce8ed0, v14
	s_delay_alu instid0(VALU_DEP_2) | instskip(SKIP_1) | instid1(VALU_DEP_1)
	v_add_f32_e32 v0, v0, v1
	v_fma_f32 v1, 0x3fb8aa3b, v4, -v5
	v_dual_sub_f32 v6, v20, v17 :: v_dual_fmac_f32 v1, 0x32a5705f, v4
	s_delay_alu instid0(VALU_DEP_1) | instskip(SKIP_1) | instid1(VALU_DEP_2)
	v_add_f32_e32 v6, v6, v16
	v_rndne_f32_e32 v16, v15
	v_exp_f32_e32 v3, v6
	v_sub_f32_e32 v6, v9, v13
	v_fma_f32 v13, 0x3fb8aa3b, v8, -v12
	s_delay_alu instid0(VALU_DEP_1) | instskip(NEXT) | instid1(VALU_DEP_3)
	v_fmac_f32_e32 v13, 0x32a5705f, v8
	v_mul_f32_e32 v9, 0x3fb8aa3b, v6
	s_waitcnt_depctr 0xfff
	v_ldexp_f32 v2, v3, v2
	v_rndne_f32_e32 v3, v5
	s_delay_alu instid0(VALU_DEP_2) | instskip(SKIP_1) | instid1(VALU_DEP_3)
	v_cndmask_b32_e32 v2, 0, v2, vcc_lo
	v_cmp_nlt_f32_e32 vcc_lo, 0x42b17218, v14
	v_sub_f32_e32 v5, v5, v3
	v_cvt_i32_f32_e32 v3, v3
	v_rndne_f32_e32 v14, v12
	s_delay_alu instid0(VALU_DEP_3) | instskip(SKIP_2) | instid1(VALU_DEP_3)
	v_dual_cndmask_b32 v2, 0x7f800000, v2 :: v_dual_add_f32 v1, v5, v1
	v_rndne_f32_e32 v5, v9
	v_cmp_ngt_f32_e32 vcc_lo, 0xc2ce8ed0, v4
	v_add_f32_e32 v0, v0, v2
	v_fma_f32 v2, 0x3fb8aa3b, v6, -v9
	v_exp_f32_e32 v1, v1
	s_delay_alu instid0(VALU_DEP_1) | instskip(SKIP_1) | instid1(VALU_DEP_2)
	v_dual_fmac_f32 v2, 0x32a5705f, v6 :: v_dual_sub_f32 v9, v9, v5
	v_cvt_i32_f32_e32 v5, v5
	v_add_f32_e32 v2, v9, v2
	s_waitcnt_depctr 0xfff
	v_ldexp_f32 v1, v1, v3
	v_sub_f32_e32 v9, v12, v14
	v_fma_f32 v12, 0x3fb8aa3b, v7, -v15
	v_exp_f32_e32 v2, v2
	s_delay_alu instid0(VALU_DEP_3) | instskip(SKIP_1) | instid1(VALU_DEP_3)
	v_cndmask_b32_e32 v1, 0, v1, vcc_lo
	v_cmp_nlt_f32_e32 vcc_lo, 0x42b17218, v4
	v_fmac_f32_e32 v12, 0x32a5705f, v7
	v_cvt_i32_f32_e32 v4, v14
	s_delay_alu instid0(VALU_DEP_4) | instskip(SKIP_1) | instid1(TRANS32_DEP_1)
	v_cndmask_b32_e32 v1, 0x7f800000, v1, vcc_lo
	v_cmp_ngt_f32_e32 vcc_lo, 0xc2ce8ed0, v6
	v_ldexp_f32 v2, v2, v5
	v_add_f32_e32 v3, v9, v13
	s_delay_alu instid0(VALU_DEP_4) | instskip(NEXT) | instid1(VALU_DEP_3)
	v_dual_sub_f32 v9, v15, v16 :: v_dual_add_f32 v0, v0, v1
	v_cndmask_b32_e32 v2, 0, v2, vcc_lo
	s_delay_alu instid0(VALU_DEP_3) | instskip(NEXT) | instid1(VALU_DEP_2)
	v_exp_f32_e32 v3, v3
	v_add_f32_e32 v9, v9, v12
	v_cmp_nlt_f32_e32 vcc_lo, 0x42b17218, v6
	s_delay_alu instid0(VALU_DEP_2)
	v_exp_f32_e32 v5, v9
	v_cndmask_b32_e32 v2, 0x7f800000, v2, vcc_lo
	v_cmp_ngt_f32_e32 vcc_lo, 0xc2ce8ed0, v8
	s_waitcnt_depctr 0xfff
	v_ldexp_f32 v1, v3, v4
	v_cvt_i32_f32_e32 v3, v16
	s_delay_alu instid0(VALU_DEP_2) | instskip(SKIP_1) | instid1(VALU_DEP_3)
	v_dual_add_f32 v0, v0, v2 :: v_dual_cndmask_b32 v1, 0, v1
	v_cmp_nlt_f32_e32 vcc_lo, 0x42b17218, v8
	v_ldexp_f32 v3, v5, v3
	s_delay_alu instid0(VALU_DEP_3) | instskip(SKIP_1) | instid1(VALU_DEP_3)
	v_cndmask_b32_e32 v1, 0x7f800000, v1, vcc_lo
	v_cmp_ngt_f32_e32 vcc_lo, 0xc2ce8ed0, v7
	v_cndmask_b32_e32 v2, 0, v3, vcc_lo
	v_cmp_nlt_f32_e32 vcc_lo, 0x42b17218, v7
	s_delay_alu instid0(VALU_DEP_2) | instskip(NEXT) | instid1(VALU_DEP_1)
	v_dual_add_f32 v0, v0, v1 :: v_dual_cndmask_b32 v1, 0x7f800000, v2
	v_add_f32_e32 v0, v0, v1
	s_delay_alu instid0(VALU_DEP_1) | instskip(NEXT) | instid1(VALU_DEP_1)
	v_mov_b32_dpp v1, v0 quad_perm:[1,0,3,2] row_mask:0xf bank_mask:0xf
	v_add_f32_e32 v0, v0, v1
	s_delay_alu instid0(VALU_DEP_1) | instskip(NEXT) | instid1(VALU_DEP_1)
	v_mov_b32_dpp v1, v0 quad_perm:[2,3,0,1] row_mask:0xf bank_mask:0xf
	v_add_f32_e32 v0, v0, v1
	s_delay_alu instid0(VALU_DEP_1) | instskip(NEXT) | instid1(VALU_DEP_1)
	v_mov_b32_dpp v1, v0 row_half_mirror row_mask:0xf bank_mask:0xf
	v_add_f32_e32 v0, v0, v1
	s_delay_alu instid0(VALU_DEP_1)
	v_mov_b32_dpp v1, v0 row_mirror row_mask:0xf bank_mask:0xf
	s_and_b32 exec_lo, exec_lo, s2
	s_cbranch_execz .LBB291_23
; %bb.19:
	s_delay_alu instid0(VALU_DEP_1) | instskip(NEXT) | instid1(VALU_DEP_1)
	v_add_f32_e32 v0, v0, v1
	v_add_f32_e32 v0, v11, v0
	s_delay_alu instid0(VALU_DEP_1)
	v_cmp_neq_f32_e32 vcc_lo, 0, v0
	s_and_b32 exec_lo, exec_lo, vcc_lo
	s_cbranch_execz .LBB291_23
; %bb.20:
	s_and_not1_b32 vcc_lo, exec_lo, s15
	s_cbranch_vccnz .LBB291_23
; %bb.21:
	v_div_scale_f32 v2, null, v0, v0, 1.0
	v_div_scale_f32 v4, vcc_lo, 1.0, v0, 1.0
	s_delay_alu instid0(VALU_DEP_2) | instskip(SKIP_2) | instid1(VALU_DEP_1)
	v_rcp_f32_e32 v3, v2
	s_waitcnt_depctr 0xfff
	v_fma_f32 v1, -v2, v3, 1.0
	v_fmac_f32_e32 v3, v1, v3
	v_mul_lo_u32 v1, v10, s11
	s_delay_alu instid0(VALU_DEP_2) | instskip(NEXT) | instid1(VALU_DEP_1)
	v_mul_f32_e32 v5, v4, v3
	v_fma_f32 v6, -v2, v5, v4
	s_delay_alu instid0(VALU_DEP_1) | instskip(NEXT) | instid1(VALU_DEP_1)
	v_fmac_f32_e32 v5, v6, v3
	v_fma_f32 v4, -v2, v5, v4
	v_ashrrev_i32_e32 v2, 31, v1
	s_delay_alu instid0(VALU_DEP_2) | instskip(NEXT) | instid1(VALU_DEP_2)
	v_div_fmas_f32 v5, v4, v3, v5
	v_lshlrev_b64 v[3:4], 2, v[1:2]
	s_delay_alu instid0(VALU_DEP_2) | instskip(NEXT) | instid1(VALU_DEP_2)
	v_div_fixup_f32 v2, v5, v0, 1.0
	v_add_co_u32 v0, vcc_lo, s12, v3
	s_delay_alu instid0(VALU_DEP_3)
	v_add_co_ci_u32_e32 v1, vcc_lo, s13, v4, vcc_lo
.LBB291_22:                             ; =>This Inner Loop Header: Depth=1
	global_load_b32 v3, v[0:1], off
	s_add_i32 s8, s8, -1
	s_delay_alu instid0(SALU_CYCLE_1)
	s_cmp_lg_u32 s8, 0
	s_waitcnt vmcnt(0)
	v_mul_f32_e32 v3, v2, v3
	global_store_b32 v[0:1], v3, off
	v_add_co_u32 v0, vcc_lo, v0, 4
	v_add_co_ci_u32_e32 v1, vcc_lo, 0, v1, vcc_lo
	s_cbranch_scc1 .LBB291_22
.LBB291_23:
	s_nop 0
	s_sendmsg sendmsg(MSG_DEALLOC_VGPRS)
	s_endpgm
	.section	.rodata,"a",@progbits
	.p2align	6, 0x0
	.amdhsa_kernel _ZN4vllm3moe17topkGatingSoftmaxItLi16ELi256ELi8ELi32ELb0ELi1ELNS0_23SharedExpertScoringFuncE1EEEvPKT_PKbPfiPiS9_iiiiii
		.amdhsa_group_segment_fixed_size 0
		.amdhsa_private_segment_fixed_size 0
		.amdhsa_kernarg_size 72
		.amdhsa_user_sgpr_count 15
		.amdhsa_user_sgpr_dispatch_ptr 0
		.amdhsa_user_sgpr_queue_ptr 0
		.amdhsa_user_sgpr_kernarg_segment_ptr 1
		.amdhsa_user_sgpr_dispatch_id 0
		.amdhsa_user_sgpr_private_segment_size 0
		.amdhsa_wavefront_size32 1
		.amdhsa_uses_dynamic_stack 0
		.amdhsa_enable_private_segment 0
		.amdhsa_system_sgpr_workgroup_id_x 1
		.amdhsa_system_sgpr_workgroup_id_y 0
		.amdhsa_system_sgpr_workgroup_id_z 0
		.amdhsa_system_sgpr_workgroup_info 0
		.amdhsa_system_vgpr_workitem_id 1
		.amdhsa_next_free_vgpr 53
		.amdhsa_next_free_sgpr 19
		.amdhsa_reserve_vcc 1
		.amdhsa_float_round_mode_32 0
		.amdhsa_float_round_mode_16_64 0
		.amdhsa_float_denorm_mode_32 3
		.amdhsa_float_denorm_mode_16_64 3
		.amdhsa_dx10_clamp 1
		.amdhsa_ieee_mode 1
		.amdhsa_fp16_overflow 0
		.amdhsa_workgroup_processor_mode 1
		.amdhsa_memory_ordered 1
		.amdhsa_forward_progress 0
		.amdhsa_shared_vgpr_count 0
		.amdhsa_exception_fp_ieee_invalid_op 0
		.amdhsa_exception_fp_denorm_src 0
		.amdhsa_exception_fp_ieee_div_zero 0
		.amdhsa_exception_fp_ieee_overflow 0
		.amdhsa_exception_fp_ieee_underflow 0
		.amdhsa_exception_fp_ieee_inexact 0
		.amdhsa_exception_int_div_zero 0
	.end_amdhsa_kernel
	.section	.text._ZN4vllm3moe17topkGatingSoftmaxItLi16ELi256ELi8ELi32ELb0ELi1ELNS0_23SharedExpertScoringFuncE1EEEvPKT_PKbPfiPiS9_iiiiii,"axG",@progbits,_ZN4vllm3moe17topkGatingSoftmaxItLi16ELi256ELi8ELi32ELb0ELi1ELNS0_23SharedExpertScoringFuncE1EEEvPKT_PKbPfiPiS9_iiiiii,comdat
.Lfunc_end291:
	.size	_ZN4vllm3moe17topkGatingSoftmaxItLi16ELi256ELi8ELi32ELb0ELi1ELNS0_23SharedExpertScoringFuncE1EEEvPKT_PKbPfiPiS9_iiiiii, .Lfunc_end291-_ZN4vllm3moe17topkGatingSoftmaxItLi16ELi256ELi8ELi32ELb0ELi1ELNS0_23SharedExpertScoringFuncE1EEEvPKT_PKbPfiPiS9_iiiiii
                                        ; -- End function
	.section	.AMDGPU.csdata,"",@progbits
; Kernel info:
; codeLenInByte = 5064
; NumSgprs: 21
; NumVgprs: 53
; ScratchSize: 0
; MemoryBound: 0
; FloatMode: 240
; IeeeMode: 1
; LDSByteSize: 0 bytes/workgroup (compile time only)
; SGPRBlocks: 2
; VGPRBlocks: 6
; NumSGPRsForWavesPerEU: 21
; NumVGPRsForWavesPerEU: 53
; Occupancy: 16
; WaveLimiterHint : 0
; COMPUTE_PGM_RSRC2:SCRATCH_EN: 0
; COMPUTE_PGM_RSRC2:USER_SGPR: 15
; COMPUTE_PGM_RSRC2:TRAP_HANDLER: 0
; COMPUTE_PGM_RSRC2:TGID_X_EN: 1
; COMPUTE_PGM_RSRC2:TGID_Y_EN: 0
; COMPUTE_PGM_RSRC2:TGID_Z_EN: 0
; COMPUTE_PGM_RSRC2:TIDIG_COMP_CNT: 1
	.section	.text._ZN4vllm3moe17topkGatingSoftmaxItLi16ELi256ELi8ELi32ELb1ELi2ELNS0_23SharedExpertScoringFuncE1EEEvPKT_PKbPfiPiS9_iiiiii,"axG",@progbits,_ZN4vllm3moe17topkGatingSoftmaxItLi16ELi256ELi8ELi32ELb1ELi2ELNS0_23SharedExpertScoringFuncE1EEEvPKT_PKbPfiPiS9_iiiiii,comdat
	.protected	_ZN4vllm3moe17topkGatingSoftmaxItLi16ELi256ELi8ELi32ELb1ELi2ELNS0_23SharedExpertScoringFuncE1EEEvPKT_PKbPfiPiS9_iiiiii ; -- Begin function _ZN4vllm3moe17topkGatingSoftmaxItLi16ELi256ELi8ELi32ELb1ELi2ELNS0_23SharedExpertScoringFuncE1EEEvPKT_PKbPfiPiS9_iiiiii
	.globl	_ZN4vllm3moe17topkGatingSoftmaxItLi16ELi256ELi8ELi32ELb1ELi2ELNS0_23SharedExpertScoringFuncE1EEEvPKT_PKbPfiPiS9_iiiiii
	.p2align	8
	.type	_ZN4vllm3moe17topkGatingSoftmaxItLi16ELi256ELi8ELi32ELb1ELi2ELNS0_23SharedExpertScoringFuncE1EEEvPKT_PKbPfiPiS9_iiiiii,@function
_ZN4vllm3moe17topkGatingSoftmaxItLi16ELi256ELi8ELi32ELb1ELi2ELNS0_23SharedExpertScoringFuncE1EEEvPKT_PKbPfiPiS9_iiiiii: ; @_ZN4vllm3moe17topkGatingSoftmaxItLi16ELi256ELi8ELi32ELb1ELi2ELNS0_23SharedExpertScoringFuncE1EEEvPKT_PKbPfiPiS9_iiiiii
; %bb.0:
	s_load_b32 s16, s[0:1], 0x18
	v_bfe_u32 v1, v0, 10, 10
	v_and_b32_e32 v0, 0x3ff, v0
	s_lshl_b32 s18, s15, 4
	s_mov_b32 s2, exec_lo
	s_delay_alu instid0(VALU_DEP_2) | instskip(NEXT) | instid1(VALU_DEP_2)
	v_lshlrev_b32_e32 v42, 1, v1
	v_lshrrev_b32_e32 v43, 4, v0
	s_delay_alu instid0(VALU_DEP_1) | instskip(SKIP_1) | instid1(VALU_DEP_1)
	v_add3_u32 v8, s18, v42, v43
	s_waitcnt lgkmcnt(0)
	v_cmpx_gt_i32_e64 s16, v8
	s_cbranch_execz .LBB292_22
; %bb.1:
	s_clause 0x1
	s_load_b128 s[4:7], s[0:1], 0x0
	s_load_b64 s[12:13], s[0:1], 0x10
	s_waitcnt lgkmcnt(0)
	s_cmp_eq_u64 s[6:7], 0
	s_cbranch_scc1 .LBB292_3
; %bb.2:
	v_ashrrev_i32_e32 v2, 31, v8
	v_add_co_u32 v1, vcc_lo, s6, v8
	s_delay_alu instid0(VALU_DEP_2) | instskip(SKIP_3) | instid1(VALU_DEP_1)
	v_add_co_ci_u32_e32 v2, vcc_lo, s7, v2, vcc_lo
	global_load_u8 v1, v[1:2], off
	s_waitcnt vmcnt(0)
	v_and_b32_e32 v1, 1, v1
	v_cmp_eq_u32_e32 vcc_lo, 1, v1
	s_xor_b32 s2, vcc_lo, -1
	s_delay_alu instid0(SALU_CYCLE_1)
	s_or_not1_b32 s17, s2, exec_lo
	s_branch .LBB292_4
.LBB292_3:
	s_mov_b32 s17, -1
.LBB292_4:
	s_load_b64 s[14:15], s[0:1], 0x40
	v_and_b32_e32 v9, 15, v0
	s_mov_b32 s2, exec_lo
	s_delay_alu instid0(VALU_DEP_1) | instskip(SKIP_2) | instid1(VALU_DEP_1)
	v_dual_mov_b32 v11, 0 :: v_dual_lshlrev_b32 v10, 4, v9
	s_waitcnt lgkmcnt(0)
	v_mul_lo_u32 v1, v8, s15
	v_ashrrev_i32_e32 v2, 31, v1
	s_delay_alu instid0(VALU_DEP_1) | instskip(SKIP_1) | instid1(VALU_DEP_2)
	v_lshlrev_b64 v[0:1], 1, v[1:2]
	v_lshlrev_b32_e32 v2, 5, v9
	v_add_co_u32 v12, vcc_lo, s4, v0
	s_delay_alu instid0(VALU_DEP_3) | instskip(SKIP_1) | instid1(VALU_DEP_2)
	v_add_co_ci_u32_e32 v13, vcc_lo, s5, v1, vcc_lo
	s_load_b128 s[4:7], s[0:1], 0x30
	v_add_co_u32 v4, vcc_lo, v12, v2
	s_delay_alu instid0(VALU_DEP_2)
	v_add_co_ci_u32_e32 v5, vcc_lo, 0, v13, vcc_lo
	s_clause 0x1
	global_load_b128 v[0:3], v[4:5], off offset:16
	global_load_b128 v[4:7], v[4:5], off
	v_cmpx_gt_u32_e32 2, v9
	s_cbranch_execz .LBB292_6
; %bb.5:
	v_lshlrev_b32_e32 v14, 1, v9
	s_delay_alu instid0(VALU_DEP_1) | instskip(SKIP_4) | instid1(VALU_DEP_1)
	v_add_co_u32 v12, vcc_lo, v12, v14
	v_add_co_ci_u32_e32 v13, vcc_lo, 0, v13, vcc_lo
	global_load_u16 v12, v[12:13], off offset:512
	s_waitcnt vmcnt(0)
	v_cvt_f32_u32_e32 v12, v12
	v_mul_f32_e32 v13, 0xbfb8aa3b, v12
	v_cmp_nlt_f32_e32 vcc_lo, 0x42ce8ed0, v12
	s_delay_alu instid0(VALU_DEP_2) | instskip(SKIP_1) | instid1(VALU_DEP_1)
	v_fma_f32 v14, 0xbfb8aa3b, v12, -v13
	v_rndne_f32_e32 v15, v13
	v_dual_fmamk_f32 v14, v12, 0xb2a5705f, v14 :: v_dual_sub_f32 v13, v13, v15
	s_delay_alu instid0(VALU_DEP_1) | instskip(SKIP_1) | instid1(VALU_DEP_2)
	v_add_f32_e32 v13, v13, v14
	v_cvt_i32_f32_e32 v14, v15
	v_exp_f32_e32 v13, v13
	s_waitcnt_depctr 0xfff
	v_ldexp_f32 v13, v13, v14
	s_delay_alu instid0(VALU_DEP_1) | instskip(SKIP_1) | instid1(VALU_DEP_2)
	v_cndmask_b32_e32 v13, 0, v13, vcc_lo
	v_cmp_ngt_f32_e32 vcc_lo, 0xc2b17218, v12
	v_cndmask_b32_e32 v12, 0x7f800000, v13, vcc_lo
	s_delay_alu instid0(VALU_DEP_1) | instskip(NEXT) | instid1(VALU_DEP_1)
	v_add_f32_e32 v14, 1.0, v12
	v_div_scale_f32 v13, null, v14, v14, 1.0
	v_div_scale_f32 v16, vcc_lo, 1.0, v14, 1.0
	s_delay_alu instid0(VALU_DEP_2) | instskip(SKIP_2) | instid1(VALU_DEP_1)
	v_rcp_f32_e32 v15, v13
	s_waitcnt_depctr 0xfff
	v_fma_f32 v12, -v13, v15, 1.0
	v_fmac_f32_e32 v15, v12, v15
	s_waitcnt lgkmcnt(0)
	v_mul_lo_u32 v12, v8, s7
	s_delay_alu instid0(VALU_DEP_2) | instskip(NEXT) | instid1(VALU_DEP_2)
	v_mul_f32_e32 v17, v16, v15
	v_add3_u32 v12, v12, s4, v9
	s_delay_alu instid0(VALU_DEP_2) | instskip(NEXT) | instid1(VALU_DEP_1)
	v_fma_f32 v18, -v13, v17, v16
	v_fmac_f32_e32 v17, v18, v15
	s_delay_alu instid0(VALU_DEP_1) | instskip(NEXT) | instid1(VALU_DEP_4)
	v_fma_f32 v16, -v13, v17, v16
	v_ashrrev_i32_e32 v13, 31, v12
	s_delay_alu instid0(VALU_DEP_2) | instskip(NEXT) | instid1(VALU_DEP_2)
	v_div_fmas_f32 v15, v16, v15, v17
	v_lshlrev_b64 v[12:13], 2, v[12:13]
	s_delay_alu instid0(VALU_DEP_2) | instskip(NEXT) | instid1(VALU_DEP_2)
	v_div_fixup_f32 v14, v15, v14, 1.0
	v_add_co_u32 v12, vcc_lo, s12, v12
	s_delay_alu instid0(VALU_DEP_3)
	v_add_co_ci_u32_e32 v13, vcc_lo, s13, v13, vcc_lo
	global_store_b32 v[12:13], v14, off
.LBB292_6:
	s_or_b32 exec_lo, exec_lo, s2
	s_waitcnt vmcnt(0)
	v_and_b32_e32 v12, 0xffff, v4
	v_lshrrev_b32_e32 v4, 16, v4
	v_or_b32_e32 v14, 1, v10
	v_or_b32_e32 v16, 2, v10
	;; [unrolled: 1-line block ×3, first 2 shown]
	v_cvt_f32_u32_e32 v12, v12
	v_cvt_f32_u32_e32 v13, v4
	v_or_b32_e32 v22, 5, v10
	v_or_b32_e32 v25, 7, v10
	v_or_b32_e32 v27, 8, v10
	v_or_b32_e32 v29, 9, v10
	v_cmp_lt_f32_e32 vcc_lo, v12, v13
	v_or_b32_e32 v31, 10, v10
	v_or_b32_e32 v33, 11, v10
	;; [unrolled: 1-line block ×3, first 2 shown]
	v_dual_cndmask_b32 v18, v12, v13 :: v_dual_and_b32 v19, 0xffff, v6
	v_lshrrev_b32_e32 v6, 16, v6
	v_or_b32_e32 v37, 13, v10
	v_or_b32_e32 v39, 14, v10
	s_delay_alu instid0(VALU_DEP_4)
	v_cvt_f32_u32_e32 v19, v19
	v_and_b32_e32 v4, 0xffff, v5
	v_lshrrev_b32_e32 v5, 16, v5
	v_cvt_f32_u32_e32 v21, v6
	v_and_b32_e32 v6, 0xffff, v7
	v_or_b32_e32 v41, 15, v10
	v_cvt_f32_u32_e32 v15, v4
	v_cvt_f32_u32_e32 v17, v5
	v_cndmask_b32_e32 v4, v10, v14, vcc_lo
	v_cvt_f32_u32_e32 v23, v6
	v_lshrrev_b32_e32 v6, 16, v7
	v_cmp_lt_f32_e32 vcc_lo, v18, v15
	v_or_b32_e32 v7, 6, v10
	s_delay_alu instid0(VALU_DEP_3) | instskip(SKIP_4) | instid1(VALU_DEP_4)
	v_cvt_f32_u32_e32 v24, v6
	v_dual_cndmask_b32 v5, v18, v15 :: v_dual_cndmask_b32 v4, v4, v16
	v_or_b32_e32 v18, 3, v10
	v_and_b32_e32 v6, 0xffff, v0
	v_lshrrev_b32_e32 v0, 16, v0
	v_cmp_lt_f32_e32 vcc_lo, v5, v17
	s_delay_alu instid0(VALU_DEP_3) | instskip(NEXT) | instid1(VALU_DEP_3)
	v_cvt_f32_u32_e32 v26, v6
	v_cvt_f32_u32_e32 v28, v0
	v_dual_cndmask_b32 v5, v5, v17 :: v_dual_cndmask_b32 v4, v4, v18
	s_delay_alu instid0(VALU_DEP_1) | instskip(NEXT) | instid1(VALU_DEP_2)
	v_cmp_lt_f32_e32 vcc_lo, v5, v19
	v_dual_cndmask_b32 v5, v5, v19 :: v_dual_cndmask_b32 v4, v4, v20
	s_delay_alu instid0(VALU_DEP_1) | instskip(NEXT) | instid1(VALU_DEP_2)
	v_cmp_lt_f32_e32 vcc_lo, v5, v21
	v_dual_cndmask_b32 v5, v5, v21 :: v_dual_cndmask_b32 v4, v4, v22
	s_delay_alu instid0(VALU_DEP_1) | instskip(SKIP_1) | instid1(VALU_DEP_3)
	v_cmp_lt_f32_e32 vcc_lo, v5, v23
	v_cndmask_b32_e32 v5, v5, v23, vcc_lo
	v_cndmask_b32_e32 v4, v4, v7, vcc_lo
	s_delay_alu instid0(VALU_DEP_2) | instskip(NEXT) | instid1(VALU_DEP_2)
	v_cmp_lt_f32_e32 vcc_lo, v5, v24
	v_dual_cndmask_b32 v5, v5, v24 :: v_dual_cndmask_b32 v4, v4, v25
	s_delay_alu instid0(VALU_DEP_1) | instskip(NEXT) | instid1(VALU_DEP_2)
	v_cmp_lt_f32_e32 vcc_lo, v5, v26
	v_cndmask_b32_e32 v0, v4, v27, vcc_lo
	v_dual_cndmask_b32 v4, v5, v26 :: v_dual_and_b32 v5, 0xffff, v1
	v_lshrrev_b32_e32 v1, 16, v1
	s_delay_alu instid0(VALU_DEP_2) | instskip(NEXT) | instid1(VALU_DEP_3)
	v_cmp_lt_f32_e32 vcc_lo, v4, v28
	v_cvt_f32_u32_e32 v30, v5
	s_delay_alu instid0(VALU_DEP_3) | instskip(SKIP_2) | instid1(VALU_DEP_2)
	v_cvt_f32_u32_e32 v32, v1
	v_cndmask_b32_e32 v4, v4, v28, vcc_lo
	v_cndmask_b32_e32 v0, v0, v29, vcc_lo
	v_cmp_lt_f32_e32 vcc_lo, v4, v30
	v_cndmask_b32_e32 v1, v4, v30, vcc_lo
	s_delay_alu instid0(VALU_DEP_3) | instskip(SKIP_2) | instid1(VALU_DEP_4)
	v_cndmask_b32_e32 v0, v0, v31, vcc_lo
	v_and_b32_e32 v4, 0xffff, v2
	v_lshrrev_b32_e32 v2, 16, v2
	v_cmp_lt_f32_e32 vcc_lo, v1, v32
	s_delay_alu instid0(VALU_DEP_3) | instskip(NEXT) | instid1(VALU_DEP_3)
	v_cvt_f32_u32_e32 v34, v4
	v_cvt_f32_u32_e32 v36, v2
	v_dual_cndmask_b32 v1, v1, v32 :: v_dual_and_b32 v2, 0xffff, v3
	v_cndmask_b32_e32 v0, v0, v33, vcc_lo
	s_delay_alu instid0(VALU_DEP_2) | instskip(NEXT) | instid1(VALU_DEP_3)
	v_cvt_f32_u32_e32 v38, v2
	v_cmp_lt_f32_e32 vcc_lo, v1, v34
	v_lshrrev_b32_e32 v2, 16, v3
	s_delay_alu instid0(VALU_DEP_4) | instskip(NEXT) | instid1(VALU_DEP_2)
	v_dual_cndmask_b32 v1, v1, v34 :: v_dual_cndmask_b32 v0, v0, v35
	v_cvt_f32_u32_e32 v40, v2
	s_delay_alu instid0(VALU_DEP_2) | instskip(NEXT) | instid1(VALU_DEP_3)
	v_cmp_lt_f32_e32 vcc_lo, v1, v36
	v_dual_cndmask_b32 v1, v1, v36 :: v_dual_cndmask_b32 v0, v0, v37
	s_delay_alu instid0(VALU_DEP_1) | instskip(NEXT) | instid1(VALU_DEP_2)
	v_cmp_lt_f32_e32 vcc_lo, v1, v38
	v_dual_cndmask_b32 v1, v1, v38 :: v_dual_cndmask_b32 v0, v0, v39
	s_delay_alu instid0(VALU_DEP_1) | instskip(NEXT) | instid1(VALU_DEP_2)
	;; [unrolled: 3-line block ×3, first 2 shown]
	v_mov_b32_dpp v2, v0 quad_perm:[1,0,3,2] row_mask:0xf bank_mask:0xf
	v_mov_b32_dpp v3, v1 quad_perm:[1,0,3,2] row_mask:0xf bank_mask:0xf
	s_delay_alu instid0(VALU_DEP_2) | instskip(NEXT) | instid1(VALU_DEP_2)
	v_cmp_lt_i32_e32 vcc_lo, v2, v0
	v_cmp_eq_f32_e64 s2, v1, v3
	v_cmp_lt_f32_e64 s3, v1, v3
	s_delay_alu instid0(VALU_DEP_2)
	s_and_b32 s2, s2, vcc_lo
	s_delay_alu instid0(VALU_DEP_1) | instid1(SALU_CYCLE_1)
	s_or_b32 vcc_lo, s3, s2
	v_dual_cndmask_b32 v1, v1, v3 :: v_dual_cndmask_b32 v0, v0, v2
	s_delay_alu instid0(VALU_DEP_1) | instskip(NEXT) | instid1(VALU_DEP_2)
	v_mov_b32_dpp v2, v1 quad_perm:[2,3,0,1] row_mask:0xf bank_mask:0xf
	v_mov_b32_dpp v3, v0 quad_perm:[2,3,0,1] row_mask:0xf bank_mask:0xf
	s_delay_alu instid0(VALU_DEP_2) | instskip(NEXT) | instid1(VALU_DEP_2)
	v_cmp_eq_f32_e32 vcc_lo, v1, v2
	v_cmp_lt_i32_e64 s2, v3, v0
	v_cmp_lt_f32_e64 s3, v1, v2
	s_delay_alu instid0(VALU_DEP_2)
	s_and_b32 s2, vcc_lo, s2
	s_delay_alu instid0(VALU_DEP_1) | instid1(SALU_CYCLE_1)
	s_or_b32 vcc_lo, s3, s2
	v_dual_cndmask_b32 v1, v1, v2 :: v_dual_cndmask_b32 v0, v0, v3
	s_delay_alu instid0(VALU_DEP_1) | instskip(NEXT) | instid1(VALU_DEP_2)
	v_mov_b32_dpp v2, v1 row_half_mirror row_mask:0xf bank_mask:0xf
	v_mov_b32_dpp v3, v0 row_half_mirror row_mask:0xf bank_mask:0xf
	s_delay_alu instid0(VALU_DEP_2) | instskip(NEXT) | instid1(VALU_DEP_2)
	v_cmp_eq_f32_e32 vcc_lo, v1, v2
	v_cmp_lt_i32_e64 s2, v3, v0
	v_cmp_lt_f32_e64 s3, v1, v2
	s_delay_alu instid0(VALU_DEP_2)
	s_and_b32 s2, vcc_lo, s2
	s_delay_alu instid0(VALU_DEP_1) | instid1(SALU_CYCLE_1)
	s_or_b32 vcc_lo, s3, s2
	s_waitcnt lgkmcnt(0)
	s_cmp_gt_i32 s4, 0
	v_cndmask_b32_e32 v2, v1, v2, vcc_lo
	v_cndmask_b32_e32 v0, v0, v3, vcc_lo
	v_cmp_eq_u32_e32 vcc_lo, 0, v9
	s_cselect_b32 s3, -1, 0
	s_cmp_lt_i32 s4, 1
	v_mov_b32_dpp v4, v2 row_mirror row_mask:0xf bank_mask:0xf
	v_mov_b32_dpp v6, v0 row_mirror row_mask:0xf bank_mask:0xf
	s_cbranch_scc1 .LBB292_18
; %bb.7:
	s_load_b128 s[8:11], s[0:1], 0x20
	s_delay_alu instid0(VALU_DEP_2) | instskip(NEXT) | instid1(VALU_DEP_2)
	v_cmp_eq_f32_e64 s0, v2, v4
	v_cmp_lt_i32_e64 s1, v6, v0
	v_cmp_lt_f32_e64 s2, v2, v4
	v_mul_lo_u32 v1, v8, s7
	v_mul_lo_u32 v3, v8, s14
	v_mul_lo_u32 v5, v8, s4
	s_and_b32 s0, s0, s1
	v_mov_b32_e32 v11, 0
	s_or_b32 s0, s2, s0
	s_delay_alu instid0(SALU_CYCLE_1)
	v_cndmask_b32_e64 v0, v0, v6, s0
	v_cndmask_b32_e64 v44, v2, v4, s0
	s_and_saveexec_b32 s2, vcc_lo
	s_cbranch_execz .LBB292_9
; %bb.8:
	s_delay_alu instid0(VALU_DEP_1)
	v_sub_f32_e32 v11, v44, v44
	v_cmp_le_i32_e64 s0, s5, v0
	v_cmp_gt_i32_e64 s1, s6, v0
	v_subrev_nc_u32_e32 v51, s5, v0
	v_ashrrev_i32_e32 v6, 31, v5
	v_mul_f32_e32 v2, 0x3fb8aa3b, v11
	s_delay_alu instid0(VALU_DEP_4) | instskip(NEXT) | instid1(SALU_CYCLE_1)
	s_and_b32 s0, s0, s1
	s_and_b32 s0, s17, s0
	s_delay_alu instid0(VALU_DEP_1) | instskip(SKIP_2) | instid1(VALU_DEP_3)
	v_rndne_f32_e32 v47, v2
	v_fma_f32 v4, 0x3fb8aa3b, v11, -v2
	v_lshlrev_b64 v[49:50], 2, v[5:6]
	v_sub_f32_e32 v2, v2, v47
	s_delay_alu instid0(VALU_DEP_3) | instskip(NEXT) | instid1(VALU_DEP_1)
	v_fmamk_f32 v4, v11, 0x32a5705f, v4
	v_add_f32_e32 v4, v2, v4
	v_ashrrev_i32_e32 v2, 31, v1
	s_delay_alu instid0(VALU_DEP_2) | instskip(NEXT) | instid1(VALU_DEP_1)
	v_exp_f32_e32 v52, v4
	v_lshlrev_b64 v[45:46], 2, v[1:2]
	v_ashrrev_i32_e32 v4, 31, v3
	v_cvt_i32_f32_e32 v2, v47
	s_delay_alu instid0(VALU_DEP_2) | instskip(SKIP_2) | instid1(VALU_DEP_1)
	v_lshlrev_b64 v[47:48], 2, v[3:4]
	v_cndmask_b32_e64 v4, 0x100, v51, s0
	v_add_co_u32 v45, s0, s12, v45
	v_add_co_ci_u32_e64 v46, s0, s13, v46, s0
	s_delay_alu instid0(TRANS32_DEP_1) | instskip(SKIP_1) | instid1(VALU_DEP_1)
	v_ldexp_f32 v2, v52, v2
	v_cmp_ngt_f32_e64 s0, 0xc2ce8ed0, v11
	v_cndmask_b32_e64 v2, 0, v2, s0
	s_waitcnt lgkmcnt(0)
	v_add_co_u32 v47, s0, s8, v47
	s_delay_alu instid0(VALU_DEP_1) | instskip(SKIP_1) | instid1(VALU_DEP_1)
	v_add_co_ci_u32_e64 v48, s0, s9, v48, s0
	v_cmp_nlt_f32_e64 s0, 0x42b17218, v11
	v_cndmask_b32_e64 v11, 0x7f800000, v2, s0
	v_add_co_u32 v49, s0, s10, v49
	s_delay_alu instid0(VALU_DEP_1)
	v_add_co_ci_u32_e64 v50, s0, s11, v50, s0
	global_store_b32 v[47:48], v4, off
	global_store_b32 v[45:46], v11, off
	;; [unrolled: 1-line block ×3, first 2 shown]
.LBB292_9:
	s_or_b32 exec_lo, exec_lo, s2
	v_ashrrev_i32_e32 v4, 31, v0
	s_mov_b32 s1, exec_lo
	s_delay_alu instid0(VALU_DEP_1) | instskip(NEXT) | instid1(VALU_DEP_1)
	v_lshrrev_b32_e32 v2, 28, v4
	v_add_nc_u32_e32 v2, v0, v2
	s_delay_alu instid0(VALU_DEP_1) | instskip(NEXT) | instid1(VALU_DEP_1)
	v_ashrrev_i32_e32 v2, 4, v2
	v_lshrrev_b32_e32 v6, 28, v2
	s_delay_alu instid0(VALU_DEP_1) | instskip(NEXT) | instid1(VALU_DEP_1)
	v_add_nc_u32_e32 v6, v2, v6
	v_and_b32_e32 v6, -16, v6
	s_delay_alu instid0(VALU_DEP_1) | instskip(NEXT) | instid1(VALU_DEP_1)
	v_sub_nc_u32_e32 v6, v2, v6
	v_cmpx_eq_u32_e64 v9, v6
	s_cbranch_execz .LBB292_11
; %bb.10:
	v_lshrrev_b32_e32 v4, 24, v4
	v_lshlrev_b32_e32 v2, 4, v2
	s_delay_alu instid0(VALU_DEP_2) | instskip(NEXT) | instid1(VALU_DEP_2)
	v_add_nc_u32_e32 v4, v0, v4
	v_sub_nc_u32_e32 v0, v0, v2
	s_delay_alu instid0(VALU_DEP_2) | instskip(NEXT) | instid1(VALU_DEP_1)
	v_ashrrev_i32_e32 v2, 8, v4
	v_lshl_add_u32 v0, v2, 4, v0
	s_delay_alu instid0(VALU_DEP_1) | instskip(NEXT) | instid1(VALU_DEP_1)
	v_cmp_ne_u32_e64 s0, 15, v0
	v_cndmask_b32_e64 v40, 0xff800000, v40, s0
	v_cmp_ne_u32_e64 s0, 14, v0
	s_delay_alu instid0(VALU_DEP_1) | instskip(SKIP_1) | instid1(VALU_DEP_1)
	v_cndmask_b32_e64 v38, 0xff800000, v38, s0
	v_cmp_ne_u32_e64 s0, 13, v0
	v_cndmask_b32_e64 v36, 0xff800000, v36, s0
	v_cmp_ne_u32_e64 s0, 12, v0
	s_delay_alu instid0(VALU_DEP_1) | instskip(SKIP_1) | instid1(VALU_DEP_1)
	v_cndmask_b32_e64 v34, 0xff800000, v34, s0
	;; [unrolled: 5-line block ×7, first 2 shown]
	v_cmp_ne_u32_e64 s0, 1, v0
	v_cndmask_b32_e64 v13, 0xff800000, v13, s0
	v_cmp_ne_u32_e64 s0, 0, v0
	s_delay_alu instid0(VALU_DEP_1)
	v_cndmask_b32_e64 v12, 0xff800000, v12, s0
.LBB292_11:
	s_or_b32 exec_lo, exec_lo, s1
	s_cmp_eq_u32 s4, 1
	s_cbranch_scc1 .LBB292_18
; %bb.12:
	s_add_i32 s18, s18, s16
	v_add_nc_u32_e32 v0, 1, v5
	v_add3_u32 v6, s18, v43, v42
	v_add_nc_u32_e32 v2, 1, v3
	v_add_nc_u32_e32 v4, 1, v1
	s_add_i32 s14, s4, -1
	s_branch .LBB292_14
.LBB292_13:                             ;   in Loop: Header=BB292_14 Depth=1
	s_or_b32 exec_lo, exec_lo, s1
	v_add_nc_u32_e32 v6, s16, v6
	v_add_nc_u32_e32 v0, 1, v0
	;; [unrolled: 1-line block ×4, first 2 shown]
	s_add_i32 s14, s14, -1
	s_delay_alu instid0(SALU_CYCLE_1)
	s_cmp_eq_u32 s14, 0
	s_cbranch_scc1 .LBB292_18
.LBB292_14:                             ; =>This Inner Loop Header: Depth=1
	v_cmp_gt_f32_e64 s0, v13, v12
	s_delay_alu instid0(VALU_DEP_1) | instskip(SKIP_1) | instid1(VALU_DEP_2)
	v_cndmask_b32_e64 v3, v12, v13, s0
	v_cndmask_b32_e64 v1, v10, v14, s0
	v_cmp_gt_f32_e64 s0, v15, v3
	s_delay_alu instid0(VALU_DEP_1) | instskip(NEXT) | instid1(VALU_DEP_3)
	v_cndmask_b32_e64 v3, v3, v15, s0
	v_cndmask_b32_e64 v1, v1, v16, s0
	s_delay_alu instid0(VALU_DEP_2) | instskip(NEXT) | instid1(VALU_DEP_1)
	v_cmp_gt_f32_e64 s0, v17, v3
	v_cndmask_b32_e64 v3, v3, v17, s0
	s_delay_alu instid0(VALU_DEP_3) | instskip(NEXT) | instid1(VALU_DEP_2)
	v_cndmask_b32_e64 v1, v1, v18, s0
	v_cmp_gt_f32_e64 s0, v19, v3
	s_delay_alu instid0(VALU_DEP_1) | instskip(NEXT) | instid1(VALU_DEP_3)
	v_cndmask_b32_e64 v3, v3, v19, s0
	v_cndmask_b32_e64 v1, v1, v20, s0
	s_delay_alu instid0(VALU_DEP_2) | instskip(NEXT) | instid1(VALU_DEP_1)
	v_cmp_gt_f32_e64 s0, v21, v3
	v_cndmask_b32_e64 v3, v3, v21, s0
	s_delay_alu instid0(VALU_DEP_3) | instskip(NEXT) | instid1(VALU_DEP_2)
	;; [unrolled: 9-line block ×6, first 2 shown]
	v_cndmask_b32_e64 v1, v1, v37, s0
	v_cmp_gt_f32_e64 s0, v38, v3
	s_delay_alu instid0(VALU_DEP_1) | instskip(NEXT) | instid1(VALU_DEP_3)
	v_cndmask_b32_e64 v3, v3, v38, s0
	v_cndmask_b32_e64 v1, v1, v39, s0
	s_delay_alu instid0(VALU_DEP_2) | instskip(NEXT) | instid1(VALU_DEP_1)
	v_cmp_gt_f32_e64 s0, v40, v3
	v_cndmask_b32_e64 v1, v1, v41, s0
	v_cndmask_b32_e64 v3, v3, v40, s0
	s_delay_alu instid0(VALU_DEP_2) | instskip(NEXT) | instid1(VALU_DEP_2)
	v_mov_b32_dpp v5, v1 quad_perm:[1,0,3,2] row_mask:0xf bank_mask:0xf
	v_mov_b32_dpp v42, v3 quad_perm:[1,0,3,2] row_mask:0xf bank_mask:0xf
	s_delay_alu instid0(VALU_DEP_2) | instskip(NEXT) | instid1(VALU_DEP_2)
	v_cmp_lt_i32_e64 s0, v5, v1
	v_cmp_eq_f32_e64 s1, v3, v42
	v_cmp_lt_f32_e64 s2, v3, v42
	s_delay_alu instid0(VALU_DEP_2)
	s_and_b32 s0, s1, s0
	s_delay_alu instid0(VALU_DEP_1) | instid1(SALU_CYCLE_1)
	s_or_b32 s0, s2, s0
	s_delay_alu instid0(SALU_CYCLE_1) | instskip(SKIP_1) | instid1(VALU_DEP_2)
	v_cndmask_b32_e64 v3, v3, v42, s0
	v_cndmask_b32_e64 v1, v1, v5, s0
	v_mov_b32_dpp v5, v3 quad_perm:[2,3,0,1] row_mask:0xf bank_mask:0xf
	s_delay_alu instid0(VALU_DEP_2) | instskip(NEXT) | instid1(VALU_DEP_2)
	v_mov_b32_dpp v42, v1 quad_perm:[2,3,0,1] row_mask:0xf bank_mask:0xf
	v_cmp_eq_f32_e64 s0, v3, v5
	s_delay_alu instid0(VALU_DEP_2) | instskip(SKIP_1) | instid1(VALU_DEP_2)
	v_cmp_lt_i32_e64 s1, v42, v1
	v_cmp_lt_f32_e64 s2, v3, v5
	s_and_b32 s0, s0, s1
	s_delay_alu instid0(VALU_DEP_1) | instid1(SALU_CYCLE_1)
	s_or_b32 s0, s2, s0
	s_delay_alu instid0(SALU_CYCLE_1) | instskip(SKIP_1) | instid1(VALU_DEP_2)
	v_cndmask_b32_e64 v3, v3, v5, s0
	v_cndmask_b32_e64 v5, v1, v42, s0
	v_mov_b32_dpp v1, v3 row_half_mirror row_mask:0xf bank_mask:0xf
	s_delay_alu instid0(VALU_DEP_2) | instskip(NEXT) | instid1(VALU_DEP_2)
	v_mov_b32_dpp v42, v5 row_half_mirror row_mask:0xf bank_mask:0xf
	v_cmp_eq_f32_e64 s0, v3, v1
	s_delay_alu instid0(VALU_DEP_2) | instskip(SKIP_1) | instid1(VALU_DEP_2)
	v_cmp_lt_i32_e64 s1, v42, v5
	v_cmp_lt_f32_e64 s2, v3, v1
	s_and_b32 s0, s0, s1
	s_delay_alu instid0(VALU_DEP_1) | instid1(SALU_CYCLE_1)
	s_or_b32 s0, s2, s0
	s_delay_alu instid0(SALU_CYCLE_1) | instskip(SKIP_1) | instid1(VALU_DEP_2)
	v_cndmask_b32_e64 v1, v3, v1, s0
	v_cndmask_b32_e64 v5, v5, v42, s0
	v_mov_b32_dpp v3, v1 row_mirror row_mask:0xf bank_mask:0xf
	s_delay_alu instid0(VALU_DEP_2) | instskip(NEXT) | instid1(VALU_DEP_2)
	v_mov_b32_dpp v42, v5 row_mirror row_mask:0xf bank_mask:0xf
	v_cmp_eq_f32_e64 s0, v1, v3
	s_delay_alu instid0(VALU_DEP_2) | instskip(SKIP_1) | instid1(VALU_DEP_2)
	v_cmp_lt_i32_e64 s1, v42, v5
	v_cmp_lt_f32_e64 s2, v1, v3
	s_and_b32 s0, s0, s1
	s_delay_alu instid0(VALU_DEP_1) | instid1(SALU_CYCLE_1)
	s_or_b32 s0, s2, s0
	s_delay_alu instid0(SALU_CYCLE_1)
	v_cndmask_b32_e64 v42, v5, v42, s0
	s_and_saveexec_b32 s2, vcc_lo
	s_cbranch_execz .LBB292_16
; %bb.15:                               ;   in Loop: Header=BB292_14 Depth=1
	v_cndmask_b32_e64 v1, v1, v3, s0
	s_delay_alu instid0(VALU_DEP_2) | instskip(SKIP_4) | instid1(VALU_DEP_4)
	v_cmp_le_i32_e64 s0, s5, v42
	v_cmp_gt_i32_e64 s1, s6, v42
	v_ashrrev_i32_e32 v5, 31, v4
	v_subrev_nc_u32_e32 v51, s5, v42
	v_sub_f32_e32 v43, v1, v44
	s_and_b32 s0, s0, s1
	s_delay_alu instid0(SALU_CYCLE_1) | instskip(NEXT) | instid1(VALU_DEP_1)
	s_and_b32 s0, s17, s0
	v_mul_f32_e32 v1, 0x3fb8aa3b, v43
	s_delay_alu instid0(VALU_DEP_1) | instskip(SKIP_1) | instid1(VALU_DEP_2)
	v_fma_f32 v3, 0x3fb8aa3b, v43, -v1
	v_rndne_f32_e32 v45, v1
	v_fmac_f32_e32 v3, 0x32a5705f, v43
	s_delay_alu instid0(VALU_DEP_2) | instskip(SKIP_2) | instid1(VALU_DEP_3)
	v_sub_f32_e32 v1, v1, v45
	v_cvt_i32_f32_e32 v50, v45
	v_lshlrev_b64 v[45:46], 2, v[4:5]
	v_add_f32_e32 v1, v1, v3
	v_ashrrev_i32_e32 v3, 31, v2
	s_delay_alu instid0(VALU_DEP_2) | instskip(SKIP_1) | instid1(VALU_DEP_2)
	v_exp_f32_e32 v49, v1
	v_ashrrev_i32_e32 v1, 31, v0
	v_lshlrev_b64 v[47:48], 2, v[2:3]
	s_waitcnt_depctr 0xfff
	v_ldexp_f32 v3, v49, v50
	v_lshlrev_b64 v[49:50], 2, v[0:1]
	v_cndmask_b32_e64 v1, 0x100, v51, s0
	v_cmp_ngt_f32_e64 s0, 0xc2ce8ed0, v43
	s_delay_alu instid0(VALU_DEP_1) | instskip(SKIP_1) | instid1(VALU_DEP_1)
	v_cndmask_b32_e64 v3, 0, v3, s0
	v_add_co_u32 v45, s0, s12, v45
	v_add_co_ci_u32_e64 v46, s0, s13, v46, s0
	v_cmp_nlt_f32_e64 s0, 0x42b17218, v43
	s_delay_alu instid0(VALU_DEP_1) | instskip(SKIP_2) | instid1(VALU_DEP_1)
	v_cndmask_b32_e64 v3, 0x7f800000, v3, s0
	s_waitcnt lgkmcnt(0)
	v_add_co_u32 v47, s0, s8, v47
	v_add_co_ci_u32_e64 v48, s0, s9, v48, s0
	v_add_co_u32 v49, s0, s10, v49
	v_add_f32_e32 v11, v11, v3
	v_add_co_ci_u32_e64 v50, s0, s11, v50, s0
	global_store_b32 v[45:46], v3, off
	global_store_b32 v[47:48], v1, off
	;; [unrolled: 1-line block ×3, first 2 shown]
.LBB292_16:                             ;   in Loop: Header=BB292_14 Depth=1
	s_or_b32 exec_lo, exec_lo, s2
	s_delay_alu instid0(VALU_DEP_1) | instskip(SKIP_1) | instid1(VALU_DEP_1)
	v_ashrrev_i32_e32 v3, 31, v42
	s_mov_b32 s1, exec_lo
	v_lshrrev_b32_e32 v1, 28, v3
	s_delay_alu instid0(VALU_DEP_1) | instskip(NEXT) | instid1(VALU_DEP_1)
	v_add_nc_u32_e32 v1, v42, v1
	v_ashrrev_i32_e32 v1, 4, v1
	s_delay_alu instid0(VALU_DEP_1) | instskip(NEXT) | instid1(VALU_DEP_1)
	v_lshrrev_b32_e32 v5, 28, v1
	v_add_nc_u32_e32 v5, v1, v5
	s_delay_alu instid0(VALU_DEP_1) | instskip(NEXT) | instid1(VALU_DEP_1)
	v_and_b32_e32 v5, -16, v5
	v_sub_nc_u32_e32 v5, v1, v5
	s_delay_alu instid0(VALU_DEP_1)
	v_cmpx_eq_u32_e64 v9, v5
	s_cbranch_execz .LBB292_13
; %bb.17:                               ;   in Loop: Header=BB292_14 Depth=1
	v_lshrrev_b32_e32 v3, 24, v3
	v_lshlrev_b32_e32 v1, 4, v1
	s_delay_alu instid0(VALU_DEP_2) | instskip(NEXT) | instid1(VALU_DEP_2)
	v_add_nc_u32_e32 v3, v42, v3
	v_sub_nc_u32_e32 v1, v42, v1
	s_delay_alu instid0(VALU_DEP_2) | instskip(NEXT) | instid1(VALU_DEP_1)
	v_ashrrev_i32_e32 v3, 8, v3
	v_lshl_add_u32 v1, v3, 4, v1
	s_delay_alu instid0(VALU_DEP_1) | instskip(NEXT) | instid1(VALU_DEP_1)
	v_cmp_ne_u32_e64 s0, 15, v1
	v_cndmask_b32_e64 v40, 0xff800000, v40, s0
	v_cmp_ne_u32_e64 s0, 14, v1
	s_delay_alu instid0(VALU_DEP_1) | instskip(SKIP_1) | instid1(VALU_DEP_1)
	v_cndmask_b32_e64 v38, 0xff800000, v38, s0
	v_cmp_ne_u32_e64 s0, 13, v1
	v_cndmask_b32_e64 v36, 0xff800000, v36, s0
	v_cmp_ne_u32_e64 s0, 12, v1
	s_delay_alu instid0(VALU_DEP_1) | instskip(SKIP_1) | instid1(VALU_DEP_1)
	v_cndmask_b32_e64 v34, 0xff800000, v34, s0
	v_cmp_ne_u32_e64 s0, 11, v1
	v_cndmask_b32_e64 v32, 0xff800000, v32, s0
	v_cmp_ne_u32_e64 s0, 10, v1
	s_delay_alu instid0(VALU_DEP_1) | instskip(SKIP_1) | instid1(VALU_DEP_1)
	v_cndmask_b32_e64 v30, 0xff800000, v30, s0
	v_cmp_ne_u32_e64 s0, 9, v1
	v_cndmask_b32_e64 v28, 0xff800000, v28, s0
	v_cmp_ne_u32_e64 s0, 8, v1
	s_delay_alu instid0(VALU_DEP_1) | instskip(SKIP_1) | instid1(VALU_DEP_1)
	v_cndmask_b32_e64 v26, 0xff800000, v26, s0
	v_cmp_ne_u32_e64 s0, 7, v1
	v_cndmask_b32_e64 v24, 0xff800000, v24, s0
	v_cmp_ne_u32_e64 s0, 6, v1
	s_delay_alu instid0(VALU_DEP_1) | instskip(SKIP_1) | instid1(VALU_DEP_1)
	v_cndmask_b32_e64 v23, 0xff800000, v23, s0
	v_cmp_ne_u32_e64 s0, 5, v1
	v_cndmask_b32_e64 v21, 0xff800000, v21, s0
	v_cmp_ne_u32_e64 s0, 4, v1
	s_delay_alu instid0(VALU_DEP_1) | instskip(SKIP_1) | instid1(VALU_DEP_1)
	v_cndmask_b32_e64 v19, 0xff800000, v19, s0
	v_cmp_ne_u32_e64 s0, 3, v1
	v_cndmask_b32_e64 v17, 0xff800000, v17, s0
	v_cmp_ne_u32_e64 s0, 2, v1
	s_delay_alu instid0(VALU_DEP_1) | instskip(SKIP_1) | instid1(VALU_DEP_1)
	v_cndmask_b32_e64 v15, 0xff800000, v15, s0
	v_cmp_ne_u32_e64 s0, 1, v1
	v_cndmask_b32_e64 v13, 0xff800000, v13, s0
	v_cmp_ne_u32_e64 s0, 0, v1
	s_delay_alu instid0(VALU_DEP_1)
	v_cndmask_b32_e64 v12, 0xff800000, v12, s0
	s_branch .LBB292_13
.LBB292_18:
	v_cmp_eq_u32_e32 vcc_lo, 0, v9
	v_cmp_neq_f32_e64 s0, 0, v11
	s_delay_alu instid0(VALU_DEP_1) | instskip(NEXT) | instid1(SALU_CYCLE_1)
	s_and_b32 s0, vcc_lo, s0
	s_and_b32 exec_lo, exec_lo, s0
	s_cbranch_execz .LBB292_22
; %bb.19:
	s_and_not1_b32 vcc_lo, exec_lo, s3
	s_cbranch_vccnz .LBB292_22
; %bb.20:
	v_div_scale_f32 v1, null, v11, v11, 1.0
	v_div_scale_f32 v3, vcc_lo, 1.0, v11, 1.0
	s_delay_alu instid0(VALU_DEP_2) | instskip(SKIP_2) | instid1(VALU_DEP_1)
	v_rcp_f32_e32 v2, v1
	s_waitcnt_depctr 0xfff
	v_fma_f32 v0, -v1, v2, 1.0
	v_fmac_f32_e32 v2, v0, v2
	v_mul_lo_u32 v0, v8, s7
	s_delay_alu instid0(VALU_DEP_2) | instskip(NEXT) | instid1(VALU_DEP_1)
	v_mul_f32_e32 v4, v3, v2
	v_fma_f32 v5, -v1, v4, v3
	s_delay_alu instid0(VALU_DEP_1) | instskip(NEXT) | instid1(VALU_DEP_1)
	v_fmac_f32_e32 v4, v5, v2
	v_fma_f32 v3, -v1, v4, v3
	v_ashrrev_i32_e32 v1, 31, v0
	s_delay_alu instid0(VALU_DEP_2) | instskip(NEXT) | instid1(VALU_DEP_2)
	v_div_fmas_f32 v2, v3, v2, v4
	v_lshlrev_b64 v[0:1], 2, v[0:1]
	s_delay_alu instid0(VALU_DEP_2) | instskip(NEXT) | instid1(VALU_DEP_2)
	v_div_fixup_f32 v2, v2, v11, 1.0
	v_add_co_u32 v0, vcc_lo, s12, v0
	s_delay_alu instid0(VALU_DEP_3)
	v_add_co_ci_u32_e32 v1, vcc_lo, s13, v1, vcc_lo
.LBB292_21:                             ; =>This Inner Loop Header: Depth=1
	global_load_b32 v3, v[0:1], off
	s_add_i32 s4, s4, -1
	s_delay_alu instid0(SALU_CYCLE_1)
	s_cmp_lg_u32 s4, 0
	s_waitcnt vmcnt(0)
	v_mul_f32_e32 v3, v2, v3
	global_store_b32 v[0:1], v3, off
	v_add_co_u32 v0, vcc_lo, v0, 4
	v_add_co_ci_u32_e32 v1, vcc_lo, 0, v1, vcc_lo
	s_cbranch_scc1 .LBB292_21
.LBB292_22:
	s_nop 0
	s_sendmsg sendmsg(MSG_DEALLOC_VGPRS)
	s_endpgm
	.section	.rodata,"a",@progbits
	.p2align	6, 0x0
	.amdhsa_kernel _ZN4vllm3moe17topkGatingSoftmaxItLi16ELi256ELi8ELi32ELb1ELi2ELNS0_23SharedExpertScoringFuncE1EEEvPKT_PKbPfiPiS9_iiiiii
		.amdhsa_group_segment_fixed_size 0
		.amdhsa_private_segment_fixed_size 0
		.amdhsa_kernarg_size 72
		.amdhsa_user_sgpr_count 15
		.amdhsa_user_sgpr_dispatch_ptr 0
		.amdhsa_user_sgpr_queue_ptr 0
		.amdhsa_user_sgpr_kernarg_segment_ptr 1
		.amdhsa_user_sgpr_dispatch_id 0
		.amdhsa_user_sgpr_private_segment_size 0
		.amdhsa_wavefront_size32 1
		.amdhsa_uses_dynamic_stack 0
		.amdhsa_enable_private_segment 0
		.amdhsa_system_sgpr_workgroup_id_x 1
		.amdhsa_system_sgpr_workgroup_id_y 0
		.amdhsa_system_sgpr_workgroup_id_z 0
		.amdhsa_system_sgpr_workgroup_info 0
		.amdhsa_system_vgpr_workitem_id 1
		.amdhsa_next_free_vgpr 53
		.amdhsa_next_free_sgpr 19
		.amdhsa_reserve_vcc 1
		.amdhsa_float_round_mode_32 0
		.amdhsa_float_round_mode_16_64 0
		.amdhsa_float_denorm_mode_32 3
		.amdhsa_float_denorm_mode_16_64 3
		.amdhsa_dx10_clamp 1
		.amdhsa_ieee_mode 1
		.amdhsa_fp16_overflow 0
		.amdhsa_workgroup_processor_mode 1
		.amdhsa_memory_ordered 1
		.amdhsa_forward_progress 0
		.amdhsa_shared_vgpr_count 0
		.amdhsa_exception_fp_ieee_invalid_op 0
		.amdhsa_exception_fp_denorm_src 0
		.amdhsa_exception_fp_ieee_div_zero 0
		.amdhsa_exception_fp_ieee_overflow 0
		.amdhsa_exception_fp_ieee_underflow 0
		.amdhsa_exception_fp_ieee_inexact 0
		.amdhsa_exception_int_div_zero 0
	.end_amdhsa_kernel
	.section	.text._ZN4vllm3moe17topkGatingSoftmaxItLi16ELi256ELi8ELi32ELb1ELi2ELNS0_23SharedExpertScoringFuncE1EEEvPKT_PKbPfiPiS9_iiiiii,"axG",@progbits,_ZN4vllm3moe17topkGatingSoftmaxItLi16ELi256ELi8ELi32ELb1ELi2ELNS0_23SharedExpertScoringFuncE1EEEvPKT_PKbPfiPiS9_iiiiii,comdat
.Lfunc_end292:
	.size	_ZN4vllm3moe17topkGatingSoftmaxItLi16ELi256ELi8ELi32ELb1ELi2ELNS0_23SharedExpertScoringFuncE1EEEvPKT_PKbPfiPiS9_iiiiii, .Lfunc_end292-_ZN4vllm3moe17topkGatingSoftmaxItLi16ELi256ELi8ELi32ELb1ELi2ELNS0_23SharedExpertScoringFuncE1EEEvPKT_PKbPfiPiS9_iiiiii
                                        ; -- End function
	.section	.AMDGPU.csdata,"",@progbits
; Kernel info:
; codeLenInByte = 4012
; NumSgprs: 21
; NumVgprs: 53
; ScratchSize: 0
; MemoryBound: 0
; FloatMode: 240
; IeeeMode: 1
; LDSByteSize: 0 bytes/workgroup (compile time only)
; SGPRBlocks: 2
; VGPRBlocks: 6
; NumSGPRsForWavesPerEU: 21
; NumVGPRsForWavesPerEU: 53
; Occupancy: 16
; WaveLimiterHint : 0
; COMPUTE_PGM_RSRC2:SCRATCH_EN: 0
; COMPUTE_PGM_RSRC2:USER_SGPR: 15
; COMPUTE_PGM_RSRC2:TRAP_HANDLER: 0
; COMPUTE_PGM_RSRC2:TGID_X_EN: 1
; COMPUTE_PGM_RSRC2:TGID_Y_EN: 0
; COMPUTE_PGM_RSRC2:TGID_Z_EN: 0
; COMPUTE_PGM_RSRC2:TIDIG_COMP_CNT: 1
	.section	.text._ZN4vllm3moe17topkGatingSoftmaxItLi16ELi256ELi8ELi32ELb0ELi2ELNS0_23SharedExpertScoringFuncE1EEEvPKT_PKbPfiPiS9_iiiiii,"axG",@progbits,_ZN4vllm3moe17topkGatingSoftmaxItLi16ELi256ELi8ELi32ELb0ELi2ELNS0_23SharedExpertScoringFuncE1EEEvPKT_PKbPfiPiS9_iiiiii,comdat
	.protected	_ZN4vllm3moe17topkGatingSoftmaxItLi16ELi256ELi8ELi32ELb0ELi2ELNS0_23SharedExpertScoringFuncE1EEEvPKT_PKbPfiPiS9_iiiiii ; -- Begin function _ZN4vllm3moe17topkGatingSoftmaxItLi16ELi256ELi8ELi32ELb0ELi2ELNS0_23SharedExpertScoringFuncE1EEEvPKT_PKbPfiPiS9_iiiiii
	.globl	_ZN4vllm3moe17topkGatingSoftmaxItLi16ELi256ELi8ELi32ELb0ELi2ELNS0_23SharedExpertScoringFuncE1EEEvPKT_PKbPfiPiS9_iiiiii
	.p2align	8
	.type	_ZN4vllm3moe17topkGatingSoftmaxItLi16ELi256ELi8ELi32ELb0ELi2ELNS0_23SharedExpertScoringFuncE1EEEvPKT_PKbPfiPiS9_iiiiii,@function
_ZN4vllm3moe17topkGatingSoftmaxItLi16ELi256ELi8ELi32ELb0ELi2ELNS0_23SharedExpertScoringFuncE1EEEvPKT_PKbPfiPiS9_iiiiii: ; @_ZN4vllm3moe17topkGatingSoftmaxItLi16ELi256ELi8ELi32ELb0ELi2ELNS0_23SharedExpertScoringFuncE1EEEvPKT_PKbPfiPiS9_iiiiii
; %bb.0:
	s_load_b32 s16, s[0:1], 0x18
	v_bfe_u32 v1, v0, 10, 10
	v_and_b32_e32 v0, 0x3ff, v0
	s_lshl_b32 s18, s15, 4
	s_mov_b32 s2, exec_lo
	s_delay_alu instid0(VALU_DEP_2) | instskip(NEXT) | instid1(VALU_DEP_2)
	v_lshlrev_b32_e32 v43, 1, v1
	v_lshrrev_b32_e32 v44, 4, v0
	s_delay_alu instid0(VALU_DEP_1) | instskip(SKIP_1) | instid1(VALU_DEP_1)
	v_add3_u32 v8, s18, v43, v44
	s_waitcnt lgkmcnt(0)
	v_cmpx_gt_i32_e64 s16, v8
	s_cbranch_execz .LBB293_23
; %bb.1:
	s_clause 0x1
	s_load_b128 s[4:7], s[0:1], 0x0
	s_load_b64 s[12:13], s[0:1], 0x10
	s_waitcnt lgkmcnt(0)
	s_cmp_eq_u64 s[6:7], 0
	s_cbranch_scc1 .LBB293_3
; %bb.2:
	v_ashrrev_i32_e32 v2, 31, v8
	v_add_co_u32 v1, vcc_lo, s6, v8
	s_delay_alu instid0(VALU_DEP_2) | instskip(SKIP_3) | instid1(VALU_DEP_1)
	v_add_co_ci_u32_e32 v2, vcc_lo, s7, v2, vcc_lo
	global_load_u8 v1, v[1:2], off
	s_waitcnt vmcnt(0)
	v_and_b32_e32 v1, 1, v1
	v_cmp_eq_u32_e32 vcc_lo, 1, v1
	s_xor_b32 s2, vcc_lo, -1
	s_delay_alu instid0(SALU_CYCLE_1)
	s_or_not1_b32 s17, s2, exec_lo
	s_branch .LBB293_4
.LBB293_3:
	s_mov_b32 s17, -1
.LBB293_4:
	s_load_b64 s[14:15], s[0:1], 0x40
	v_dual_mov_b32 v10, 0 :: v_dual_and_b32 v9, 15, v0
	s_mov_b32 s2, exec_lo
	s_delay_alu instid0(VALU_DEP_1) | instskip(SKIP_2) | instid1(VALU_DEP_1)
	v_lshlrev_b32_e32 v22, 4, v9
	s_waitcnt lgkmcnt(0)
	v_mul_lo_u32 v1, v8, s15
	v_ashrrev_i32_e32 v2, 31, v1
	s_delay_alu instid0(VALU_DEP_1) | instskip(SKIP_1) | instid1(VALU_DEP_2)
	v_lshlrev_b64 v[0:1], 1, v[1:2]
	v_lshlrev_b32_e32 v2, 5, v9
	v_add_co_u32 v11, vcc_lo, s4, v0
	s_delay_alu instid0(VALU_DEP_3) | instskip(SKIP_1) | instid1(VALU_DEP_2)
	v_add_co_ci_u32_e32 v12, vcc_lo, s5, v1, vcc_lo
	s_load_b128 s[4:7], s[0:1], 0x30
	v_add_co_u32 v4, vcc_lo, v11, v2
	s_delay_alu instid0(VALU_DEP_2)
	v_add_co_ci_u32_e32 v5, vcc_lo, 0, v12, vcc_lo
	s_clause 0x1
	global_load_b128 v[0:3], v[4:5], off offset:16
	global_load_b128 v[4:7], v[4:5], off
	v_cmpx_gt_u32_e32 2, v9
	s_cbranch_execz .LBB293_6
; %bb.5:
	v_lshlrev_b32_e32 v13, 1, v9
	s_delay_alu instid0(VALU_DEP_1) | instskip(SKIP_4) | instid1(VALU_DEP_1)
	v_add_co_u32 v11, vcc_lo, v11, v13
	v_add_co_ci_u32_e32 v12, vcc_lo, 0, v12, vcc_lo
	global_load_u16 v11, v[11:12], off offset:512
	s_waitcnt vmcnt(0)
	v_cvt_f32_u32_e32 v11, v11
	v_mul_f32_e32 v12, 0xbfb8aa3b, v11
	v_cmp_nlt_f32_e32 vcc_lo, 0x42ce8ed0, v11
	s_delay_alu instid0(VALU_DEP_2) | instskip(SKIP_1) | instid1(VALU_DEP_1)
	v_fma_f32 v13, 0xbfb8aa3b, v11, -v12
	v_rndne_f32_e32 v14, v12
	v_dual_fmamk_f32 v13, v11, 0xb2a5705f, v13 :: v_dual_sub_f32 v12, v12, v14
	s_delay_alu instid0(VALU_DEP_1) | instskip(SKIP_1) | instid1(VALU_DEP_2)
	v_add_f32_e32 v12, v12, v13
	v_cvt_i32_f32_e32 v13, v14
	v_exp_f32_e32 v12, v12
	s_waitcnt_depctr 0xfff
	v_ldexp_f32 v12, v12, v13
	s_delay_alu instid0(VALU_DEP_1) | instskip(SKIP_1) | instid1(VALU_DEP_2)
	v_cndmask_b32_e32 v12, 0, v12, vcc_lo
	v_cmp_ngt_f32_e32 vcc_lo, 0xc2b17218, v11
	v_cndmask_b32_e32 v11, 0x7f800000, v12, vcc_lo
	s_delay_alu instid0(VALU_DEP_1) | instskip(NEXT) | instid1(VALU_DEP_1)
	v_add_f32_e32 v13, 1.0, v11
	v_div_scale_f32 v12, null, v13, v13, 1.0
	v_div_scale_f32 v15, vcc_lo, 1.0, v13, 1.0
	s_delay_alu instid0(VALU_DEP_2) | instskip(SKIP_2) | instid1(VALU_DEP_1)
	v_rcp_f32_e32 v14, v12
	s_waitcnt_depctr 0xfff
	v_fma_f32 v11, -v12, v14, 1.0
	v_fmac_f32_e32 v14, v11, v14
	s_waitcnt lgkmcnt(0)
	v_mul_lo_u32 v11, v8, s7
	s_delay_alu instid0(VALU_DEP_2) | instskip(NEXT) | instid1(VALU_DEP_2)
	v_mul_f32_e32 v16, v15, v14
	v_add3_u32 v11, v11, s4, v9
	s_delay_alu instid0(VALU_DEP_2) | instskip(NEXT) | instid1(VALU_DEP_1)
	v_fma_f32 v17, -v12, v16, v15
	v_fmac_f32_e32 v16, v17, v14
	s_delay_alu instid0(VALU_DEP_1) | instskip(NEXT) | instid1(VALU_DEP_4)
	v_fma_f32 v15, -v12, v16, v15
	v_ashrrev_i32_e32 v12, 31, v11
	s_delay_alu instid0(VALU_DEP_2) | instskip(NEXT) | instid1(VALU_DEP_2)
	v_div_fmas_f32 v14, v15, v14, v16
	v_lshlrev_b64 v[11:12], 2, v[11:12]
	s_delay_alu instid0(VALU_DEP_2) | instskip(NEXT) | instid1(VALU_DEP_2)
	v_div_fixup_f32 v13, v14, v13, 1.0
	v_add_co_u32 v11, vcc_lo, s12, v11
	s_delay_alu instid0(VALU_DEP_3)
	v_add_co_ci_u32_e32 v12, vcc_lo, s13, v12, vcc_lo
	global_store_b32 v[11:12], v13, off
.LBB293_6:
	s_or_b32 exec_lo, exec_lo, s2
	v_or_b32_e32 v29, 2, v22
	s_waitcnt vmcnt(0)
	v_and_b32_e32 v11, 0xffff, v4
	v_lshrrev_b32_e32 v4, 16, v4
	v_or_b32_e32 v28, 1, v22
	v_or_b32_e32 v30, 3, v22
	;; [unrolled: 1-line block ×3, first 2 shown]
	v_cvt_f32_u32_e32 v25, v11
	v_cvt_f32_u32_e32 v23, v4
	v_or_b32_e32 v32, 5, v22
	v_or_b32_e32 v33, 6, v22
	;; [unrolled: 1-line block ×4, first 2 shown]
	v_cmp_lt_f32_e32 vcc_lo, v25, v23
	v_and_b32_e32 v4, 0xffff, v5
	v_lshrrev_b32_e32 v5, 16, v5
	v_or_b32_e32 v36, 9, v22
	v_or_b32_e32 v37, 10, v22
	v_cndmask_b32_e32 v11, v25, v23, vcc_lo
	v_cvt_f32_u32_e32 v27, v4
	v_cndmask_b32_e32 v4, v22, v28, vcc_lo
	v_cvt_f32_u32_e32 v26, v5
	v_or_b32_e32 v38, 11, v22
	v_or_b32_e32 v39, 12, v22
	v_cmp_lt_f32_e32 vcc_lo, v11, v27
	v_or_b32_e32 v40, 13, v22
	v_or_b32_e32 v41, 14, v22
	;; [unrolled: 1-line block ×3, first 2 shown]
	v_dual_cndmask_b32 v5, v11, v27 :: v_dual_cndmask_b32 v4, v4, v29
	s_delay_alu instid0(VALU_DEP_1) | instskip(SKIP_1) | instid1(VALU_DEP_3)
	v_cmp_lt_f32_e32 vcc_lo, v5, v26
	v_cndmask_b32_e32 v5, v5, v26, vcc_lo
	v_cndmask_b32_e32 v4, v4, v30, vcc_lo
	v_and_b32_e32 v11, 0xffff, v6
	v_lshrrev_b32_e32 v6, 16, v6
	s_delay_alu instid0(VALU_DEP_2) | instskip(NEXT) | instid1(VALU_DEP_2)
	v_cvt_f32_u32_e32 v24, v11
	v_cvt_f32_u32_e32 v21, v6
	v_and_b32_e32 v6, 0xffff, v7
	s_delay_alu instid0(VALU_DEP_3) | instskip(NEXT) | instid1(VALU_DEP_2)
	v_cmp_lt_f32_e32 vcc_lo, v5, v24
	v_cvt_f32_u32_e32 v20, v6
	v_lshrrev_b32_e32 v6, 16, v7
	v_dual_cndmask_b32 v5, v5, v24 :: v_dual_cndmask_b32 v4, v4, v31
	s_delay_alu instid0(VALU_DEP_2) | instskip(NEXT) | instid1(VALU_DEP_2)
	v_cvt_f32_u32_e32 v19, v6
	v_cmp_lt_f32_e32 vcc_lo, v5, v21
	s_delay_alu instid0(VALU_DEP_3) | instskip(NEXT) | instid1(VALU_DEP_1)
	v_dual_cndmask_b32 v4, v4, v32 :: v_dual_cndmask_b32 v5, v5, v21
	v_cmp_lt_f32_e32 vcc_lo, v5, v20
	s_delay_alu instid0(VALU_DEP_2) | instskip(NEXT) | instid1(VALU_DEP_1)
	v_dual_cndmask_b32 v4, v4, v33 :: v_dual_cndmask_b32 v5, v5, v20
	v_cmp_lt_f32_e32 vcc_lo, v5, v19
	v_and_b32_e32 v6, 0xffff, v0
	v_lshrrev_b32_e32 v0, 16, v0
	v_cndmask_b32_e32 v5, v5, v19, vcc_lo
	s_delay_alu instid0(VALU_DEP_3) | instskip(SKIP_1) | instid1(VALU_DEP_4)
	v_cvt_f32_u32_e32 v18, v6
	v_cndmask_b32_e32 v4, v4, v34, vcc_lo
	v_cvt_f32_u32_e32 v17, v0
	s_delay_alu instid0(VALU_DEP_3) | instskip(NEXT) | instid1(VALU_DEP_3)
	v_cmp_lt_f32_e32 vcc_lo, v5, v18
	v_cndmask_b32_e32 v0, v4, v35, vcc_lo
	v_dual_cndmask_b32 v4, v5, v18 :: v_dual_and_b32 v5, 0xffff, v1
	v_lshrrev_b32_e32 v1, 16, v1
	s_delay_alu instid0(VALU_DEP_2) | instskip(NEXT) | instid1(VALU_DEP_3)
	v_cmp_lt_f32_e32 vcc_lo, v4, v17
	v_cvt_f32_u32_e32 v16, v5
	s_delay_alu instid0(VALU_DEP_3) | instskip(SKIP_2) | instid1(VALU_DEP_2)
	v_cvt_f32_u32_e32 v15, v1
	v_cndmask_b32_e32 v4, v4, v17, vcc_lo
	v_cndmask_b32_e32 v0, v0, v36, vcc_lo
	v_cmp_lt_f32_e32 vcc_lo, v4, v16
	v_dual_cndmask_b32 v1, v4, v16 :: v_dual_and_b32 v4, 0xffff, v2
	v_lshrrev_b32_e32 v2, 16, v2
	s_delay_alu instid0(VALU_DEP_2) | instskip(NEXT) | instid1(VALU_DEP_2)
	v_cvt_f32_u32_e32 v13, v4
	v_cvt_f32_u32_e32 v12, v2
	v_and_b32_e32 v2, 0xffff, v3
	s_delay_alu instid0(VALU_DEP_1) | instskip(SKIP_4) | instid1(VALU_DEP_2)
	v_cvt_f32_u32_e32 v11, v2
	v_cndmask_b32_e32 v0, v0, v37, vcc_lo
	v_cmp_lt_f32_e32 vcc_lo, v1, v15
	v_lshrrev_b32_e32 v2, 16, v3
	v_cndmask_b32_e32 v1, v1, v15, vcc_lo
	v_cvt_f32_u32_e32 v7, v2
	v_cndmask_b32_e32 v0, v0, v38, vcc_lo
	s_delay_alu instid0(VALU_DEP_3) | instskip(NEXT) | instid1(VALU_DEP_2)
	v_cmp_lt_f32_e32 vcc_lo, v1, v13
	v_dual_cndmask_b32 v1, v1, v13 :: v_dual_cndmask_b32 v0, v0, v39
	s_delay_alu instid0(VALU_DEP_1) | instskip(SKIP_1) | instid1(VALU_DEP_3)
	v_cmp_lt_f32_e32 vcc_lo, v1, v12
	v_cndmask_b32_e32 v1, v1, v12, vcc_lo
	v_cndmask_b32_e32 v0, v0, v40, vcc_lo
	s_delay_alu instid0(VALU_DEP_2) | instskip(NEXT) | instid1(VALU_DEP_2)
	v_cmp_lt_f32_e32 vcc_lo, v1, v11
	v_dual_cndmask_b32 v1, v1, v11 :: v_dual_cndmask_b32 v0, v0, v41
	s_delay_alu instid0(VALU_DEP_1) | instskip(NEXT) | instid1(VALU_DEP_2)
	v_cmp_lt_f32_e32 vcc_lo, v1, v7
	v_dual_cndmask_b32 v0, v0, v42 :: v_dual_cndmask_b32 v1, v1, v7
	s_delay_alu instid0(VALU_DEP_1) | instskip(NEXT) | instid1(VALU_DEP_2)
	v_mov_b32_dpp v2, v0 quad_perm:[1,0,3,2] row_mask:0xf bank_mask:0xf
	v_mov_b32_dpp v3, v1 quad_perm:[1,0,3,2] row_mask:0xf bank_mask:0xf
	s_delay_alu instid0(VALU_DEP_2) | instskip(NEXT) | instid1(VALU_DEP_2)
	v_cmp_lt_i32_e32 vcc_lo, v2, v0
	v_cmp_eq_f32_e64 s2, v1, v3
	v_cmp_lt_f32_e64 s3, v1, v3
	s_delay_alu instid0(VALU_DEP_2)
	s_and_b32 s2, s2, vcc_lo
	s_delay_alu instid0(VALU_DEP_1) | instid1(SALU_CYCLE_1)
	s_or_b32 vcc_lo, s3, s2
	v_dual_cndmask_b32 v1, v1, v3 :: v_dual_cndmask_b32 v0, v0, v2
	s_delay_alu instid0(VALU_DEP_1) | instskip(NEXT) | instid1(VALU_DEP_2)
	v_mov_b32_dpp v2, v1 quad_perm:[2,3,0,1] row_mask:0xf bank_mask:0xf
	v_mov_b32_dpp v3, v0 quad_perm:[2,3,0,1] row_mask:0xf bank_mask:0xf
	s_delay_alu instid0(VALU_DEP_2) | instskip(NEXT) | instid1(VALU_DEP_2)
	v_cmp_eq_f32_e32 vcc_lo, v1, v2
	v_cmp_lt_i32_e64 s2, v3, v0
	v_cmp_lt_f32_e64 s3, v1, v2
	s_delay_alu instid0(VALU_DEP_2)
	s_and_b32 s2, vcc_lo, s2
	s_delay_alu instid0(VALU_DEP_1) | instid1(SALU_CYCLE_1)
	s_or_b32 vcc_lo, s3, s2
	v_dual_cndmask_b32 v1, v1, v2 :: v_dual_cndmask_b32 v0, v0, v3
	s_delay_alu instid0(VALU_DEP_1) | instskip(NEXT) | instid1(VALU_DEP_2)
	v_mov_b32_dpp v2, v1 row_half_mirror row_mask:0xf bank_mask:0xf
	v_mov_b32_dpp v3, v0 row_half_mirror row_mask:0xf bank_mask:0xf
	s_delay_alu instid0(VALU_DEP_2) | instskip(NEXT) | instid1(VALU_DEP_2)
	v_cmp_eq_f32_e32 vcc_lo, v1, v2
	v_cmp_lt_i32_e64 s2, v3, v0
	v_cmp_lt_f32_e64 s3, v1, v2
	s_delay_alu instid0(VALU_DEP_2)
	s_and_b32 s2, vcc_lo, s2
	s_delay_alu instid0(VALU_DEP_1) | instid1(SALU_CYCLE_1)
	s_or_b32 vcc_lo, s3, s2
	v_dual_cndmask_b32 v1, v1, v2 :: v_dual_cndmask_b32 v0, v0, v3
	s_delay_alu instid0(VALU_DEP_1) | instskip(NEXT) | instid1(VALU_DEP_2)
	v_mov_b32_dpp v3, v1 row_mirror row_mask:0xf bank_mask:0xf
	v_mov_b32_dpp v2, v0 row_mirror row_mask:0xf bank_mask:0xf
	s_delay_alu instid0(VALU_DEP_2) | instskip(NEXT) | instid1(VALU_DEP_2)
	v_cmp_eq_f32_e32 vcc_lo, v1, v3
	v_cmp_lt_i32_e64 s2, v2, v0
	v_cmp_lt_f32_e64 s3, v1, v3
	s_delay_alu instid0(VALU_DEP_2) | instskip(SKIP_1) | instid1(VALU_DEP_2)
	s_and_b32 s2, vcc_lo, s2
	v_cmp_eq_u32_e32 vcc_lo, 0, v9
	s_or_b32 s2, s3, s2
	s_waitcnt lgkmcnt(0)
	s_cmp_gt_i32 s4, 0
	v_cndmask_b32_e64 v14, v1, v3, s2
	s_cselect_b32 s3, -1, 0
	s_cmp_lt_i32 s4, 1
	s_cbranch_scc1 .LBB293_18
; %bb.7:
	s_load_b128 s[8:11], s[0:1], 0x20
	v_mul_lo_u32 v1, v8, s7
	v_mul_lo_u32 v3, v8, s14
	;; [unrolled: 1-line block ×3, first 2 shown]
	v_cndmask_b32_e64 v0, v0, v2, s2
	v_mov_b32_e32 v10, 0
	s_and_saveexec_b32 s2, vcc_lo
	s_cbranch_execz .LBB293_9
; %bb.8:
	v_sub_f32_e32 v10, v14, v14
	v_cmp_le_i32_e64 s0, s5, v0
	v_cmp_gt_i32_e64 s1, s6, v0
	v_subrev_nc_u32_e32 v51, s5, v0
	v_ashrrev_i32_e32 v6, 31, v5
	v_mul_f32_e32 v2, 0x3fb8aa3b, v10
	s_delay_alu instid0(VALU_DEP_4) | instskip(NEXT) | instid1(SALU_CYCLE_1)
	s_and_b32 s0, s0, s1
	s_and_b32 s0, s17, s0
	s_delay_alu instid0(VALU_DEP_1) | instskip(SKIP_2) | instid1(VALU_DEP_3)
	v_rndne_f32_e32 v47, v2
	v_fma_f32 v4, 0x3fb8aa3b, v10, -v2
	v_lshlrev_b64 v[49:50], 2, v[5:6]
	v_sub_f32_e32 v2, v2, v47
	s_delay_alu instid0(VALU_DEP_3) | instskip(NEXT) | instid1(VALU_DEP_1)
	v_fmamk_f32 v4, v10, 0x32a5705f, v4
	v_add_f32_e32 v4, v2, v4
	v_ashrrev_i32_e32 v2, 31, v1
	s_delay_alu instid0(VALU_DEP_2) | instskip(NEXT) | instid1(VALU_DEP_1)
	v_exp_f32_e32 v52, v4
	v_lshlrev_b64 v[45:46], 2, v[1:2]
	v_ashrrev_i32_e32 v4, 31, v3
	v_cvt_i32_f32_e32 v2, v47
	s_delay_alu instid0(VALU_DEP_2) | instskip(SKIP_2) | instid1(VALU_DEP_1)
	v_lshlrev_b64 v[47:48], 2, v[3:4]
	v_cndmask_b32_e64 v4, 0x100, v51, s0
	v_add_co_u32 v45, s0, s12, v45
	v_add_co_ci_u32_e64 v46, s0, s13, v46, s0
	s_delay_alu instid0(TRANS32_DEP_1) | instskip(SKIP_1) | instid1(VALU_DEP_1)
	v_ldexp_f32 v2, v52, v2
	v_cmp_ngt_f32_e64 s0, 0xc2ce8ed0, v10
	v_cndmask_b32_e64 v2, 0, v2, s0
	s_waitcnt lgkmcnt(0)
	v_add_co_u32 v47, s0, s8, v47
	s_delay_alu instid0(VALU_DEP_1) | instskip(SKIP_1) | instid1(VALU_DEP_1)
	v_add_co_ci_u32_e64 v48, s0, s9, v48, s0
	v_cmp_nlt_f32_e64 s0, 0x42b17218, v10
	v_cndmask_b32_e64 v10, 0x7f800000, v2, s0
	v_add_co_u32 v49, s0, s10, v49
	s_delay_alu instid0(VALU_DEP_1)
	v_add_co_ci_u32_e64 v50, s0, s11, v50, s0
	global_store_b32 v[47:48], v4, off
	global_store_b32 v[45:46], v10, off
	;; [unrolled: 1-line block ×3, first 2 shown]
.LBB293_9:
	s_or_b32 exec_lo, exec_lo, s2
	v_ashrrev_i32_e32 v4, 31, v0
	s_mov_b32 s1, exec_lo
	s_delay_alu instid0(VALU_DEP_1) | instskip(NEXT) | instid1(VALU_DEP_1)
	v_lshrrev_b32_e32 v2, 28, v4
	v_add_nc_u32_e32 v2, v0, v2
	s_delay_alu instid0(VALU_DEP_1) | instskip(NEXT) | instid1(VALU_DEP_1)
	v_ashrrev_i32_e32 v2, 4, v2
	v_lshrrev_b32_e32 v6, 28, v2
	s_delay_alu instid0(VALU_DEP_1) | instskip(NEXT) | instid1(VALU_DEP_1)
	v_add_nc_u32_e32 v6, v2, v6
	v_and_b32_e32 v6, -16, v6
	s_delay_alu instid0(VALU_DEP_1) | instskip(NEXT) | instid1(VALU_DEP_1)
	v_sub_nc_u32_e32 v6, v2, v6
	v_cmpx_eq_u32_e64 v9, v6
	s_cbranch_execz .LBB293_11
; %bb.10:
	v_lshrrev_b32_e32 v4, 24, v4
	v_lshlrev_b32_e32 v2, 4, v2
	s_delay_alu instid0(VALU_DEP_2) | instskip(NEXT) | instid1(VALU_DEP_2)
	v_add_nc_u32_e32 v4, v0, v4
	v_sub_nc_u32_e32 v0, v0, v2
	s_delay_alu instid0(VALU_DEP_2) | instskip(NEXT) | instid1(VALU_DEP_1)
	v_ashrrev_i32_e32 v2, 8, v4
	v_lshl_add_u32 v0, v2, 4, v0
	s_delay_alu instid0(VALU_DEP_1) | instskip(NEXT) | instid1(VALU_DEP_1)
	v_cmp_ne_u32_e64 s0, 15, v0
	v_cndmask_b32_e64 v7, 0xff800000, v7, s0
	v_cmp_ne_u32_e64 s0, 14, v0
	s_delay_alu instid0(VALU_DEP_1) | instskip(SKIP_1) | instid1(VALU_DEP_1)
	v_cndmask_b32_e64 v11, 0xff800000, v11, s0
	v_cmp_ne_u32_e64 s0, 13, v0
	v_cndmask_b32_e64 v12, 0xff800000, v12, s0
	v_cmp_ne_u32_e64 s0, 12, v0
	s_delay_alu instid0(VALU_DEP_1) | instskip(SKIP_1) | instid1(VALU_DEP_1)
	v_cndmask_b32_e64 v13, 0xff800000, v13, s0
	;; [unrolled: 5-line block ×7, first 2 shown]
	v_cmp_ne_u32_e64 s0, 1, v0
	v_cndmask_b32_e64 v23, 0xff800000, v23, s0
	v_cmp_ne_u32_e64 s0, 0, v0
	s_delay_alu instid0(VALU_DEP_1)
	v_cndmask_b32_e64 v25, 0xff800000, v25, s0
.LBB293_11:
	s_or_b32 exec_lo, exec_lo, s1
	s_cmp_eq_u32 s4, 1
	s_cbranch_scc1 .LBB293_18
; %bb.12:
	s_add_i32 s18, s18, s16
	v_add_nc_u32_e32 v0, 1, v5
	v_add3_u32 v6, s18, v44, v43
	v_add_nc_u32_e32 v2, 1, v3
	v_add_nc_u32_e32 v4, 1, v1
	s_add_i32 s14, s4, -1
	s_branch .LBB293_14
.LBB293_13:                             ;   in Loop: Header=BB293_14 Depth=1
	s_or_b32 exec_lo, exec_lo, s1
	v_add_nc_u32_e32 v6, s16, v6
	v_add_nc_u32_e32 v0, 1, v0
	;; [unrolled: 1-line block ×4, first 2 shown]
	s_add_i32 s14, s14, -1
	s_delay_alu instid0(SALU_CYCLE_1)
	s_cmp_eq_u32 s14, 0
	s_cbranch_scc1 .LBB293_18
.LBB293_14:                             ; =>This Inner Loop Header: Depth=1
	v_cmp_gt_f32_e64 s0, v23, v25
	s_delay_alu instid0(VALU_DEP_1) | instskip(SKIP_1) | instid1(VALU_DEP_2)
	v_cndmask_b32_e64 v3, v25, v23, s0
	v_cndmask_b32_e64 v1, v22, v28, s0
	v_cmp_gt_f32_e64 s0, v27, v3
	s_delay_alu instid0(VALU_DEP_1) | instskip(NEXT) | instid1(VALU_DEP_3)
	v_cndmask_b32_e64 v3, v3, v27, s0
	v_cndmask_b32_e64 v1, v1, v29, s0
	s_delay_alu instid0(VALU_DEP_2) | instskip(NEXT) | instid1(VALU_DEP_1)
	v_cmp_gt_f32_e64 s0, v26, v3
	v_cndmask_b32_e64 v3, v3, v26, s0
	s_delay_alu instid0(VALU_DEP_3) | instskip(NEXT) | instid1(VALU_DEP_2)
	v_cndmask_b32_e64 v1, v1, v30, s0
	v_cmp_gt_f32_e64 s0, v24, v3
	s_delay_alu instid0(VALU_DEP_1) | instskip(NEXT) | instid1(VALU_DEP_3)
	v_cndmask_b32_e64 v3, v3, v24, s0
	v_cndmask_b32_e64 v1, v1, v31, s0
	s_delay_alu instid0(VALU_DEP_2) | instskip(NEXT) | instid1(VALU_DEP_1)
	v_cmp_gt_f32_e64 s0, v21, v3
	v_cndmask_b32_e64 v3, v3, v21, s0
	s_delay_alu instid0(VALU_DEP_3) | instskip(NEXT) | instid1(VALU_DEP_2)
	;; [unrolled: 9-line block ×6, first 2 shown]
	v_cndmask_b32_e64 v1, v1, v40, s0
	v_cmp_gt_f32_e64 s0, v11, v3
	s_delay_alu instid0(VALU_DEP_1) | instskip(NEXT) | instid1(VALU_DEP_3)
	v_cndmask_b32_e64 v3, v3, v11, s0
	v_cndmask_b32_e64 v1, v1, v41, s0
	s_delay_alu instid0(VALU_DEP_2) | instskip(NEXT) | instid1(VALU_DEP_1)
	v_cmp_gt_f32_e64 s0, v7, v3
	v_cndmask_b32_e64 v1, v1, v42, s0
	v_cndmask_b32_e64 v3, v3, v7, s0
	s_delay_alu instid0(VALU_DEP_2) | instskip(NEXT) | instid1(VALU_DEP_2)
	v_mov_b32_dpp v5, v1 quad_perm:[1,0,3,2] row_mask:0xf bank_mask:0xf
	v_mov_b32_dpp v43, v3 quad_perm:[1,0,3,2] row_mask:0xf bank_mask:0xf
	s_delay_alu instid0(VALU_DEP_2) | instskip(NEXT) | instid1(VALU_DEP_2)
	v_cmp_lt_i32_e64 s0, v5, v1
	v_cmp_eq_f32_e64 s1, v3, v43
	v_cmp_lt_f32_e64 s2, v3, v43
	s_delay_alu instid0(VALU_DEP_2)
	s_and_b32 s0, s1, s0
	s_delay_alu instid0(VALU_DEP_1) | instid1(SALU_CYCLE_1)
	s_or_b32 s0, s2, s0
	s_delay_alu instid0(SALU_CYCLE_1) | instskip(SKIP_1) | instid1(VALU_DEP_2)
	v_cndmask_b32_e64 v3, v3, v43, s0
	v_cndmask_b32_e64 v1, v1, v5, s0
	v_mov_b32_dpp v5, v3 quad_perm:[2,3,0,1] row_mask:0xf bank_mask:0xf
	s_delay_alu instid0(VALU_DEP_2) | instskip(NEXT) | instid1(VALU_DEP_2)
	v_mov_b32_dpp v43, v1 quad_perm:[2,3,0,1] row_mask:0xf bank_mask:0xf
	v_cmp_eq_f32_e64 s0, v3, v5
	s_delay_alu instid0(VALU_DEP_2) | instskip(SKIP_1) | instid1(VALU_DEP_2)
	v_cmp_lt_i32_e64 s1, v43, v1
	v_cmp_lt_f32_e64 s2, v3, v5
	s_and_b32 s0, s0, s1
	s_delay_alu instid0(VALU_DEP_1) | instid1(SALU_CYCLE_1)
	s_or_b32 s0, s2, s0
	s_delay_alu instid0(SALU_CYCLE_1) | instskip(SKIP_1) | instid1(VALU_DEP_2)
	v_cndmask_b32_e64 v3, v3, v5, s0
	v_cndmask_b32_e64 v5, v1, v43, s0
	v_mov_b32_dpp v1, v3 row_half_mirror row_mask:0xf bank_mask:0xf
	s_delay_alu instid0(VALU_DEP_2) | instskip(NEXT) | instid1(VALU_DEP_2)
	v_mov_b32_dpp v43, v5 row_half_mirror row_mask:0xf bank_mask:0xf
	v_cmp_eq_f32_e64 s0, v3, v1
	s_delay_alu instid0(VALU_DEP_2) | instskip(SKIP_1) | instid1(VALU_DEP_2)
	v_cmp_lt_i32_e64 s1, v43, v5
	v_cmp_lt_f32_e64 s2, v3, v1
	s_and_b32 s0, s0, s1
	s_delay_alu instid0(VALU_DEP_1) | instid1(SALU_CYCLE_1)
	s_or_b32 s0, s2, s0
	s_delay_alu instid0(SALU_CYCLE_1) | instskip(SKIP_1) | instid1(VALU_DEP_2)
	v_cndmask_b32_e64 v1, v3, v1, s0
	v_cndmask_b32_e64 v5, v5, v43, s0
	v_mov_b32_dpp v3, v1 row_mirror row_mask:0xf bank_mask:0xf
	s_delay_alu instid0(VALU_DEP_2) | instskip(NEXT) | instid1(VALU_DEP_2)
	v_mov_b32_dpp v43, v5 row_mirror row_mask:0xf bank_mask:0xf
	v_cmp_eq_f32_e64 s0, v1, v3
	s_delay_alu instid0(VALU_DEP_2) | instskip(SKIP_1) | instid1(VALU_DEP_2)
	v_cmp_lt_i32_e64 s1, v43, v5
	v_cmp_lt_f32_e64 s2, v1, v3
	s_and_b32 s0, s0, s1
	s_delay_alu instid0(VALU_DEP_1) | instid1(SALU_CYCLE_1)
	s_or_b32 s0, s2, s0
	s_delay_alu instid0(SALU_CYCLE_1)
	v_cndmask_b32_e64 v43, v5, v43, s0
	s_and_saveexec_b32 s2, vcc_lo
	s_cbranch_execz .LBB293_16
; %bb.15:                               ;   in Loop: Header=BB293_14 Depth=1
	v_cndmask_b32_e64 v1, v1, v3, s0
	s_delay_alu instid0(VALU_DEP_2) | instskip(SKIP_4) | instid1(VALU_DEP_4)
	v_cmp_le_i32_e64 s0, s5, v43
	v_cmp_gt_i32_e64 s1, s6, v43
	v_ashrrev_i32_e32 v5, 31, v4
	v_subrev_nc_u32_e32 v51, s5, v43
	v_sub_f32_e32 v50, v1, v14
	s_and_b32 s0, s0, s1
	s_delay_alu instid0(SALU_CYCLE_1) | instskip(NEXT) | instid1(VALU_DEP_1)
	s_and_b32 s0, s17, s0
	v_mul_f32_e32 v1, 0x3fb8aa3b, v50
	s_delay_alu instid0(VALU_DEP_1) | instskip(SKIP_1) | instid1(VALU_DEP_2)
	v_fma_f32 v3, 0x3fb8aa3b, v50, -v1
	v_rndne_f32_e32 v44, v1
	v_fmac_f32_e32 v3, 0x32a5705f, v50
	s_delay_alu instid0(VALU_DEP_2) | instskip(SKIP_2) | instid1(VALU_DEP_3)
	v_sub_f32_e32 v1, v1, v44
	v_cvt_i32_f32_e32 v49, v44
	v_lshlrev_b64 v[44:45], 2, v[4:5]
	v_add_f32_e32 v1, v1, v3
	v_ashrrev_i32_e32 v3, 31, v2
	s_delay_alu instid0(VALU_DEP_2) | instskip(SKIP_1) | instid1(VALU_DEP_2)
	v_exp_f32_e32 v48, v1
	v_ashrrev_i32_e32 v1, 31, v0
	v_lshlrev_b64 v[46:47], 2, v[2:3]
	s_waitcnt_depctr 0xfff
	v_ldexp_f32 v3, v48, v49
	v_lshlrev_b64 v[48:49], 2, v[0:1]
	v_cndmask_b32_e64 v1, 0x100, v51, s0
	v_cmp_ngt_f32_e64 s0, 0xc2ce8ed0, v50
	s_delay_alu instid0(VALU_DEP_1) | instskip(SKIP_1) | instid1(VALU_DEP_1)
	v_cndmask_b32_e64 v3, 0, v3, s0
	v_add_co_u32 v44, s0, s12, v44
	v_add_co_ci_u32_e64 v45, s0, s13, v45, s0
	v_cmp_nlt_f32_e64 s0, 0x42b17218, v50
	s_delay_alu instid0(VALU_DEP_1) | instskip(SKIP_2) | instid1(VALU_DEP_1)
	v_cndmask_b32_e64 v3, 0x7f800000, v3, s0
	s_waitcnt lgkmcnt(0)
	v_add_co_u32 v46, s0, s8, v46
	v_add_co_ci_u32_e64 v47, s0, s9, v47, s0
	s_delay_alu instid0(VALU_DEP_3) | instskip(SKIP_1) | instid1(VALU_DEP_1)
	v_add_f32_e32 v10, v10, v3
	v_add_co_u32 v48, s0, s10, v48
	v_add_co_ci_u32_e64 v49, s0, s11, v49, s0
	global_store_b32 v[44:45], v3, off
	global_store_b32 v[46:47], v1, off
	;; [unrolled: 1-line block ×3, first 2 shown]
.LBB293_16:                             ;   in Loop: Header=BB293_14 Depth=1
	s_or_b32 exec_lo, exec_lo, s2
	s_delay_alu instid0(VALU_DEP_1) | instskip(SKIP_1) | instid1(VALU_DEP_1)
	v_ashrrev_i32_e32 v3, 31, v43
	s_mov_b32 s1, exec_lo
	v_lshrrev_b32_e32 v1, 28, v3
	s_delay_alu instid0(VALU_DEP_1) | instskip(NEXT) | instid1(VALU_DEP_1)
	v_add_nc_u32_e32 v1, v43, v1
	v_ashrrev_i32_e32 v1, 4, v1
	s_delay_alu instid0(VALU_DEP_1) | instskip(NEXT) | instid1(VALU_DEP_1)
	v_lshrrev_b32_e32 v5, 28, v1
	v_add_nc_u32_e32 v5, v1, v5
	s_delay_alu instid0(VALU_DEP_1) | instskip(NEXT) | instid1(VALU_DEP_1)
	v_and_b32_e32 v5, -16, v5
	v_sub_nc_u32_e32 v5, v1, v5
	s_delay_alu instid0(VALU_DEP_1)
	v_cmpx_eq_u32_e64 v9, v5
	s_cbranch_execz .LBB293_13
; %bb.17:                               ;   in Loop: Header=BB293_14 Depth=1
	v_lshrrev_b32_e32 v3, 24, v3
	v_lshlrev_b32_e32 v1, 4, v1
	s_delay_alu instid0(VALU_DEP_2) | instskip(NEXT) | instid1(VALU_DEP_2)
	v_add_nc_u32_e32 v3, v43, v3
	v_sub_nc_u32_e32 v1, v43, v1
	s_delay_alu instid0(VALU_DEP_2) | instskip(NEXT) | instid1(VALU_DEP_1)
	v_ashrrev_i32_e32 v3, 8, v3
	v_lshl_add_u32 v1, v3, 4, v1
	s_delay_alu instid0(VALU_DEP_1) | instskip(NEXT) | instid1(VALU_DEP_1)
	v_cmp_ne_u32_e64 s0, 15, v1
	v_cndmask_b32_e64 v7, 0xff800000, v7, s0
	v_cmp_ne_u32_e64 s0, 14, v1
	s_delay_alu instid0(VALU_DEP_1) | instskip(SKIP_1) | instid1(VALU_DEP_1)
	v_cndmask_b32_e64 v11, 0xff800000, v11, s0
	v_cmp_ne_u32_e64 s0, 13, v1
	v_cndmask_b32_e64 v12, 0xff800000, v12, s0
	v_cmp_ne_u32_e64 s0, 12, v1
	s_delay_alu instid0(VALU_DEP_1) | instskip(SKIP_1) | instid1(VALU_DEP_1)
	v_cndmask_b32_e64 v13, 0xff800000, v13, s0
	;; [unrolled: 5-line block ×7, first 2 shown]
	v_cmp_ne_u32_e64 s0, 1, v1
	v_cndmask_b32_e64 v23, 0xff800000, v23, s0
	v_cmp_ne_u32_e64 s0, 0, v1
	s_delay_alu instid0(VALU_DEP_1)
	v_cndmask_b32_e64 v25, 0xff800000, v25, s0
	s_branch .LBB293_13
.LBB293_18:
	s_delay_alu instid0(VALU_DEP_1)
	v_sub_f32_e32 v3, v27, v14
	v_sub_f32_e32 v5, v26, v14
	v_sub_f32_e32 v0, v25, v14
	v_sub_f32_e32 v20, v20, v14
	v_sub_f32_e32 v7, v7, v14
	v_sub_f32_e32 v21, v21, v14
	v_mul_f32_e32 v27, 0x3fb8aa3b, v5
	v_dual_sub_f32 v1, v23, v14 :: v_dual_mul_f32 v2, 0x3fb8aa3b, v0
	v_cmp_ngt_f32_e32 vcc_lo, 0xc2ce8ed0, v0
	v_sub_f32_e32 v19, v19, v14
	s_delay_alu instid0(VALU_DEP_4) | instskip(NEXT) | instid1(VALU_DEP_4)
	v_rndne_f32_e32 v30, v27
	v_mul_f32_e32 v4, 0x3fb8aa3b, v1
	v_fma_f32 v22, 0x3fb8aa3b, v0, -v2
	v_rndne_f32_e32 v23, v2
	v_mul_f32_e32 v26, 0x3fb8aa3b, v3
	v_fma_f32 v29, 0x3fb8aa3b, v5, -v27
	v_sub_f32_e32 v6, v24, v14
	v_fma_f32 v24, 0x3fb8aa3b, v1, -v4
	v_rndne_f32_e32 v25, v4
	s_delay_alu instid0(VALU_DEP_4) | instskip(SKIP_1) | instid1(VALU_DEP_4)
	v_dual_fmac_f32 v22, 0x32a5705f, v0 :: v_dual_fmac_f32 v29, 0x32a5705f, v5
	v_sub_f32_e32 v2, v2, v23
	v_fmac_f32_e32 v24, 0x32a5705f, v1
	s_delay_alu instid0(VALU_DEP_4)
	v_sub_f32_e32 v4, v4, v25
	v_cvt_i32_f32_e32 v23, v23
	v_cvt_i32_f32_e32 v25, v25
	v_add_f32_e32 v2, v2, v22
	v_fma_f32 v22, 0x3fb8aa3b, v3, -v26
	v_add_f32_e32 v4, v4, v24
	v_rndne_f32_e32 v24, v26
	v_sub_f32_e32 v15, v15, v14
	v_exp_f32_e32 v2, v2
	v_fmac_f32_e32 v22, 0x32a5705f, v3
	v_exp_f32_e32 v4, v4
	v_sub_f32_e32 v26, v26, v24
	v_cvt_i32_f32_e32 v24, v24
	v_sub_f32_e32 v11, v11, v14
	s_delay_alu instid0(VALU_DEP_3) | instskip(NEXT) | instid1(TRANS32_DEP_2)
	v_add_f32_e32 v22, v26, v22
	v_ldexp_f32 v2, v2, v23
	v_sub_f32_e32 v23, v27, v30
	s_delay_alu instid0(TRANS32_DEP_1) | instskip(NEXT) | instid1(VALU_DEP_4)
	v_ldexp_f32 v4, v4, v25
	v_exp_f32_e32 v22, v22
	s_delay_alu instid0(VALU_DEP_3) | instskip(SKIP_1) | instid1(VALU_DEP_3)
	v_cndmask_b32_e32 v2, 0, v2, vcc_lo
	v_cmp_ngt_f32_e32 vcc_lo, 0xc2ce8ed0, v1
	v_dual_add_f32 v23, v23, v29 :: v_dual_cndmask_b32 v4, 0, v4
	v_cmp_nlt_f32_e32 vcc_lo, 0x42b17218, v0
	s_delay_alu instid0(VALU_DEP_2) | instskip(SKIP_3) | instid1(TRANS32_DEP_2)
	v_exp_f32_e32 v23, v23
	v_cndmask_b32_e32 v0, 0x7f800000, v2, vcc_lo
	v_cmp_nlt_f32_e32 vcc_lo, 0x42b17218, v1
	v_cndmask_b32_e32 v1, 0x7f800000, v4, vcc_lo
	v_ldexp_f32 v4, v22, v24
	v_cmp_ngt_f32_e32 vcc_lo, 0xc2ce8ed0, v3
	s_delay_alu instid0(VALU_DEP_2)
	v_dual_add_f32 v0, v0, v1 :: v_dual_cndmask_b32 v1, 0, v4
	v_cvt_i32_f32_e32 v4, v30
	v_cmp_nlt_f32_e32 vcc_lo, 0x42b17218, v3
	s_delay_alu instid0(TRANS32_DEP_1) | instid1(VALU_DEP_2)
	v_ldexp_f32 v3, v23, v4
	s_delay_alu instid0(VALU_DEP_4) | instskip(SKIP_3) | instid1(VALU_DEP_4)
	v_cndmask_b32_e32 v1, 0x7f800000, v1, vcc_lo
	v_cmp_ngt_f32_e32 vcc_lo, 0xc2ce8ed0, v5
	v_mul_f32_e32 v28, 0x3fb8aa3b, v6
	v_mul_f32_e32 v4, 0x3fb8aa3b, v21
	v_dual_add_f32 v0, v0, v1 :: v_dual_cndmask_b32 v1, 0, v3
	s_delay_alu instid0(VALU_DEP_3) | instskip(SKIP_1) | instid1(VALU_DEP_4)
	v_fma_f32 v2, 0x3fb8aa3b, v6, -v28
	v_rndne_f32_e32 v22, v28
	v_fma_f32 v3, 0x3fb8aa3b, v21, -v4
	v_rndne_f32_e32 v23, v4
	v_cmp_nlt_f32_e32 vcc_lo, 0x42b17218, v5
	v_fmac_f32_e32 v2, 0x32a5705f, v6
	v_sub_f32_e32 v24, v28, v22
	v_cvt_i32_f32_e32 v5, v22
	v_fmac_f32_e32 v3, 0x32a5705f, v21
	v_dual_cndmask_b32 v1, 0x7f800000, v1 :: v_dual_sub_f32 v4, v4, v23
	s_delay_alu instid0(VALU_DEP_4) | instskip(SKIP_1) | instid1(VALU_DEP_3)
	v_add_f32_e32 v2, v24, v2
	v_cmp_ngt_f32_e32 vcc_lo, 0xc2ce8ed0, v6
	v_add_f32_e32 v0, v0, v1
	s_delay_alu instid0(VALU_DEP_3) | instskip(SKIP_2) | instid1(VALU_DEP_1)
	v_exp_f32_e32 v2, v2
	s_waitcnt_depctr 0xfff
	v_ldexp_f32 v1, v2, v5
	v_dual_add_f32 v2, v4, v3 :: v_dual_cndmask_b32 v1, 0, v1
	s_delay_alu instid0(VALU_DEP_1) | instskip(SKIP_2) | instid1(VALU_DEP_3)
	v_exp_f32_e32 v2, v2
	v_cmp_nlt_f32_e32 vcc_lo, 0x42b17218, v6
	v_cvt_i32_f32_e32 v6, v23
	v_cndmask_b32_e32 v1, 0x7f800000, v1, vcc_lo
	v_cmp_ngt_f32_e32 vcc_lo, 0xc2ce8ed0, v21
	s_delay_alu instid0(VALU_DEP_2) | instskip(SKIP_2) | instid1(VALU_DEP_1)
	v_add_f32_e32 v0, v0, v1
	s_waitcnt_depctr 0xfff
	v_ldexp_f32 v1, v2, v6
	v_cndmask_b32_e32 v1, 0, v1, vcc_lo
	v_cmp_nlt_f32_e32 vcc_lo, 0x42b17218, v21
	v_mul_f32_e32 v21, 0x3fb8aa3b, v15
	s_delay_alu instid0(VALU_DEP_3) | instskip(SKIP_2) | instid1(VALU_DEP_3)
	v_cndmask_b32_e32 v1, 0x7f800000, v1, vcc_lo
	v_mul_f32_e32 v22, 0x3fb8aa3b, v20
	v_cmp_ngt_f32_e32 vcc_lo, 0xc2ce8ed0, v20
	v_add_f32_e32 v0, v0, v1
	s_delay_alu instid0(VALU_DEP_3) | instskip(SKIP_1) | instid1(VALU_DEP_2)
	v_fma_f32 v3, 0x3fb8aa3b, v20, -v22
	v_rndne_f32_e32 v4, v22
	v_fmac_f32_e32 v3, 0x32a5705f, v20
	s_delay_alu instid0(VALU_DEP_2) | instskip(SKIP_1) | instid1(VALU_DEP_2)
	v_sub_f32_e32 v5, v22, v4
	v_cvt_i32_f32_e32 v4, v4
	v_add_f32_e32 v3, v5, v3
	v_mul_f32_e32 v5, 0x3fb8aa3b, v19
	s_delay_alu instid0(VALU_DEP_2) | instskip(NEXT) | instid1(VALU_DEP_1)
	v_exp_f32_e32 v2, v3
	v_fma_f32 v3, 0x3fb8aa3b, v19, -v5
	v_rndne_f32_e32 v6, v5
	s_delay_alu instid0(VALU_DEP_2) | instskip(NEXT) | instid1(VALU_DEP_2)
	v_fmac_f32_e32 v3, 0x32a5705f, v19
	v_sub_f32_e32 v5, v5, v6
	v_cvt_i32_f32_e32 v6, v6
	s_waitcnt_depctr 0xfff
	v_ldexp_f32 v2, v2, v4
	v_add_f32_e32 v3, v5, v3
	v_sub_f32_e32 v5, v17, v14
	v_sub_f32_e32 v16, v16, v14
	s_delay_alu instid0(VALU_DEP_4)
	v_cndmask_b32_e32 v1, 0, v2, vcc_lo
	v_cmp_nlt_f32_e32 vcc_lo, 0x42b17218, v20
	v_sub_f32_e32 v4, v18, v14
	v_exp_f32_e32 v2, v3
	v_mul_f32_e32 v20, 0x3fb8aa3b, v5
	v_cndmask_b32_e32 v1, 0x7f800000, v1, vcc_lo
	s_delay_alu instid0(VALU_DEP_3) | instskip(SKIP_1) | instid1(VALU_DEP_3)
	v_mul_f32_e32 v3, 0x3fb8aa3b, v4
	v_cmp_ngt_f32_e32 vcc_lo, 0xc2ce8ed0, v19
	v_add_f32_e32 v0, v0, v1
	s_delay_alu instid0(VALU_DEP_3) | instskip(SKIP_1) | instid1(TRANS32_DEP_1)
	v_fma_f32 v17, 0x3fb8aa3b, v4, -v3
	v_rndne_f32_e32 v18, v3
	v_ldexp_f32 v1, v2, v6
	v_rndne_f32_e32 v6, v20
	s_delay_alu instid0(VALU_DEP_3) | instskip(NEXT) | instid1(VALU_DEP_3)
	v_dual_fmac_f32 v17, 0x32a5705f, v4 :: v_dual_sub_f32 v2, v3, v18
	v_cndmask_b32_e32 v1, 0, v1, vcc_lo
	v_fma_f32 v3, 0x3fb8aa3b, v5, -v20
	v_cmp_nlt_f32_e32 vcc_lo, 0x42b17218, v19
	v_cvt_i32_f32_e32 v18, v18
	v_dual_add_f32 v2, v2, v17 :: v_dual_sub_f32 v17, v20, v6
	s_delay_alu instid0(VALU_DEP_4) | instskip(SKIP_1) | instid1(VALU_DEP_3)
	v_fmac_f32_e32 v3, 0x32a5705f, v5
	v_mul_f32_e32 v20, 0x3fb8aa3b, v16
	v_exp_f32_e32 v2, v2
	s_delay_alu instid0(VALU_DEP_2) | instskip(NEXT) | instid1(VALU_DEP_2)
	v_add_f32_e32 v3, v17, v3
	v_fma_f32 v17, 0x3fb8aa3b, v16, -v20
	v_rndne_f32_e32 v19, v20
	v_cndmask_b32_e32 v1, 0x7f800000, v1, vcc_lo
	v_cmp_ngt_f32_e32 vcc_lo, 0xc2ce8ed0, v4
	v_exp_f32_e32 v3, v3
	s_delay_alu instid0(VALU_DEP_3) | instskip(NEXT) | instid1(VALU_DEP_3)
	v_dual_fmac_f32 v17, 0x32a5705f, v16 :: v_dual_sub_f32 v20, v20, v19
	v_add_f32_e32 v0, v0, v1
	s_delay_alu instid0(TRANS32_DEP_2)
	v_ldexp_f32 v1, v2, v18
	v_cvt_i32_f32_e32 v2, v6
	v_rndne_f32_e32 v18, v21
	v_add_f32_e32 v6, v20, v17
	v_fma_f32 v17, 0x3fb8aa3b, v15, -v21
	v_cndmask_b32_e32 v1, 0, v1, vcc_lo
	s_delay_alu instid0(TRANS32_DEP_1)
	v_ldexp_f32 v2, v3, v2
	v_cmp_nlt_f32_e32 vcc_lo, 0x42b17218, v4
	v_exp_f32_e32 v3, v6
	v_sub_f32_e32 v6, v21, v18
	v_cvt_i32_f32_e32 v4, v19
	v_fmac_f32_e32 v17, 0x32a5705f, v15
	v_cndmask_b32_e32 v1, 0x7f800000, v1, vcc_lo
	v_cmp_ngt_f32_e32 vcc_lo, 0xc2ce8ed0, v5
	s_delay_alu instid0(VALU_DEP_2) | instskip(NEXT) | instid1(TRANS32_DEP_1)
	v_add_f32_e32 v0, v0, v1
	v_ldexp_f32 v1, v3, v4
	v_cndmask_b32_e32 v2, 0, v2, vcc_lo
	v_cmp_nlt_f32_e32 vcc_lo, 0x42b17218, v5
	v_dual_sub_f32 v4, v13, v14 :: v_dual_mul_f32 v13, 0x3fb8aa3b, v11
	s_delay_alu instid0(VALU_DEP_3) | instskip(SKIP_1) | instid1(VALU_DEP_3)
	v_cndmask_b32_e32 v2, 0x7f800000, v2, vcc_lo
	v_cmp_ngt_f32_e32 vcc_lo, 0xc2ce8ed0, v16
	v_mul_f32_e32 v5, 0x3fb8aa3b, v4
	v_cndmask_b32_e32 v1, 0, v1, vcc_lo
	v_cmp_nlt_f32_e32 vcc_lo, 0x42b17218, v16
	v_add_f32_e32 v0, v0, v2
	v_cvt_i32_f32_e32 v2, v18
	s_delay_alu instid0(VALU_DEP_4) | instskip(SKIP_1) | instid1(VALU_DEP_2)
	v_cndmask_b32_e32 v1, 0x7f800000, v1, vcc_lo
	v_cmp_ngt_f32_e32 vcc_lo, 0xc2ce8ed0, v15
	v_add_f32_e32 v0, v0, v1
	v_fma_f32 v1, 0x3fb8aa3b, v4, -v5
	s_delay_alu instid0(VALU_DEP_1) | instskip(NEXT) | instid1(VALU_DEP_1)
	v_dual_add_f32 v6, v6, v17 :: v_dual_fmac_f32 v1, 0x32a5705f, v4
	v_exp_f32_e32 v3, v6
	v_sub_f32_e32 v6, v12, v14
	v_fma_f32 v14, 0x3fb8aa3b, v11, -v13
	s_delay_alu instid0(VALU_DEP_1) | instskip(SKIP_3) | instid1(VALU_DEP_1)
	v_fmac_f32_e32 v14, 0x32a5705f, v11
	s_waitcnt_depctr 0xfff
	v_ldexp_f32 v2, v3, v2
	v_rndne_f32_e32 v3, v5
	v_dual_cndmask_b32 v2, 0, v2 :: v_dual_sub_f32 v5, v5, v3
	v_cmp_nlt_f32_e32 vcc_lo, 0x42b17218, v15
	v_cvt_i32_f32_e32 v3, v3
	v_rndne_f32_e32 v15, v13
	s_delay_alu instid0(VALU_DEP_4) | instskip(SKIP_1) | instid1(VALU_DEP_2)
	v_dual_add_f32 v1, v5, v1 :: v_dual_cndmask_b32 v2, 0x7f800000, v2
	v_cmp_ngt_f32_e32 vcc_lo, 0xc2ce8ed0, v4
	v_exp_f32_e32 v1, v1
	s_waitcnt_depctr 0xfff
	v_ldexp_f32 v1, v1, v3
	s_delay_alu instid0(VALU_DEP_1) | instskip(NEXT) | instid1(VALU_DEP_1)
	v_dual_mul_f32 v12, 0x3fb8aa3b, v6 :: v_dual_cndmask_b32 v1, 0, v1
	v_rndne_f32_e32 v5, v12
	v_cmp_nlt_f32_e32 vcc_lo, 0x42b17218, v4
	v_add_f32_e32 v0, v0, v2
	v_fma_f32 v2, 0x3fb8aa3b, v6, -v12
	v_cvt_i32_f32_e32 v4, v15
	v_sub_f32_e32 v12, v12, v5
	v_cndmask_b32_e32 v1, 0x7f800000, v1, vcc_lo
	v_cvt_i32_f32_e32 v5, v5
	v_fmac_f32_e32 v2, 0x32a5705f, v6
	s_delay_alu instid0(VALU_DEP_3) | instskip(NEXT) | instid1(VALU_DEP_2)
	v_add_f32_e32 v0, v0, v1
	v_add_f32_e32 v2, v12, v2
	v_sub_f32_e32 v12, v13, v15
	v_mul_f32_e32 v16, 0x3fb8aa3b, v7
	s_delay_alu instid0(VALU_DEP_3) | instskip(NEXT) | instid1(VALU_DEP_2)
	v_exp_f32_e32 v2, v2
	v_add_f32_e32 v3, v12, v14
	s_delay_alu instid0(VALU_DEP_2) | instskip(SKIP_1) | instid1(VALU_DEP_3)
	v_fma_f32 v13, 0x3fb8aa3b, v7, -v16
	v_rndne_f32_e32 v17, v16
	v_exp_f32_e32 v3, v3
	s_delay_alu instid0(VALU_DEP_1) | instskip(SKIP_1) | instid1(TRANS32_DEP_2)
	v_dual_fmac_f32 v13, 0x32a5705f, v7 :: v_dual_sub_f32 v12, v16, v17
	v_cmp_ngt_f32_e32 vcc_lo, 0xc2ce8ed0, v6
	v_ldexp_f32 v2, v2, v5
	s_delay_alu instid0(VALU_DEP_3) | instskip(NEXT) | instid1(VALU_DEP_2)
	v_add_f32_e32 v12, v12, v13
	v_cndmask_b32_e32 v2, 0, v2, vcc_lo
	v_cmp_nlt_f32_e32 vcc_lo, 0x42b17218, v6
	s_delay_alu instid0(TRANS32_DEP_1) | instskip(NEXT) | instid1(VALU_DEP_4)
	v_ldexp_f32 v1, v3, v4
	v_exp_f32_e32 v5, v12
	v_cvt_i32_f32_e32 v3, v17
	v_cndmask_b32_e32 v2, 0x7f800000, v2, vcc_lo
	v_cmp_ngt_f32_e32 vcc_lo, 0xc2ce8ed0, v11
	s_delay_alu instid0(VALU_DEP_2)
	v_dual_add_f32 v0, v0, v2 :: v_dual_cndmask_b32 v1, 0, v1
	v_cmp_nlt_f32_e32 vcc_lo, 0x42b17218, v11
	s_waitcnt_depctr 0xfff
	v_ldexp_f32 v3, v5, v3
	v_cndmask_b32_e32 v1, 0x7f800000, v1, vcc_lo
	v_cmp_ngt_f32_e32 vcc_lo, 0xc2ce8ed0, v7
	s_delay_alu instid0(VALU_DEP_2) | instskip(NEXT) | instid1(VALU_DEP_4)
	v_add_f32_e32 v0, v0, v1
	v_cndmask_b32_e32 v2, 0, v3, vcc_lo
	v_cmp_nlt_f32_e32 vcc_lo, 0x42b17218, v7
	s_delay_alu instid0(VALU_DEP_2) | instskip(SKIP_1) | instid1(VALU_DEP_2)
	v_cndmask_b32_e32 v1, 0x7f800000, v2, vcc_lo
	v_cmp_eq_u32_e32 vcc_lo, 0, v9
	v_add_f32_e32 v0, v0, v1
	s_delay_alu instid0(VALU_DEP_1) | instskip(NEXT) | instid1(VALU_DEP_1)
	v_mov_b32_dpp v1, v0 quad_perm:[1,0,3,2] row_mask:0xf bank_mask:0xf
	v_add_f32_e32 v0, v0, v1
	s_delay_alu instid0(VALU_DEP_1) | instskip(NEXT) | instid1(VALU_DEP_1)
	v_mov_b32_dpp v1, v0 quad_perm:[2,3,0,1] row_mask:0xf bank_mask:0xf
	v_add_f32_e32 v0, v0, v1
	s_delay_alu instid0(VALU_DEP_1) | instskip(NEXT) | instid1(VALU_DEP_1)
	v_mov_b32_dpp v1, v0 row_half_mirror row_mask:0xf bank_mask:0xf
	v_add_f32_e32 v0, v0, v1
	s_delay_alu instid0(VALU_DEP_1)
	v_mov_b32_dpp v1, v0 row_mirror row_mask:0xf bank_mask:0xf
	s_and_b32 exec_lo, exec_lo, vcc_lo
	s_cbranch_execz .LBB293_23
; %bb.19:
	s_delay_alu instid0(VALU_DEP_1) | instskip(NEXT) | instid1(VALU_DEP_1)
	v_add_f32_e32 v0, v0, v1
	v_add_f32_e32 v0, v10, v0
	s_delay_alu instid0(VALU_DEP_1)
	v_cmp_neq_f32_e32 vcc_lo, 0, v0
	s_and_b32 exec_lo, exec_lo, vcc_lo
	s_cbranch_execz .LBB293_23
; %bb.20:
	s_and_not1_b32 vcc_lo, exec_lo, s3
	s_cbranch_vccnz .LBB293_23
; %bb.21:
	v_div_scale_f32 v2, null, v0, v0, 1.0
	v_div_scale_f32 v4, vcc_lo, 1.0, v0, 1.0
	s_delay_alu instid0(VALU_DEP_2) | instskip(SKIP_2) | instid1(VALU_DEP_1)
	v_rcp_f32_e32 v3, v2
	s_waitcnt_depctr 0xfff
	v_fma_f32 v1, -v2, v3, 1.0
	v_fmac_f32_e32 v3, v1, v3
	v_mul_lo_u32 v1, v8, s7
	s_delay_alu instid0(VALU_DEP_2) | instskip(NEXT) | instid1(VALU_DEP_1)
	v_mul_f32_e32 v5, v4, v3
	v_fma_f32 v6, -v2, v5, v4
	s_delay_alu instid0(VALU_DEP_1) | instskip(NEXT) | instid1(VALU_DEP_1)
	v_fmac_f32_e32 v5, v6, v3
	v_fma_f32 v4, -v2, v5, v4
	v_ashrrev_i32_e32 v2, 31, v1
	s_delay_alu instid0(VALU_DEP_2) | instskip(NEXT) | instid1(VALU_DEP_2)
	v_div_fmas_f32 v5, v4, v3, v5
	v_lshlrev_b64 v[3:4], 2, v[1:2]
	s_delay_alu instid0(VALU_DEP_2) | instskip(NEXT) | instid1(VALU_DEP_2)
	v_div_fixup_f32 v2, v5, v0, 1.0
	v_add_co_u32 v0, vcc_lo, s12, v3
	s_delay_alu instid0(VALU_DEP_3)
	v_add_co_ci_u32_e32 v1, vcc_lo, s13, v4, vcc_lo
.LBB293_22:                             ; =>This Inner Loop Header: Depth=1
	global_load_b32 v3, v[0:1], off
	s_add_i32 s4, s4, -1
	s_delay_alu instid0(SALU_CYCLE_1)
	s_cmp_lg_u32 s4, 0
	s_waitcnt vmcnt(0)
	v_mul_f32_e32 v3, v2, v3
	global_store_b32 v[0:1], v3, off
	v_add_co_u32 v0, vcc_lo, v0, 4
	v_add_co_ci_u32_e32 v1, vcc_lo, 0, v1, vcc_lo
	s_cbranch_scc1 .LBB293_22
.LBB293_23:
	s_nop 0
	s_sendmsg sendmsg(MSG_DEALLOC_VGPRS)
	s_endpgm
	.section	.rodata,"a",@progbits
	.p2align	6, 0x0
	.amdhsa_kernel _ZN4vllm3moe17topkGatingSoftmaxItLi16ELi256ELi8ELi32ELb0ELi2ELNS0_23SharedExpertScoringFuncE1EEEvPKT_PKbPfiPiS9_iiiiii
		.amdhsa_group_segment_fixed_size 0
		.amdhsa_private_segment_fixed_size 0
		.amdhsa_kernarg_size 72
		.amdhsa_user_sgpr_count 15
		.amdhsa_user_sgpr_dispatch_ptr 0
		.amdhsa_user_sgpr_queue_ptr 0
		.amdhsa_user_sgpr_kernarg_segment_ptr 1
		.amdhsa_user_sgpr_dispatch_id 0
		.amdhsa_user_sgpr_private_segment_size 0
		.amdhsa_wavefront_size32 1
		.amdhsa_uses_dynamic_stack 0
		.amdhsa_enable_private_segment 0
		.amdhsa_system_sgpr_workgroup_id_x 1
		.amdhsa_system_sgpr_workgroup_id_y 0
		.amdhsa_system_sgpr_workgroup_id_z 0
		.amdhsa_system_sgpr_workgroup_info 0
		.amdhsa_system_vgpr_workitem_id 1
		.amdhsa_next_free_vgpr 53
		.amdhsa_next_free_sgpr 19
		.amdhsa_reserve_vcc 1
		.amdhsa_float_round_mode_32 0
		.amdhsa_float_round_mode_16_64 0
		.amdhsa_float_denorm_mode_32 3
		.amdhsa_float_denorm_mode_16_64 3
		.amdhsa_dx10_clamp 1
		.amdhsa_ieee_mode 1
		.amdhsa_fp16_overflow 0
		.amdhsa_workgroup_processor_mode 1
		.amdhsa_memory_ordered 1
		.amdhsa_forward_progress 0
		.amdhsa_shared_vgpr_count 0
		.amdhsa_exception_fp_ieee_invalid_op 0
		.amdhsa_exception_fp_denorm_src 0
		.amdhsa_exception_fp_ieee_div_zero 0
		.amdhsa_exception_fp_ieee_overflow 0
		.amdhsa_exception_fp_ieee_underflow 0
		.amdhsa_exception_fp_ieee_inexact 0
		.amdhsa_exception_int_div_zero 0
	.end_amdhsa_kernel
	.section	.text._ZN4vllm3moe17topkGatingSoftmaxItLi16ELi256ELi8ELi32ELb0ELi2ELNS0_23SharedExpertScoringFuncE1EEEvPKT_PKbPfiPiS9_iiiiii,"axG",@progbits,_ZN4vllm3moe17topkGatingSoftmaxItLi16ELi256ELi8ELi32ELb0ELi2ELNS0_23SharedExpertScoringFuncE1EEEvPKT_PKbPfiPiS9_iiiiii,comdat
.Lfunc_end293:
	.size	_ZN4vllm3moe17topkGatingSoftmaxItLi16ELi256ELi8ELi32ELb0ELi2ELNS0_23SharedExpertScoringFuncE1EEEvPKT_PKbPfiPiS9_iiiiii, .Lfunc_end293-_ZN4vllm3moe17topkGatingSoftmaxItLi16ELi256ELi8ELi32ELb0ELi2ELNS0_23SharedExpertScoringFuncE1EEEvPKT_PKbPfiPiS9_iiiiii
                                        ; -- End function
	.section	.AMDGPU.csdata,"",@progbits
; Kernel info:
; codeLenInByte = 5752
; NumSgprs: 21
; NumVgprs: 53
; ScratchSize: 0
; MemoryBound: 0
; FloatMode: 240
; IeeeMode: 1
; LDSByteSize: 0 bytes/workgroup (compile time only)
; SGPRBlocks: 2
; VGPRBlocks: 6
; NumSGPRsForWavesPerEU: 21
; NumVGPRsForWavesPerEU: 53
; Occupancy: 16
; WaveLimiterHint : 0
; COMPUTE_PGM_RSRC2:SCRATCH_EN: 0
; COMPUTE_PGM_RSRC2:USER_SGPR: 15
; COMPUTE_PGM_RSRC2:TRAP_HANDLER: 0
; COMPUTE_PGM_RSRC2:TGID_X_EN: 1
; COMPUTE_PGM_RSRC2:TGID_Y_EN: 0
; COMPUTE_PGM_RSRC2:TGID_Z_EN: 0
; COMPUTE_PGM_RSRC2:TIDIG_COMP_CNT: 1
	.section	.text._ZN4vllm3moe17topkGatingSoftmaxItLi16ELi256ELi8ELi32ELb1ELi4ELNS0_23SharedExpertScoringFuncE1EEEvPKT_PKbPfiPiS9_iiiiii,"axG",@progbits,_ZN4vllm3moe17topkGatingSoftmaxItLi16ELi256ELi8ELi32ELb1ELi4ELNS0_23SharedExpertScoringFuncE1EEEvPKT_PKbPfiPiS9_iiiiii,comdat
	.protected	_ZN4vllm3moe17topkGatingSoftmaxItLi16ELi256ELi8ELi32ELb1ELi4ELNS0_23SharedExpertScoringFuncE1EEEvPKT_PKbPfiPiS9_iiiiii ; -- Begin function _ZN4vllm3moe17topkGatingSoftmaxItLi16ELi256ELi8ELi32ELb1ELi4ELNS0_23SharedExpertScoringFuncE1EEEvPKT_PKbPfiPiS9_iiiiii
	.globl	_ZN4vllm3moe17topkGatingSoftmaxItLi16ELi256ELi8ELi32ELb1ELi4ELNS0_23SharedExpertScoringFuncE1EEEvPKT_PKbPfiPiS9_iiiiii
	.p2align	8
	.type	_ZN4vllm3moe17topkGatingSoftmaxItLi16ELi256ELi8ELi32ELb1ELi4ELNS0_23SharedExpertScoringFuncE1EEEvPKT_PKbPfiPiS9_iiiiii,@function
_ZN4vllm3moe17topkGatingSoftmaxItLi16ELi256ELi8ELi32ELb1ELi4ELNS0_23SharedExpertScoringFuncE1EEEvPKT_PKbPfiPiS9_iiiiii: ; @_ZN4vllm3moe17topkGatingSoftmaxItLi16ELi256ELi8ELi32ELb1ELi4ELNS0_23SharedExpertScoringFuncE1EEEvPKT_PKbPfiPiS9_iiiiii
; %bb.0:
	s_load_b32 s16, s[0:1], 0x18
	v_bfe_u32 v1, v0, 10, 10
	v_and_b32_e32 v0, 0x3ff, v0
	s_lshl_b32 s18, s15, 4
	s_mov_b32 s2, exec_lo
	s_delay_alu instid0(VALU_DEP_2) | instskip(NEXT) | instid1(VALU_DEP_2)
	v_lshlrev_b32_e32 v42, 1, v1
	v_lshrrev_b32_e32 v43, 4, v0
	s_delay_alu instid0(VALU_DEP_1) | instskip(SKIP_1) | instid1(VALU_DEP_1)
	v_add3_u32 v8, s18, v42, v43
	s_waitcnt lgkmcnt(0)
	v_cmpx_gt_i32_e64 s16, v8
	s_cbranch_execz .LBB294_22
; %bb.1:
	s_clause 0x1
	s_load_b128 s[4:7], s[0:1], 0x0
	s_load_b64 s[12:13], s[0:1], 0x10
	s_waitcnt lgkmcnt(0)
	s_cmp_eq_u64 s[6:7], 0
	s_cbranch_scc1 .LBB294_3
; %bb.2:
	v_ashrrev_i32_e32 v2, 31, v8
	v_add_co_u32 v1, vcc_lo, s6, v8
	s_delay_alu instid0(VALU_DEP_2) | instskip(SKIP_3) | instid1(VALU_DEP_1)
	v_add_co_ci_u32_e32 v2, vcc_lo, s7, v2, vcc_lo
	global_load_u8 v1, v[1:2], off
	s_waitcnt vmcnt(0)
	v_and_b32_e32 v1, 1, v1
	v_cmp_eq_u32_e32 vcc_lo, 1, v1
	s_xor_b32 s2, vcc_lo, -1
	s_delay_alu instid0(SALU_CYCLE_1)
	s_or_not1_b32 s17, s2, exec_lo
	s_branch .LBB294_4
.LBB294_3:
	s_mov_b32 s17, -1
.LBB294_4:
	s_load_b64 s[14:15], s[0:1], 0x40
	v_and_b32_e32 v9, 15, v0
	s_mov_b32 s2, exec_lo
	s_delay_alu instid0(VALU_DEP_1) | instskip(SKIP_2) | instid1(VALU_DEP_1)
	v_dual_mov_b32 v11, 0 :: v_dual_lshlrev_b32 v10, 4, v9
	s_waitcnt lgkmcnt(0)
	v_mul_lo_u32 v1, v8, s15
	v_ashrrev_i32_e32 v2, 31, v1
	s_delay_alu instid0(VALU_DEP_1) | instskip(SKIP_1) | instid1(VALU_DEP_2)
	v_lshlrev_b64 v[0:1], 1, v[1:2]
	v_lshlrev_b32_e32 v2, 5, v9
	v_add_co_u32 v12, vcc_lo, s4, v0
	s_delay_alu instid0(VALU_DEP_3) | instskip(SKIP_1) | instid1(VALU_DEP_2)
	v_add_co_ci_u32_e32 v13, vcc_lo, s5, v1, vcc_lo
	s_load_b128 s[4:7], s[0:1], 0x30
	v_add_co_u32 v4, vcc_lo, v12, v2
	s_delay_alu instid0(VALU_DEP_2)
	v_add_co_ci_u32_e32 v5, vcc_lo, 0, v13, vcc_lo
	s_clause 0x1
	global_load_b128 v[0:3], v[4:5], off offset:16
	global_load_b128 v[4:7], v[4:5], off
	v_cmpx_gt_u32_e32 4, v9
	s_cbranch_execz .LBB294_6
; %bb.5:
	v_lshlrev_b32_e32 v14, 1, v9
	s_delay_alu instid0(VALU_DEP_1) | instskip(SKIP_4) | instid1(VALU_DEP_1)
	v_add_co_u32 v12, vcc_lo, v12, v14
	v_add_co_ci_u32_e32 v13, vcc_lo, 0, v13, vcc_lo
	global_load_u16 v12, v[12:13], off offset:512
	s_waitcnt vmcnt(0)
	v_cvt_f32_u32_e32 v12, v12
	v_mul_f32_e32 v13, 0xbfb8aa3b, v12
	v_cmp_nlt_f32_e32 vcc_lo, 0x42ce8ed0, v12
	s_delay_alu instid0(VALU_DEP_2) | instskip(SKIP_1) | instid1(VALU_DEP_1)
	v_fma_f32 v14, 0xbfb8aa3b, v12, -v13
	v_rndne_f32_e32 v15, v13
	v_dual_fmamk_f32 v14, v12, 0xb2a5705f, v14 :: v_dual_sub_f32 v13, v13, v15
	s_delay_alu instid0(VALU_DEP_1) | instskip(SKIP_1) | instid1(VALU_DEP_2)
	v_add_f32_e32 v13, v13, v14
	v_cvt_i32_f32_e32 v14, v15
	v_exp_f32_e32 v13, v13
	s_waitcnt_depctr 0xfff
	v_ldexp_f32 v13, v13, v14
	s_delay_alu instid0(VALU_DEP_1) | instskip(SKIP_1) | instid1(VALU_DEP_2)
	v_cndmask_b32_e32 v13, 0, v13, vcc_lo
	v_cmp_ngt_f32_e32 vcc_lo, 0xc2b17218, v12
	v_cndmask_b32_e32 v12, 0x7f800000, v13, vcc_lo
	s_delay_alu instid0(VALU_DEP_1) | instskip(NEXT) | instid1(VALU_DEP_1)
	v_add_f32_e32 v14, 1.0, v12
	v_div_scale_f32 v13, null, v14, v14, 1.0
	v_div_scale_f32 v16, vcc_lo, 1.0, v14, 1.0
	s_delay_alu instid0(VALU_DEP_2) | instskip(SKIP_2) | instid1(VALU_DEP_1)
	v_rcp_f32_e32 v15, v13
	s_waitcnt_depctr 0xfff
	v_fma_f32 v12, -v13, v15, 1.0
	v_fmac_f32_e32 v15, v12, v15
	s_waitcnt lgkmcnt(0)
	v_mul_lo_u32 v12, v8, s7
	s_delay_alu instid0(VALU_DEP_2) | instskip(NEXT) | instid1(VALU_DEP_2)
	v_mul_f32_e32 v17, v16, v15
	v_add3_u32 v12, v12, s4, v9
	s_delay_alu instid0(VALU_DEP_2) | instskip(NEXT) | instid1(VALU_DEP_1)
	v_fma_f32 v18, -v13, v17, v16
	v_fmac_f32_e32 v17, v18, v15
	s_delay_alu instid0(VALU_DEP_1) | instskip(NEXT) | instid1(VALU_DEP_4)
	v_fma_f32 v16, -v13, v17, v16
	v_ashrrev_i32_e32 v13, 31, v12
	s_delay_alu instid0(VALU_DEP_2) | instskip(NEXT) | instid1(VALU_DEP_2)
	v_div_fmas_f32 v15, v16, v15, v17
	v_lshlrev_b64 v[12:13], 2, v[12:13]
	s_delay_alu instid0(VALU_DEP_2) | instskip(NEXT) | instid1(VALU_DEP_2)
	v_div_fixup_f32 v14, v15, v14, 1.0
	v_add_co_u32 v12, vcc_lo, s12, v12
	s_delay_alu instid0(VALU_DEP_3)
	v_add_co_ci_u32_e32 v13, vcc_lo, s13, v13, vcc_lo
	global_store_b32 v[12:13], v14, off
.LBB294_6:
	s_or_b32 exec_lo, exec_lo, s2
	s_waitcnt vmcnt(0)
	v_and_b32_e32 v12, 0xffff, v4
	v_lshrrev_b32_e32 v4, 16, v4
	v_or_b32_e32 v14, 1, v10
	v_or_b32_e32 v16, 2, v10
	;; [unrolled: 1-line block ×3, first 2 shown]
	v_cvt_f32_u32_e32 v12, v12
	v_cvt_f32_u32_e32 v13, v4
	v_or_b32_e32 v22, 5, v10
	v_or_b32_e32 v25, 7, v10
	;; [unrolled: 1-line block ×4, first 2 shown]
	v_cmp_lt_f32_e32 vcc_lo, v12, v13
	v_or_b32_e32 v31, 10, v10
	v_or_b32_e32 v33, 11, v10
	;; [unrolled: 1-line block ×3, first 2 shown]
	v_dual_cndmask_b32 v18, v12, v13 :: v_dual_and_b32 v19, 0xffff, v6
	v_lshrrev_b32_e32 v6, 16, v6
	v_or_b32_e32 v37, 13, v10
	v_or_b32_e32 v39, 14, v10
	s_delay_alu instid0(VALU_DEP_4)
	v_cvt_f32_u32_e32 v19, v19
	v_and_b32_e32 v4, 0xffff, v5
	v_lshrrev_b32_e32 v5, 16, v5
	v_cvt_f32_u32_e32 v21, v6
	v_and_b32_e32 v6, 0xffff, v7
	v_or_b32_e32 v41, 15, v10
	v_cvt_f32_u32_e32 v15, v4
	v_cvt_f32_u32_e32 v17, v5
	v_cndmask_b32_e32 v4, v10, v14, vcc_lo
	v_cvt_f32_u32_e32 v23, v6
	v_lshrrev_b32_e32 v6, 16, v7
	v_cmp_lt_f32_e32 vcc_lo, v18, v15
	v_or_b32_e32 v7, 6, v10
	s_delay_alu instid0(VALU_DEP_3) | instskip(SKIP_4) | instid1(VALU_DEP_4)
	v_cvt_f32_u32_e32 v24, v6
	v_dual_cndmask_b32 v5, v18, v15 :: v_dual_cndmask_b32 v4, v4, v16
	v_or_b32_e32 v18, 3, v10
	v_and_b32_e32 v6, 0xffff, v0
	v_lshrrev_b32_e32 v0, 16, v0
	v_cmp_lt_f32_e32 vcc_lo, v5, v17
	s_delay_alu instid0(VALU_DEP_3) | instskip(NEXT) | instid1(VALU_DEP_3)
	v_cvt_f32_u32_e32 v26, v6
	v_cvt_f32_u32_e32 v28, v0
	v_dual_cndmask_b32 v5, v5, v17 :: v_dual_cndmask_b32 v4, v4, v18
	s_delay_alu instid0(VALU_DEP_1) | instskip(NEXT) | instid1(VALU_DEP_2)
	v_cmp_lt_f32_e32 vcc_lo, v5, v19
	v_dual_cndmask_b32 v5, v5, v19 :: v_dual_cndmask_b32 v4, v4, v20
	s_delay_alu instid0(VALU_DEP_1) | instskip(NEXT) | instid1(VALU_DEP_2)
	v_cmp_lt_f32_e32 vcc_lo, v5, v21
	v_dual_cndmask_b32 v5, v5, v21 :: v_dual_cndmask_b32 v4, v4, v22
	s_delay_alu instid0(VALU_DEP_1) | instskip(SKIP_1) | instid1(VALU_DEP_3)
	v_cmp_lt_f32_e32 vcc_lo, v5, v23
	v_cndmask_b32_e32 v5, v5, v23, vcc_lo
	v_cndmask_b32_e32 v4, v4, v7, vcc_lo
	s_delay_alu instid0(VALU_DEP_2) | instskip(NEXT) | instid1(VALU_DEP_2)
	v_cmp_lt_f32_e32 vcc_lo, v5, v24
	v_dual_cndmask_b32 v5, v5, v24 :: v_dual_cndmask_b32 v4, v4, v25
	s_delay_alu instid0(VALU_DEP_1) | instskip(NEXT) | instid1(VALU_DEP_2)
	v_cmp_lt_f32_e32 vcc_lo, v5, v26
	v_cndmask_b32_e32 v0, v4, v27, vcc_lo
	v_dual_cndmask_b32 v4, v5, v26 :: v_dual_and_b32 v5, 0xffff, v1
	v_lshrrev_b32_e32 v1, 16, v1
	s_delay_alu instid0(VALU_DEP_2) | instskip(NEXT) | instid1(VALU_DEP_3)
	v_cmp_lt_f32_e32 vcc_lo, v4, v28
	v_cvt_f32_u32_e32 v30, v5
	s_delay_alu instid0(VALU_DEP_3) | instskip(SKIP_2) | instid1(VALU_DEP_2)
	v_cvt_f32_u32_e32 v32, v1
	v_cndmask_b32_e32 v4, v4, v28, vcc_lo
	v_cndmask_b32_e32 v0, v0, v29, vcc_lo
	v_cmp_lt_f32_e32 vcc_lo, v4, v30
	v_cndmask_b32_e32 v1, v4, v30, vcc_lo
	s_delay_alu instid0(VALU_DEP_3) | instskip(SKIP_2) | instid1(VALU_DEP_4)
	v_cndmask_b32_e32 v0, v0, v31, vcc_lo
	v_and_b32_e32 v4, 0xffff, v2
	v_lshrrev_b32_e32 v2, 16, v2
	v_cmp_lt_f32_e32 vcc_lo, v1, v32
	s_delay_alu instid0(VALU_DEP_3) | instskip(NEXT) | instid1(VALU_DEP_3)
	v_cvt_f32_u32_e32 v34, v4
	v_cvt_f32_u32_e32 v36, v2
	v_dual_cndmask_b32 v1, v1, v32 :: v_dual_and_b32 v2, 0xffff, v3
	v_cndmask_b32_e32 v0, v0, v33, vcc_lo
	s_delay_alu instid0(VALU_DEP_2) | instskip(NEXT) | instid1(VALU_DEP_3)
	v_cvt_f32_u32_e32 v38, v2
	v_cmp_lt_f32_e32 vcc_lo, v1, v34
	v_lshrrev_b32_e32 v2, 16, v3
	s_delay_alu instid0(VALU_DEP_4) | instskip(NEXT) | instid1(VALU_DEP_2)
	v_dual_cndmask_b32 v1, v1, v34 :: v_dual_cndmask_b32 v0, v0, v35
	v_cvt_f32_u32_e32 v40, v2
	s_delay_alu instid0(VALU_DEP_2) | instskip(NEXT) | instid1(VALU_DEP_3)
	v_cmp_lt_f32_e32 vcc_lo, v1, v36
	v_dual_cndmask_b32 v1, v1, v36 :: v_dual_cndmask_b32 v0, v0, v37
	s_delay_alu instid0(VALU_DEP_1) | instskip(NEXT) | instid1(VALU_DEP_2)
	v_cmp_lt_f32_e32 vcc_lo, v1, v38
	v_dual_cndmask_b32 v1, v1, v38 :: v_dual_cndmask_b32 v0, v0, v39
	s_delay_alu instid0(VALU_DEP_1) | instskip(NEXT) | instid1(VALU_DEP_2)
	v_cmp_lt_f32_e32 vcc_lo, v1, v40
	v_dual_cndmask_b32 v0, v0, v41 :: v_dual_cndmask_b32 v1, v1, v40
	s_delay_alu instid0(VALU_DEP_1) | instskip(NEXT) | instid1(VALU_DEP_2)
	v_mov_b32_dpp v2, v0 quad_perm:[1,0,3,2] row_mask:0xf bank_mask:0xf
	v_mov_b32_dpp v3, v1 quad_perm:[1,0,3,2] row_mask:0xf bank_mask:0xf
	s_delay_alu instid0(VALU_DEP_2) | instskip(NEXT) | instid1(VALU_DEP_2)
	v_cmp_lt_i32_e32 vcc_lo, v2, v0
	v_cmp_eq_f32_e64 s2, v1, v3
	v_cmp_lt_f32_e64 s3, v1, v3
	s_delay_alu instid0(VALU_DEP_2)
	s_and_b32 s2, s2, vcc_lo
	s_delay_alu instid0(VALU_DEP_1) | instid1(SALU_CYCLE_1)
	s_or_b32 vcc_lo, s3, s2
	v_dual_cndmask_b32 v1, v1, v3 :: v_dual_cndmask_b32 v0, v0, v2
	s_delay_alu instid0(VALU_DEP_1) | instskip(NEXT) | instid1(VALU_DEP_2)
	v_mov_b32_dpp v2, v1 quad_perm:[2,3,0,1] row_mask:0xf bank_mask:0xf
	v_mov_b32_dpp v3, v0 quad_perm:[2,3,0,1] row_mask:0xf bank_mask:0xf
	s_delay_alu instid0(VALU_DEP_2) | instskip(NEXT) | instid1(VALU_DEP_2)
	v_cmp_eq_f32_e32 vcc_lo, v1, v2
	v_cmp_lt_i32_e64 s2, v3, v0
	v_cmp_lt_f32_e64 s3, v1, v2
	s_delay_alu instid0(VALU_DEP_2)
	s_and_b32 s2, vcc_lo, s2
	s_delay_alu instid0(VALU_DEP_1) | instid1(SALU_CYCLE_1)
	s_or_b32 vcc_lo, s3, s2
	v_dual_cndmask_b32 v1, v1, v2 :: v_dual_cndmask_b32 v0, v0, v3
	s_delay_alu instid0(VALU_DEP_1) | instskip(NEXT) | instid1(VALU_DEP_2)
	v_mov_b32_dpp v2, v1 row_half_mirror row_mask:0xf bank_mask:0xf
	v_mov_b32_dpp v3, v0 row_half_mirror row_mask:0xf bank_mask:0xf
	s_delay_alu instid0(VALU_DEP_2) | instskip(NEXT) | instid1(VALU_DEP_2)
	v_cmp_eq_f32_e32 vcc_lo, v1, v2
	v_cmp_lt_i32_e64 s2, v3, v0
	v_cmp_lt_f32_e64 s3, v1, v2
	s_delay_alu instid0(VALU_DEP_2)
	s_and_b32 s2, vcc_lo, s2
	s_delay_alu instid0(VALU_DEP_1) | instid1(SALU_CYCLE_1)
	s_or_b32 vcc_lo, s3, s2
	s_waitcnt lgkmcnt(0)
	s_cmp_gt_i32 s4, 0
	v_cndmask_b32_e32 v2, v1, v2, vcc_lo
	v_cndmask_b32_e32 v0, v0, v3, vcc_lo
	v_cmp_eq_u32_e32 vcc_lo, 0, v9
	s_cselect_b32 s3, -1, 0
	s_cmp_lt_i32 s4, 1
	v_mov_b32_dpp v4, v2 row_mirror row_mask:0xf bank_mask:0xf
	v_mov_b32_dpp v6, v0 row_mirror row_mask:0xf bank_mask:0xf
	s_cbranch_scc1 .LBB294_18
; %bb.7:
	s_load_b128 s[8:11], s[0:1], 0x20
	s_delay_alu instid0(VALU_DEP_2) | instskip(NEXT) | instid1(VALU_DEP_2)
	v_cmp_eq_f32_e64 s0, v2, v4
	v_cmp_lt_i32_e64 s1, v6, v0
	v_cmp_lt_f32_e64 s2, v2, v4
	v_mul_lo_u32 v1, v8, s7
	v_mul_lo_u32 v3, v8, s14
	;; [unrolled: 1-line block ×3, first 2 shown]
	s_and_b32 s0, s0, s1
	v_mov_b32_e32 v11, 0
	s_or_b32 s0, s2, s0
	s_delay_alu instid0(SALU_CYCLE_1)
	v_cndmask_b32_e64 v0, v0, v6, s0
	v_cndmask_b32_e64 v44, v2, v4, s0
	s_and_saveexec_b32 s2, vcc_lo
	s_cbranch_execz .LBB294_9
; %bb.8:
	s_delay_alu instid0(VALU_DEP_1)
	v_sub_f32_e32 v11, v44, v44
	v_cmp_le_i32_e64 s0, s5, v0
	v_cmp_gt_i32_e64 s1, s6, v0
	v_subrev_nc_u32_e32 v51, s5, v0
	v_ashrrev_i32_e32 v6, 31, v5
	v_mul_f32_e32 v2, 0x3fb8aa3b, v11
	s_delay_alu instid0(VALU_DEP_4) | instskip(NEXT) | instid1(SALU_CYCLE_1)
	s_and_b32 s0, s0, s1
	s_and_b32 s0, s17, s0
	s_delay_alu instid0(VALU_DEP_1) | instskip(SKIP_2) | instid1(VALU_DEP_3)
	v_rndne_f32_e32 v47, v2
	v_fma_f32 v4, 0x3fb8aa3b, v11, -v2
	v_lshlrev_b64 v[49:50], 2, v[5:6]
	v_sub_f32_e32 v2, v2, v47
	s_delay_alu instid0(VALU_DEP_3) | instskip(NEXT) | instid1(VALU_DEP_1)
	v_fmamk_f32 v4, v11, 0x32a5705f, v4
	v_add_f32_e32 v4, v2, v4
	v_ashrrev_i32_e32 v2, 31, v1
	s_delay_alu instid0(VALU_DEP_2) | instskip(NEXT) | instid1(VALU_DEP_1)
	v_exp_f32_e32 v52, v4
	v_lshlrev_b64 v[45:46], 2, v[1:2]
	v_ashrrev_i32_e32 v4, 31, v3
	v_cvt_i32_f32_e32 v2, v47
	s_delay_alu instid0(VALU_DEP_2) | instskip(SKIP_2) | instid1(VALU_DEP_1)
	v_lshlrev_b64 v[47:48], 2, v[3:4]
	v_cndmask_b32_e64 v4, 0x100, v51, s0
	v_add_co_u32 v45, s0, s12, v45
	v_add_co_ci_u32_e64 v46, s0, s13, v46, s0
	s_delay_alu instid0(TRANS32_DEP_1) | instskip(SKIP_1) | instid1(VALU_DEP_1)
	v_ldexp_f32 v2, v52, v2
	v_cmp_ngt_f32_e64 s0, 0xc2ce8ed0, v11
	v_cndmask_b32_e64 v2, 0, v2, s0
	s_waitcnt lgkmcnt(0)
	v_add_co_u32 v47, s0, s8, v47
	s_delay_alu instid0(VALU_DEP_1) | instskip(SKIP_1) | instid1(VALU_DEP_1)
	v_add_co_ci_u32_e64 v48, s0, s9, v48, s0
	v_cmp_nlt_f32_e64 s0, 0x42b17218, v11
	v_cndmask_b32_e64 v11, 0x7f800000, v2, s0
	v_add_co_u32 v49, s0, s10, v49
	s_delay_alu instid0(VALU_DEP_1)
	v_add_co_ci_u32_e64 v50, s0, s11, v50, s0
	global_store_b32 v[47:48], v4, off
	global_store_b32 v[45:46], v11, off
	;; [unrolled: 1-line block ×3, first 2 shown]
.LBB294_9:
	s_or_b32 exec_lo, exec_lo, s2
	v_ashrrev_i32_e32 v4, 31, v0
	s_mov_b32 s1, exec_lo
	s_delay_alu instid0(VALU_DEP_1) | instskip(NEXT) | instid1(VALU_DEP_1)
	v_lshrrev_b32_e32 v2, 28, v4
	v_add_nc_u32_e32 v2, v0, v2
	s_delay_alu instid0(VALU_DEP_1) | instskip(NEXT) | instid1(VALU_DEP_1)
	v_ashrrev_i32_e32 v2, 4, v2
	v_lshrrev_b32_e32 v6, 28, v2
	s_delay_alu instid0(VALU_DEP_1) | instskip(NEXT) | instid1(VALU_DEP_1)
	v_add_nc_u32_e32 v6, v2, v6
	v_and_b32_e32 v6, -16, v6
	s_delay_alu instid0(VALU_DEP_1) | instskip(NEXT) | instid1(VALU_DEP_1)
	v_sub_nc_u32_e32 v6, v2, v6
	v_cmpx_eq_u32_e64 v9, v6
	s_cbranch_execz .LBB294_11
; %bb.10:
	v_lshrrev_b32_e32 v4, 24, v4
	v_lshlrev_b32_e32 v2, 4, v2
	s_delay_alu instid0(VALU_DEP_2) | instskip(NEXT) | instid1(VALU_DEP_2)
	v_add_nc_u32_e32 v4, v0, v4
	v_sub_nc_u32_e32 v0, v0, v2
	s_delay_alu instid0(VALU_DEP_2) | instskip(NEXT) | instid1(VALU_DEP_1)
	v_ashrrev_i32_e32 v2, 8, v4
	v_lshl_add_u32 v0, v2, 4, v0
	s_delay_alu instid0(VALU_DEP_1) | instskip(NEXT) | instid1(VALU_DEP_1)
	v_cmp_ne_u32_e64 s0, 15, v0
	v_cndmask_b32_e64 v40, 0xff800000, v40, s0
	v_cmp_ne_u32_e64 s0, 14, v0
	s_delay_alu instid0(VALU_DEP_1) | instskip(SKIP_1) | instid1(VALU_DEP_1)
	v_cndmask_b32_e64 v38, 0xff800000, v38, s0
	v_cmp_ne_u32_e64 s0, 13, v0
	v_cndmask_b32_e64 v36, 0xff800000, v36, s0
	v_cmp_ne_u32_e64 s0, 12, v0
	s_delay_alu instid0(VALU_DEP_1) | instskip(SKIP_1) | instid1(VALU_DEP_1)
	v_cndmask_b32_e64 v34, 0xff800000, v34, s0
	;; [unrolled: 5-line block ×7, first 2 shown]
	v_cmp_ne_u32_e64 s0, 1, v0
	v_cndmask_b32_e64 v13, 0xff800000, v13, s0
	v_cmp_ne_u32_e64 s0, 0, v0
	s_delay_alu instid0(VALU_DEP_1)
	v_cndmask_b32_e64 v12, 0xff800000, v12, s0
.LBB294_11:
	s_or_b32 exec_lo, exec_lo, s1
	s_cmp_eq_u32 s4, 1
	s_cbranch_scc1 .LBB294_18
; %bb.12:
	s_add_i32 s18, s18, s16
	v_add_nc_u32_e32 v0, 1, v5
	v_add3_u32 v6, s18, v43, v42
	v_add_nc_u32_e32 v2, 1, v3
	v_add_nc_u32_e32 v4, 1, v1
	s_add_i32 s14, s4, -1
	s_branch .LBB294_14
.LBB294_13:                             ;   in Loop: Header=BB294_14 Depth=1
	s_or_b32 exec_lo, exec_lo, s1
	v_add_nc_u32_e32 v6, s16, v6
	v_add_nc_u32_e32 v0, 1, v0
	;; [unrolled: 1-line block ×4, first 2 shown]
	s_add_i32 s14, s14, -1
	s_delay_alu instid0(SALU_CYCLE_1)
	s_cmp_eq_u32 s14, 0
	s_cbranch_scc1 .LBB294_18
.LBB294_14:                             ; =>This Inner Loop Header: Depth=1
	v_cmp_gt_f32_e64 s0, v13, v12
	s_delay_alu instid0(VALU_DEP_1) | instskip(SKIP_1) | instid1(VALU_DEP_2)
	v_cndmask_b32_e64 v3, v12, v13, s0
	v_cndmask_b32_e64 v1, v10, v14, s0
	v_cmp_gt_f32_e64 s0, v15, v3
	s_delay_alu instid0(VALU_DEP_1) | instskip(NEXT) | instid1(VALU_DEP_3)
	v_cndmask_b32_e64 v3, v3, v15, s0
	v_cndmask_b32_e64 v1, v1, v16, s0
	s_delay_alu instid0(VALU_DEP_2) | instskip(NEXT) | instid1(VALU_DEP_1)
	v_cmp_gt_f32_e64 s0, v17, v3
	v_cndmask_b32_e64 v3, v3, v17, s0
	s_delay_alu instid0(VALU_DEP_3) | instskip(NEXT) | instid1(VALU_DEP_2)
	v_cndmask_b32_e64 v1, v1, v18, s0
	v_cmp_gt_f32_e64 s0, v19, v3
	s_delay_alu instid0(VALU_DEP_1) | instskip(NEXT) | instid1(VALU_DEP_3)
	v_cndmask_b32_e64 v3, v3, v19, s0
	v_cndmask_b32_e64 v1, v1, v20, s0
	s_delay_alu instid0(VALU_DEP_2) | instskip(NEXT) | instid1(VALU_DEP_1)
	v_cmp_gt_f32_e64 s0, v21, v3
	v_cndmask_b32_e64 v3, v3, v21, s0
	s_delay_alu instid0(VALU_DEP_3) | instskip(NEXT) | instid1(VALU_DEP_2)
	;; [unrolled: 9-line block ×6, first 2 shown]
	v_cndmask_b32_e64 v1, v1, v37, s0
	v_cmp_gt_f32_e64 s0, v38, v3
	s_delay_alu instid0(VALU_DEP_1) | instskip(NEXT) | instid1(VALU_DEP_3)
	v_cndmask_b32_e64 v3, v3, v38, s0
	v_cndmask_b32_e64 v1, v1, v39, s0
	s_delay_alu instid0(VALU_DEP_2) | instskip(NEXT) | instid1(VALU_DEP_1)
	v_cmp_gt_f32_e64 s0, v40, v3
	v_cndmask_b32_e64 v1, v1, v41, s0
	v_cndmask_b32_e64 v3, v3, v40, s0
	s_delay_alu instid0(VALU_DEP_2) | instskip(NEXT) | instid1(VALU_DEP_2)
	v_mov_b32_dpp v5, v1 quad_perm:[1,0,3,2] row_mask:0xf bank_mask:0xf
	v_mov_b32_dpp v42, v3 quad_perm:[1,0,3,2] row_mask:0xf bank_mask:0xf
	s_delay_alu instid0(VALU_DEP_2) | instskip(NEXT) | instid1(VALU_DEP_2)
	v_cmp_lt_i32_e64 s0, v5, v1
	v_cmp_eq_f32_e64 s1, v3, v42
	v_cmp_lt_f32_e64 s2, v3, v42
	s_delay_alu instid0(VALU_DEP_2)
	s_and_b32 s0, s1, s0
	s_delay_alu instid0(VALU_DEP_1) | instid1(SALU_CYCLE_1)
	s_or_b32 s0, s2, s0
	s_delay_alu instid0(SALU_CYCLE_1) | instskip(SKIP_1) | instid1(VALU_DEP_2)
	v_cndmask_b32_e64 v3, v3, v42, s0
	v_cndmask_b32_e64 v1, v1, v5, s0
	v_mov_b32_dpp v5, v3 quad_perm:[2,3,0,1] row_mask:0xf bank_mask:0xf
	s_delay_alu instid0(VALU_DEP_2) | instskip(NEXT) | instid1(VALU_DEP_2)
	v_mov_b32_dpp v42, v1 quad_perm:[2,3,0,1] row_mask:0xf bank_mask:0xf
	v_cmp_eq_f32_e64 s0, v3, v5
	s_delay_alu instid0(VALU_DEP_2) | instskip(SKIP_1) | instid1(VALU_DEP_2)
	v_cmp_lt_i32_e64 s1, v42, v1
	v_cmp_lt_f32_e64 s2, v3, v5
	s_and_b32 s0, s0, s1
	s_delay_alu instid0(VALU_DEP_1) | instid1(SALU_CYCLE_1)
	s_or_b32 s0, s2, s0
	s_delay_alu instid0(SALU_CYCLE_1) | instskip(SKIP_1) | instid1(VALU_DEP_2)
	v_cndmask_b32_e64 v3, v3, v5, s0
	v_cndmask_b32_e64 v5, v1, v42, s0
	v_mov_b32_dpp v1, v3 row_half_mirror row_mask:0xf bank_mask:0xf
	s_delay_alu instid0(VALU_DEP_2) | instskip(NEXT) | instid1(VALU_DEP_2)
	v_mov_b32_dpp v42, v5 row_half_mirror row_mask:0xf bank_mask:0xf
	v_cmp_eq_f32_e64 s0, v3, v1
	s_delay_alu instid0(VALU_DEP_2) | instskip(SKIP_1) | instid1(VALU_DEP_2)
	v_cmp_lt_i32_e64 s1, v42, v5
	v_cmp_lt_f32_e64 s2, v3, v1
	s_and_b32 s0, s0, s1
	s_delay_alu instid0(VALU_DEP_1) | instid1(SALU_CYCLE_1)
	s_or_b32 s0, s2, s0
	s_delay_alu instid0(SALU_CYCLE_1) | instskip(SKIP_1) | instid1(VALU_DEP_2)
	v_cndmask_b32_e64 v1, v3, v1, s0
	v_cndmask_b32_e64 v5, v5, v42, s0
	v_mov_b32_dpp v3, v1 row_mirror row_mask:0xf bank_mask:0xf
	s_delay_alu instid0(VALU_DEP_2) | instskip(NEXT) | instid1(VALU_DEP_2)
	v_mov_b32_dpp v42, v5 row_mirror row_mask:0xf bank_mask:0xf
	v_cmp_eq_f32_e64 s0, v1, v3
	s_delay_alu instid0(VALU_DEP_2) | instskip(SKIP_1) | instid1(VALU_DEP_2)
	v_cmp_lt_i32_e64 s1, v42, v5
	v_cmp_lt_f32_e64 s2, v1, v3
	s_and_b32 s0, s0, s1
	s_delay_alu instid0(VALU_DEP_1) | instid1(SALU_CYCLE_1)
	s_or_b32 s0, s2, s0
	s_delay_alu instid0(SALU_CYCLE_1)
	v_cndmask_b32_e64 v42, v5, v42, s0
	s_and_saveexec_b32 s2, vcc_lo
	s_cbranch_execz .LBB294_16
; %bb.15:                               ;   in Loop: Header=BB294_14 Depth=1
	v_cndmask_b32_e64 v1, v1, v3, s0
	s_delay_alu instid0(VALU_DEP_2) | instskip(SKIP_4) | instid1(VALU_DEP_4)
	v_cmp_le_i32_e64 s0, s5, v42
	v_cmp_gt_i32_e64 s1, s6, v42
	v_ashrrev_i32_e32 v5, 31, v4
	v_subrev_nc_u32_e32 v51, s5, v42
	v_sub_f32_e32 v43, v1, v44
	s_and_b32 s0, s0, s1
	s_delay_alu instid0(SALU_CYCLE_1) | instskip(NEXT) | instid1(VALU_DEP_1)
	s_and_b32 s0, s17, s0
	v_mul_f32_e32 v1, 0x3fb8aa3b, v43
	s_delay_alu instid0(VALU_DEP_1) | instskip(SKIP_1) | instid1(VALU_DEP_2)
	v_fma_f32 v3, 0x3fb8aa3b, v43, -v1
	v_rndne_f32_e32 v45, v1
	v_fmac_f32_e32 v3, 0x32a5705f, v43
	s_delay_alu instid0(VALU_DEP_2) | instskip(SKIP_2) | instid1(VALU_DEP_3)
	v_sub_f32_e32 v1, v1, v45
	v_cvt_i32_f32_e32 v50, v45
	v_lshlrev_b64 v[45:46], 2, v[4:5]
	v_add_f32_e32 v1, v1, v3
	v_ashrrev_i32_e32 v3, 31, v2
	s_delay_alu instid0(VALU_DEP_2) | instskip(SKIP_1) | instid1(VALU_DEP_2)
	v_exp_f32_e32 v49, v1
	v_ashrrev_i32_e32 v1, 31, v0
	v_lshlrev_b64 v[47:48], 2, v[2:3]
	s_waitcnt_depctr 0xfff
	v_ldexp_f32 v3, v49, v50
	v_lshlrev_b64 v[49:50], 2, v[0:1]
	v_cndmask_b32_e64 v1, 0x100, v51, s0
	v_cmp_ngt_f32_e64 s0, 0xc2ce8ed0, v43
	s_delay_alu instid0(VALU_DEP_1) | instskip(SKIP_1) | instid1(VALU_DEP_1)
	v_cndmask_b32_e64 v3, 0, v3, s0
	v_add_co_u32 v45, s0, s12, v45
	v_add_co_ci_u32_e64 v46, s0, s13, v46, s0
	v_cmp_nlt_f32_e64 s0, 0x42b17218, v43
	s_delay_alu instid0(VALU_DEP_1) | instskip(SKIP_2) | instid1(VALU_DEP_1)
	v_cndmask_b32_e64 v3, 0x7f800000, v3, s0
	s_waitcnt lgkmcnt(0)
	v_add_co_u32 v47, s0, s8, v47
	v_add_co_ci_u32_e64 v48, s0, s9, v48, s0
	v_add_co_u32 v49, s0, s10, v49
	v_add_f32_e32 v11, v11, v3
	v_add_co_ci_u32_e64 v50, s0, s11, v50, s0
	global_store_b32 v[45:46], v3, off
	global_store_b32 v[47:48], v1, off
	;; [unrolled: 1-line block ×3, first 2 shown]
.LBB294_16:                             ;   in Loop: Header=BB294_14 Depth=1
	s_or_b32 exec_lo, exec_lo, s2
	s_delay_alu instid0(VALU_DEP_1) | instskip(SKIP_1) | instid1(VALU_DEP_1)
	v_ashrrev_i32_e32 v3, 31, v42
	s_mov_b32 s1, exec_lo
	v_lshrrev_b32_e32 v1, 28, v3
	s_delay_alu instid0(VALU_DEP_1) | instskip(NEXT) | instid1(VALU_DEP_1)
	v_add_nc_u32_e32 v1, v42, v1
	v_ashrrev_i32_e32 v1, 4, v1
	s_delay_alu instid0(VALU_DEP_1) | instskip(NEXT) | instid1(VALU_DEP_1)
	v_lshrrev_b32_e32 v5, 28, v1
	v_add_nc_u32_e32 v5, v1, v5
	s_delay_alu instid0(VALU_DEP_1) | instskip(NEXT) | instid1(VALU_DEP_1)
	v_and_b32_e32 v5, -16, v5
	v_sub_nc_u32_e32 v5, v1, v5
	s_delay_alu instid0(VALU_DEP_1)
	v_cmpx_eq_u32_e64 v9, v5
	s_cbranch_execz .LBB294_13
; %bb.17:                               ;   in Loop: Header=BB294_14 Depth=1
	v_lshrrev_b32_e32 v3, 24, v3
	v_lshlrev_b32_e32 v1, 4, v1
	s_delay_alu instid0(VALU_DEP_2) | instskip(NEXT) | instid1(VALU_DEP_2)
	v_add_nc_u32_e32 v3, v42, v3
	v_sub_nc_u32_e32 v1, v42, v1
	s_delay_alu instid0(VALU_DEP_2) | instskip(NEXT) | instid1(VALU_DEP_1)
	v_ashrrev_i32_e32 v3, 8, v3
	v_lshl_add_u32 v1, v3, 4, v1
	s_delay_alu instid0(VALU_DEP_1) | instskip(NEXT) | instid1(VALU_DEP_1)
	v_cmp_ne_u32_e64 s0, 15, v1
	v_cndmask_b32_e64 v40, 0xff800000, v40, s0
	v_cmp_ne_u32_e64 s0, 14, v1
	s_delay_alu instid0(VALU_DEP_1) | instskip(SKIP_1) | instid1(VALU_DEP_1)
	v_cndmask_b32_e64 v38, 0xff800000, v38, s0
	v_cmp_ne_u32_e64 s0, 13, v1
	v_cndmask_b32_e64 v36, 0xff800000, v36, s0
	v_cmp_ne_u32_e64 s0, 12, v1
	s_delay_alu instid0(VALU_DEP_1) | instskip(SKIP_1) | instid1(VALU_DEP_1)
	v_cndmask_b32_e64 v34, 0xff800000, v34, s0
	;; [unrolled: 5-line block ×7, first 2 shown]
	v_cmp_ne_u32_e64 s0, 1, v1
	v_cndmask_b32_e64 v13, 0xff800000, v13, s0
	v_cmp_ne_u32_e64 s0, 0, v1
	s_delay_alu instid0(VALU_DEP_1)
	v_cndmask_b32_e64 v12, 0xff800000, v12, s0
	s_branch .LBB294_13
.LBB294_18:
	v_cmp_eq_u32_e32 vcc_lo, 0, v9
	v_cmp_neq_f32_e64 s0, 0, v11
	s_delay_alu instid0(VALU_DEP_1) | instskip(NEXT) | instid1(SALU_CYCLE_1)
	s_and_b32 s0, vcc_lo, s0
	s_and_b32 exec_lo, exec_lo, s0
	s_cbranch_execz .LBB294_22
; %bb.19:
	s_and_not1_b32 vcc_lo, exec_lo, s3
	s_cbranch_vccnz .LBB294_22
; %bb.20:
	v_div_scale_f32 v1, null, v11, v11, 1.0
	v_div_scale_f32 v3, vcc_lo, 1.0, v11, 1.0
	s_delay_alu instid0(VALU_DEP_2) | instskip(SKIP_2) | instid1(VALU_DEP_1)
	v_rcp_f32_e32 v2, v1
	s_waitcnt_depctr 0xfff
	v_fma_f32 v0, -v1, v2, 1.0
	v_fmac_f32_e32 v2, v0, v2
	v_mul_lo_u32 v0, v8, s7
	s_delay_alu instid0(VALU_DEP_2) | instskip(NEXT) | instid1(VALU_DEP_1)
	v_mul_f32_e32 v4, v3, v2
	v_fma_f32 v5, -v1, v4, v3
	s_delay_alu instid0(VALU_DEP_1) | instskip(NEXT) | instid1(VALU_DEP_1)
	v_fmac_f32_e32 v4, v5, v2
	v_fma_f32 v3, -v1, v4, v3
	v_ashrrev_i32_e32 v1, 31, v0
	s_delay_alu instid0(VALU_DEP_2) | instskip(NEXT) | instid1(VALU_DEP_2)
	v_div_fmas_f32 v2, v3, v2, v4
	v_lshlrev_b64 v[0:1], 2, v[0:1]
	s_delay_alu instid0(VALU_DEP_2) | instskip(NEXT) | instid1(VALU_DEP_2)
	v_div_fixup_f32 v2, v2, v11, 1.0
	v_add_co_u32 v0, vcc_lo, s12, v0
	s_delay_alu instid0(VALU_DEP_3)
	v_add_co_ci_u32_e32 v1, vcc_lo, s13, v1, vcc_lo
.LBB294_21:                             ; =>This Inner Loop Header: Depth=1
	global_load_b32 v3, v[0:1], off
	s_add_i32 s4, s4, -1
	s_delay_alu instid0(SALU_CYCLE_1)
	s_cmp_lg_u32 s4, 0
	s_waitcnt vmcnt(0)
	v_mul_f32_e32 v3, v2, v3
	global_store_b32 v[0:1], v3, off
	v_add_co_u32 v0, vcc_lo, v0, 4
	v_add_co_ci_u32_e32 v1, vcc_lo, 0, v1, vcc_lo
	s_cbranch_scc1 .LBB294_21
.LBB294_22:
	s_nop 0
	s_sendmsg sendmsg(MSG_DEALLOC_VGPRS)
	s_endpgm
	.section	.rodata,"a",@progbits
	.p2align	6, 0x0
	.amdhsa_kernel _ZN4vllm3moe17topkGatingSoftmaxItLi16ELi256ELi8ELi32ELb1ELi4ELNS0_23SharedExpertScoringFuncE1EEEvPKT_PKbPfiPiS9_iiiiii
		.amdhsa_group_segment_fixed_size 0
		.amdhsa_private_segment_fixed_size 0
		.amdhsa_kernarg_size 72
		.amdhsa_user_sgpr_count 15
		.amdhsa_user_sgpr_dispatch_ptr 0
		.amdhsa_user_sgpr_queue_ptr 0
		.amdhsa_user_sgpr_kernarg_segment_ptr 1
		.amdhsa_user_sgpr_dispatch_id 0
		.amdhsa_user_sgpr_private_segment_size 0
		.amdhsa_wavefront_size32 1
		.amdhsa_uses_dynamic_stack 0
		.amdhsa_enable_private_segment 0
		.amdhsa_system_sgpr_workgroup_id_x 1
		.amdhsa_system_sgpr_workgroup_id_y 0
		.amdhsa_system_sgpr_workgroup_id_z 0
		.amdhsa_system_sgpr_workgroup_info 0
		.amdhsa_system_vgpr_workitem_id 1
		.amdhsa_next_free_vgpr 53
		.amdhsa_next_free_sgpr 19
		.amdhsa_reserve_vcc 1
		.amdhsa_float_round_mode_32 0
		.amdhsa_float_round_mode_16_64 0
		.amdhsa_float_denorm_mode_32 3
		.amdhsa_float_denorm_mode_16_64 3
		.amdhsa_dx10_clamp 1
		.amdhsa_ieee_mode 1
		.amdhsa_fp16_overflow 0
		.amdhsa_workgroup_processor_mode 1
		.amdhsa_memory_ordered 1
		.amdhsa_forward_progress 0
		.amdhsa_shared_vgpr_count 0
		.amdhsa_exception_fp_ieee_invalid_op 0
		.amdhsa_exception_fp_denorm_src 0
		.amdhsa_exception_fp_ieee_div_zero 0
		.amdhsa_exception_fp_ieee_overflow 0
		.amdhsa_exception_fp_ieee_underflow 0
		.amdhsa_exception_fp_ieee_inexact 0
		.amdhsa_exception_int_div_zero 0
	.end_amdhsa_kernel
	.section	.text._ZN4vllm3moe17topkGatingSoftmaxItLi16ELi256ELi8ELi32ELb1ELi4ELNS0_23SharedExpertScoringFuncE1EEEvPKT_PKbPfiPiS9_iiiiii,"axG",@progbits,_ZN4vllm3moe17topkGatingSoftmaxItLi16ELi256ELi8ELi32ELb1ELi4ELNS0_23SharedExpertScoringFuncE1EEEvPKT_PKbPfiPiS9_iiiiii,comdat
.Lfunc_end294:
	.size	_ZN4vllm3moe17topkGatingSoftmaxItLi16ELi256ELi8ELi32ELb1ELi4ELNS0_23SharedExpertScoringFuncE1EEEvPKT_PKbPfiPiS9_iiiiii, .Lfunc_end294-_ZN4vllm3moe17topkGatingSoftmaxItLi16ELi256ELi8ELi32ELb1ELi4ELNS0_23SharedExpertScoringFuncE1EEEvPKT_PKbPfiPiS9_iiiiii
                                        ; -- End function
	.section	.AMDGPU.csdata,"",@progbits
; Kernel info:
; codeLenInByte = 4012
; NumSgprs: 21
; NumVgprs: 53
; ScratchSize: 0
; MemoryBound: 0
; FloatMode: 240
; IeeeMode: 1
; LDSByteSize: 0 bytes/workgroup (compile time only)
; SGPRBlocks: 2
; VGPRBlocks: 6
; NumSGPRsForWavesPerEU: 21
; NumVGPRsForWavesPerEU: 53
; Occupancy: 16
; WaveLimiterHint : 0
; COMPUTE_PGM_RSRC2:SCRATCH_EN: 0
; COMPUTE_PGM_RSRC2:USER_SGPR: 15
; COMPUTE_PGM_RSRC2:TRAP_HANDLER: 0
; COMPUTE_PGM_RSRC2:TGID_X_EN: 1
; COMPUTE_PGM_RSRC2:TGID_Y_EN: 0
; COMPUTE_PGM_RSRC2:TGID_Z_EN: 0
; COMPUTE_PGM_RSRC2:TIDIG_COMP_CNT: 1
	.section	.text._ZN4vllm3moe17topkGatingSoftmaxItLi16ELi256ELi8ELi32ELb0ELi4ELNS0_23SharedExpertScoringFuncE1EEEvPKT_PKbPfiPiS9_iiiiii,"axG",@progbits,_ZN4vllm3moe17topkGatingSoftmaxItLi16ELi256ELi8ELi32ELb0ELi4ELNS0_23SharedExpertScoringFuncE1EEEvPKT_PKbPfiPiS9_iiiiii,comdat
	.protected	_ZN4vllm3moe17topkGatingSoftmaxItLi16ELi256ELi8ELi32ELb0ELi4ELNS0_23SharedExpertScoringFuncE1EEEvPKT_PKbPfiPiS9_iiiiii ; -- Begin function _ZN4vllm3moe17topkGatingSoftmaxItLi16ELi256ELi8ELi32ELb0ELi4ELNS0_23SharedExpertScoringFuncE1EEEvPKT_PKbPfiPiS9_iiiiii
	.globl	_ZN4vllm3moe17topkGatingSoftmaxItLi16ELi256ELi8ELi32ELb0ELi4ELNS0_23SharedExpertScoringFuncE1EEEvPKT_PKbPfiPiS9_iiiiii
	.p2align	8
	.type	_ZN4vllm3moe17topkGatingSoftmaxItLi16ELi256ELi8ELi32ELb0ELi4ELNS0_23SharedExpertScoringFuncE1EEEvPKT_PKbPfiPiS9_iiiiii,@function
_ZN4vllm3moe17topkGatingSoftmaxItLi16ELi256ELi8ELi32ELb0ELi4ELNS0_23SharedExpertScoringFuncE1EEEvPKT_PKbPfiPiS9_iiiiii: ; @_ZN4vllm3moe17topkGatingSoftmaxItLi16ELi256ELi8ELi32ELb0ELi4ELNS0_23SharedExpertScoringFuncE1EEEvPKT_PKbPfiPiS9_iiiiii
; %bb.0:
	s_load_b32 s16, s[0:1], 0x18
	v_bfe_u32 v1, v0, 10, 10
	v_and_b32_e32 v0, 0x3ff, v0
	s_lshl_b32 s18, s15, 4
	s_mov_b32 s2, exec_lo
	s_delay_alu instid0(VALU_DEP_2) | instskip(NEXT) | instid1(VALU_DEP_2)
	v_lshlrev_b32_e32 v43, 1, v1
	v_lshrrev_b32_e32 v44, 4, v0
	s_delay_alu instid0(VALU_DEP_1) | instskip(SKIP_1) | instid1(VALU_DEP_1)
	v_add3_u32 v8, s18, v43, v44
	s_waitcnt lgkmcnt(0)
	v_cmpx_gt_i32_e64 s16, v8
	s_cbranch_execz .LBB295_23
; %bb.1:
	s_clause 0x1
	s_load_b128 s[4:7], s[0:1], 0x0
	s_load_b64 s[12:13], s[0:1], 0x10
	s_waitcnt lgkmcnt(0)
	s_cmp_eq_u64 s[6:7], 0
	s_cbranch_scc1 .LBB295_3
; %bb.2:
	v_ashrrev_i32_e32 v2, 31, v8
	v_add_co_u32 v1, vcc_lo, s6, v8
	s_delay_alu instid0(VALU_DEP_2) | instskip(SKIP_3) | instid1(VALU_DEP_1)
	v_add_co_ci_u32_e32 v2, vcc_lo, s7, v2, vcc_lo
	global_load_u8 v1, v[1:2], off
	s_waitcnt vmcnt(0)
	v_and_b32_e32 v1, 1, v1
	v_cmp_eq_u32_e32 vcc_lo, 1, v1
	s_xor_b32 s2, vcc_lo, -1
	s_delay_alu instid0(SALU_CYCLE_1)
	s_or_not1_b32 s17, s2, exec_lo
	s_branch .LBB295_4
.LBB295_3:
	s_mov_b32 s17, -1
.LBB295_4:
	s_load_b64 s[14:15], s[0:1], 0x40
	v_dual_mov_b32 v10, 0 :: v_dual_and_b32 v9, 15, v0
	s_mov_b32 s2, exec_lo
	s_delay_alu instid0(VALU_DEP_1) | instskip(SKIP_2) | instid1(VALU_DEP_1)
	v_lshlrev_b32_e32 v22, 4, v9
	s_waitcnt lgkmcnt(0)
	v_mul_lo_u32 v1, v8, s15
	v_ashrrev_i32_e32 v2, 31, v1
	s_delay_alu instid0(VALU_DEP_1) | instskip(SKIP_1) | instid1(VALU_DEP_2)
	v_lshlrev_b64 v[0:1], 1, v[1:2]
	v_lshlrev_b32_e32 v2, 5, v9
	v_add_co_u32 v11, vcc_lo, s4, v0
	s_delay_alu instid0(VALU_DEP_3) | instskip(SKIP_1) | instid1(VALU_DEP_2)
	v_add_co_ci_u32_e32 v12, vcc_lo, s5, v1, vcc_lo
	s_load_b128 s[4:7], s[0:1], 0x30
	v_add_co_u32 v4, vcc_lo, v11, v2
	s_delay_alu instid0(VALU_DEP_2)
	v_add_co_ci_u32_e32 v5, vcc_lo, 0, v12, vcc_lo
	s_clause 0x1
	global_load_b128 v[0:3], v[4:5], off offset:16
	global_load_b128 v[4:7], v[4:5], off
	v_cmpx_gt_u32_e32 4, v9
	s_cbranch_execz .LBB295_6
; %bb.5:
	v_lshlrev_b32_e32 v13, 1, v9
	s_delay_alu instid0(VALU_DEP_1) | instskip(SKIP_4) | instid1(VALU_DEP_1)
	v_add_co_u32 v11, vcc_lo, v11, v13
	v_add_co_ci_u32_e32 v12, vcc_lo, 0, v12, vcc_lo
	global_load_u16 v11, v[11:12], off offset:512
	s_waitcnt vmcnt(0)
	v_cvt_f32_u32_e32 v11, v11
	v_mul_f32_e32 v12, 0xbfb8aa3b, v11
	v_cmp_nlt_f32_e32 vcc_lo, 0x42ce8ed0, v11
	s_delay_alu instid0(VALU_DEP_2) | instskip(SKIP_1) | instid1(VALU_DEP_1)
	v_fma_f32 v13, 0xbfb8aa3b, v11, -v12
	v_rndne_f32_e32 v14, v12
	v_dual_fmamk_f32 v13, v11, 0xb2a5705f, v13 :: v_dual_sub_f32 v12, v12, v14
	s_delay_alu instid0(VALU_DEP_1) | instskip(SKIP_1) | instid1(VALU_DEP_2)
	v_add_f32_e32 v12, v12, v13
	v_cvt_i32_f32_e32 v13, v14
	v_exp_f32_e32 v12, v12
	s_waitcnt_depctr 0xfff
	v_ldexp_f32 v12, v12, v13
	s_delay_alu instid0(VALU_DEP_1) | instskip(SKIP_1) | instid1(VALU_DEP_2)
	v_cndmask_b32_e32 v12, 0, v12, vcc_lo
	v_cmp_ngt_f32_e32 vcc_lo, 0xc2b17218, v11
	v_cndmask_b32_e32 v11, 0x7f800000, v12, vcc_lo
	s_delay_alu instid0(VALU_DEP_1) | instskip(NEXT) | instid1(VALU_DEP_1)
	v_add_f32_e32 v13, 1.0, v11
	v_div_scale_f32 v12, null, v13, v13, 1.0
	v_div_scale_f32 v15, vcc_lo, 1.0, v13, 1.0
	s_delay_alu instid0(VALU_DEP_2) | instskip(SKIP_2) | instid1(VALU_DEP_1)
	v_rcp_f32_e32 v14, v12
	s_waitcnt_depctr 0xfff
	v_fma_f32 v11, -v12, v14, 1.0
	v_fmac_f32_e32 v14, v11, v14
	s_waitcnt lgkmcnt(0)
	v_mul_lo_u32 v11, v8, s7
	s_delay_alu instid0(VALU_DEP_2) | instskip(NEXT) | instid1(VALU_DEP_2)
	v_mul_f32_e32 v16, v15, v14
	v_add3_u32 v11, v11, s4, v9
	s_delay_alu instid0(VALU_DEP_2) | instskip(NEXT) | instid1(VALU_DEP_1)
	v_fma_f32 v17, -v12, v16, v15
	v_fmac_f32_e32 v16, v17, v14
	s_delay_alu instid0(VALU_DEP_1) | instskip(NEXT) | instid1(VALU_DEP_4)
	v_fma_f32 v15, -v12, v16, v15
	v_ashrrev_i32_e32 v12, 31, v11
	s_delay_alu instid0(VALU_DEP_2) | instskip(NEXT) | instid1(VALU_DEP_2)
	v_div_fmas_f32 v14, v15, v14, v16
	v_lshlrev_b64 v[11:12], 2, v[11:12]
	s_delay_alu instid0(VALU_DEP_2) | instskip(NEXT) | instid1(VALU_DEP_2)
	v_div_fixup_f32 v13, v14, v13, 1.0
	v_add_co_u32 v11, vcc_lo, s12, v11
	s_delay_alu instid0(VALU_DEP_3)
	v_add_co_ci_u32_e32 v12, vcc_lo, s13, v12, vcc_lo
	global_store_b32 v[11:12], v13, off
.LBB295_6:
	s_or_b32 exec_lo, exec_lo, s2
	v_or_b32_e32 v29, 2, v22
	s_waitcnt vmcnt(0)
	v_and_b32_e32 v11, 0xffff, v4
	v_lshrrev_b32_e32 v4, 16, v4
	v_or_b32_e32 v28, 1, v22
	v_or_b32_e32 v30, 3, v22
	;; [unrolled: 1-line block ×3, first 2 shown]
	v_cvt_f32_u32_e32 v25, v11
	v_cvt_f32_u32_e32 v23, v4
	v_or_b32_e32 v32, 5, v22
	v_or_b32_e32 v33, 6, v22
	;; [unrolled: 1-line block ×4, first 2 shown]
	v_cmp_lt_f32_e32 vcc_lo, v25, v23
	v_and_b32_e32 v4, 0xffff, v5
	v_lshrrev_b32_e32 v5, 16, v5
	v_or_b32_e32 v36, 9, v22
	v_or_b32_e32 v37, 10, v22
	v_cndmask_b32_e32 v11, v25, v23, vcc_lo
	v_cvt_f32_u32_e32 v27, v4
	v_cndmask_b32_e32 v4, v22, v28, vcc_lo
	v_cvt_f32_u32_e32 v26, v5
	v_or_b32_e32 v38, 11, v22
	v_or_b32_e32 v39, 12, v22
	v_cmp_lt_f32_e32 vcc_lo, v11, v27
	v_or_b32_e32 v40, 13, v22
	v_or_b32_e32 v41, 14, v22
	v_or_b32_e32 v42, 15, v22
	v_dual_cndmask_b32 v5, v11, v27 :: v_dual_cndmask_b32 v4, v4, v29
	s_delay_alu instid0(VALU_DEP_1) | instskip(SKIP_1) | instid1(VALU_DEP_3)
	v_cmp_lt_f32_e32 vcc_lo, v5, v26
	v_cndmask_b32_e32 v5, v5, v26, vcc_lo
	v_cndmask_b32_e32 v4, v4, v30, vcc_lo
	v_and_b32_e32 v11, 0xffff, v6
	v_lshrrev_b32_e32 v6, 16, v6
	s_delay_alu instid0(VALU_DEP_2) | instskip(NEXT) | instid1(VALU_DEP_2)
	v_cvt_f32_u32_e32 v24, v11
	v_cvt_f32_u32_e32 v21, v6
	v_and_b32_e32 v6, 0xffff, v7
	s_delay_alu instid0(VALU_DEP_3) | instskip(NEXT) | instid1(VALU_DEP_2)
	v_cmp_lt_f32_e32 vcc_lo, v5, v24
	v_cvt_f32_u32_e32 v20, v6
	v_lshrrev_b32_e32 v6, 16, v7
	v_dual_cndmask_b32 v5, v5, v24 :: v_dual_cndmask_b32 v4, v4, v31
	s_delay_alu instid0(VALU_DEP_2) | instskip(NEXT) | instid1(VALU_DEP_2)
	v_cvt_f32_u32_e32 v19, v6
	v_cmp_lt_f32_e32 vcc_lo, v5, v21
	s_delay_alu instid0(VALU_DEP_3) | instskip(NEXT) | instid1(VALU_DEP_1)
	v_dual_cndmask_b32 v4, v4, v32 :: v_dual_cndmask_b32 v5, v5, v21
	v_cmp_lt_f32_e32 vcc_lo, v5, v20
	s_delay_alu instid0(VALU_DEP_2) | instskip(NEXT) | instid1(VALU_DEP_1)
	v_dual_cndmask_b32 v4, v4, v33 :: v_dual_cndmask_b32 v5, v5, v20
	v_cmp_lt_f32_e32 vcc_lo, v5, v19
	v_and_b32_e32 v6, 0xffff, v0
	v_lshrrev_b32_e32 v0, 16, v0
	v_cndmask_b32_e32 v5, v5, v19, vcc_lo
	s_delay_alu instid0(VALU_DEP_3) | instskip(SKIP_1) | instid1(VALU_DEP_4)
	v_cvt_f32_u32_e32 v18, v6
	v_cndmask_b32_e32 v4, v4, v34, vcc_lo
	v_cvt_f32_u32_e32 v17, v0
	s_delay_alu instid0(VALU_DEP_3) | instskip(NEXT) | instid1(VALU_DEP_3)
	v_cmp_lt_f32_e32 vcc_lo, v5, v18
	v_cndmask_b32_e32 v0, v4, v35, vcc_lo
	v_dual_cndmask_b32 v4, v5, v18 :: v_dual_and_b32 v5, 0xffff, v1
	v_lshrrev_b32_e32 v1, 16, v1
	s_delay_alu instid0(VALU_DEP_2) | instskip(NEXT) | instid1(VALU_DEP_3)
	v_cmp_lt_f32_e32 vcc_lo, v4, v17
	v_cvt_f32_u32_e32 v16, v5
	s_delay_alu instid0(VALU_DEP_3) | instskip(SKIP_2) | instid1(VALU_DEP_2)
	v_cvt_f32_u32_e32 v15, v1
	v_cndmask_b32_e32 v4, v4, v17, vcc_lo
	v_cndmask_b32_e32 v0, v0, v36, vcc_lo
	v_cmp_lt_f32_e32 vcc_lo, v4, v16
	v_dual_cndmask_b32 v1, v4, v16 :: v_dual_and_b32 v4, 0xffff, v2
	v_lshrrev_b32_e32 v2, 16, v2
	s_delay_alu instid0(VALU_DEP_2) | instskip(NEXT) | instid1(VALU_DEP_2)
	v_cvt_f32_u32_e32 v13, v4
	v_cvt_f32_u32_e32 v12, v2
	v_and_b32_e32 v2, 0xffff, v3
	s_delay_alu instid0(VALU_DEP_1) | instskip(SKIP_4) | instid1(VALU_DEP_2)
	v_cvt_f32_u32_e32 v11, v2
	v_cndmask_b32_e32 v0, v0, v37, vcc_lo
	v_cmp_lt_f32_e32 vcc_lo, v1, v15
	v_lshrrev_b32_e32 v2, 16, v3
	v_cndmask_b32_e32 v1, v1, v15, vcc_lo
	v_cvt_f32_u32_e32 v7, v2
	v_cndmask_b32_e32 v0, v0, v38, vcc_lo
	s_delay_alu instid0(VALU_DEP_3) | instskip(NEXT) | instid1(VALU_DEP_2)
	v_cmp_lt_f32_e32 vcc_lo, v1, v13
	v_dual_cndmask_b32 v1, v1, v13 :: v_dual_cndmask_b32 v0, v0, v39
	s_delay_alu instid0(VALU_DEP_1) | instskip(SKIP_1) | instid1(VALU_DEP_3)
	v_cmp_lt_f32_e32 vcc_lo, v1, v12
	v_cndmask_b32_e32 v1, v1, v12, vcc_lo
	v_cndmask_b32_e32 v0, v0, v40, vcc_lo
	s_delay_alu instid0(VALU_DEP_2) | instskip(NEXT) | instid1(VALU_DEP_2)
	v_cmp_lt_f32_e32 vcc_lo, v1, v11
	v_dual_cndmask_b32 v1, v1, v11 :: v_dual_cndmask_b32 v0, v0, v41
	s_delay_alu instid0(VALU_DEP_1) | instskip(NEXT) | instid1(VALU_DEP_2)
	v_cmp_lt_f32_e32 vcc_lo, v1, v7
	v_dual_cndmask_b32 v0, v0, v42 :: v_dual_cndmask_b32 v1, v1, v7
	s_delay_alu instid0(VALU_DEP_1) | instskip(NEXT) | instid1(VALU_DEP_2)
	v_mov_b32_dpp v2, v0 quad_perm:[1,0,3,2] row_mask:0xf bank_mask:0xf
	v_mov_b32_dpp v3, v1 quad_perm:[1,0,3,2] row_mask:0xf bank_mask:0xf
	s_delay_alu instid0(VALU_DEP_2) | instskip(NEXT) | instid1(VALU_DEP_2)
	v_cmp_lt_i32_e32 vcc_lo, v2, v0
	v_cmp_eq_f32_e64 s2, v1, v3
	v_cmp_lt_f32_e64 s3, v1, v3
	s_delay_alu instid0(VALU_DEP_2)
	s_and_b32 s2, s2, vcc_lo
	s_delay_alu instid0(VALU_DEP_1) | instid1(SALU_CYCLE_1)
	s_or_b32 vcc_lo, s3, s2
	v_dual_cndmask_b32 v1, v1, v3 :: v_dual_cndmask_b32 v0, v0, v2
	s_delay_alu instid0(VALU_DEP_1) | instskip(NEXT) | instid1(VALU_DEP_2)
	v_mov_b32_dpp v2, v1 quad_perm:[2,3,0,1] row_mask:0xf bank_mask:0xf
	v_mov_b32_dpp v3, v0 quad_perm:[2,3,0,1] row_mask:0xf bank_mask:0xf
	s_delay_alu instid0(VALU_DEP_2) | instskip(NEXT) | instid1(VALU_DEP_2)
	v_cmp_eq_f32_e32 vcc_lo, v1, v2
	v_cmp_lt_i32_e64 s2, v3, v0
	v_cmp_lt_f32_e64 s3, v1, v2
	s_delay_alu instid0(VALU_DEP_2)
	s_and_b32 s2, vcc_lo, s2
	s_delay_alu instid0(VALU_DEP_1) | instid1(SALU_CYCLE_1)
	s_or_b32 vcc_lo, s3, s2
	v_dual_cndmask_b32 v1, v1, v2 :: v_dual_cndmask_b32 v0, v0, v3
	s_delay_alu instid0(VALU_DEP_1) | instskip(NEXT) | instid1(VALU_DEP_2)
	v_mov_b32_dpp v2, v1 row_half_mirror row_mask:0xf bank_mask:0xf
	v_mov_b32_dpp v3, v0 row_half_mirror row_mask:0xf bank_mask:0xf
	s_delay_alu instid0(VALU_DEP_2) | instskip(NEXT) | instid1(VALU_DEP_2)
	v_cmp_eq_f32_e32 vcc_lo, v1, v2
	v_cmp_lt_i32_e64 s2, v3, v0
	v_cmp_lt_f32_e64 s3, v1, v2
	s_delay_alu instid0(VALU_DEP_2)
	s_and_b32 s2, vcc_lo, s2
	s_delay_alu instid0(VALU_DEP_1) | instid1(SALU_CYCLE_1)
	s_or_b32 vcc_lo, s3, s2
	v_dual_cndmask_b32 v1, v1, v2 :: v_dual_cndmask_b32 v0, v0, v3
	s_delay_alu instid0(VALU_DEP_1) | instskip(NEXT) | instid1(VALU_DEP_2)
	v_mov_b32_dpp v3, v1 row_mirror row_mask:0xf bank_mask:0xf
	v_mov_b32_dpp v2, v0 row_mirror row_mask:0xf bank_mask:0xf
	s_delay_alu instid0(VALU_DEP_2) | instskip(NEXT) | instid1(VALU_DEP_2)
	v_cmp_eq_f32_e32 vcc_lo, v1, v3
	v_cmp_lt_i32_e64 s2, v2, v0
	v_cmp_lt_f32_e64 s3, v1, v3
	s_delay_alu instid0(VALU_DEP_2) | instskip(SKIP_1) | instid1(VALU_DEP_2)
	s_and_b32 s2, vcc_lo, s2
	v_cmp_eq_u32_e32 vcc_lo, 0, v9
	s_or_b32 s2, s3, s2
	s_waitcnt lgkmcnt(0)
	s_cmp_gt_i32 s4, 0
	v_cndmask_b32_e64 v14, v1, v3, s2
	s_cselect_b32 s3, -1, 0
	s_cmp_lt_i32 s4, 1
	s_cbranch_scc1 .LBB295_18
; %bb.7:
	s_load_b128 s[8:11], s[0:1], 0x20
	v_mul_lo_u32 v1, v8, s7
	v_mul_lo_u32 v3, v8, s14
	;; [unrolled: 1-line block ×3, first 2 shown]
	v_cndmask_b32_e64 v0, v0, v2, s2
	v_mov_b32_e32 v10, 0
	s_and_saveexec_b32 s2, vcc_lo
	s_cbranch_execz .LBB295_9
; %bb.8:
	v_sub_f32_e32 v10, v14, v14
	v_cmp_le_i32_e64 s0, s5, v0
	v_cmp_gt_i32_e64 s1, s6, v0
	v_subrev_nc_u32_e32 v51, s5, v0
	v_ashrrev_i32_e32 v6, 31, v5
	v_mul_f32_e32 v2, 0x3fb8aa3b, v10
	s_delay_alu instid0(VALU_DEP_4) | instskip(NEXT) | instid1(SALU_CYCLE_1)
	s_and_b32 s0, s0, s1
	s_and_b32 s0, s17, s0
	s_delay_alu instid0(VALU_DEP_1) | instskip(SKIP_2) | instid1(VALU_DEP_3)
	v_rndne_f32_e32 v47, v2
	v_fma_f32 v4, 0x3fb8aa3b, v10, -v2
	v_lshlrev_b64 v[49:50], 2, v[5:6]
	v_sub_f32_e32 v2, v2, v47
	s_delay_alu instid0(VALU_DEP_3) | instskip(NEXT) | instid1(VALU_DEP_1)
	v_fmamk_f32 v4, v10, 0x32a5705f, v4
	v_add_f32_e32 v4, v2, v4
	v_ashrrev_i32_e32 v2, 31, v1
	s_delay_alu instid0(VALU_DEP_2) | instskip(NEXT) | instid1(VALU_DEP_1)
	v_exp_f32_e32 v52, v4
	v_lshlrev_b64 v[45:46], 2, v[1:2]
	v_ashrrev_i32_e32 v4, 31, v3
	v_cvt_i32_f32_e32 v2, v47
	s_delay_alu instid0(VALU_DEP_2) | instskip(SKIP_2) | instid1(VALU_DEP_1)
	v_lshlrev_b64 v[47:48], 2, v[3:4]
	v_cndmask_b32_e64 v4, 0x100, v51, s0
	v_add_co_u32 v45, s0, s12, v45
	v_add_co_ci_u32_e64 v46, s0, s13, v46, s0
	s_delay_alu instid0(TRANS32_DEP_1) | instskip(SKIP_1) | instid1(VALU_DEP_1)
	v_ldexp_f32 v2, v52, v2
	v_cmp_ngt_f32_e64 s0, 0xc2ce8ed0, v10
	v_cndmask_b32_e64 v2, 0, v2, s0
	s_waitcnt lgkmcnt(0)
	v_add_co_u32 v47, s0, s8, v47
	s_delay_alu instid0(VALU_DEP_1) | instskip(SKIP_1) | instid1(VALU_DEP_1)
	v_add_co_ci_u32_e64 v48, s0, s9, v48, s0
	v_cmp_nlt_f32_e64 s0, 0x42b17218, v10
	v_cndmask_b32_e64 v10, 0x7f800000, v2, s0
	v_add_co_u32 v49, s0, s10, v49
	s_delay_alu instid0(VALU_DEP_1)
	v_add_co_ci_u32_e64 v50, s0, s11, v50, s0
	global_store_b32 v[47:48], v4, off
	global_store_b32 v[45:46], v10, off
	;; [unrolled: 1-line block ×3, first 2 shown]
.LBB295_9:
	s_or_b32 exec_lo, exec_lo, s2
	v_ashrrev_i32_e32 v4, 31, v0
	s_mov_b32 s1, exec_lo
	s_delay_alu instid0(VALU_DEP_1) | instskip(NEXT) | instid1(VALU_DEP_1)
	v_lshrrev_b32_e32 v2, 28, v4
	v_add_nc_u32_e32 v2, v0, v2
	s_delay_alu instid0(VALU_DEP_1) | instskip(NEXT) | instid1(VALU_DEP_1)
	v_ashrrev_i32_e32 v2, 4, v2
	v_lshrrev_b32_e32 v6, 28, v2
	s_delay_alu instid0(VALU_DEP_1) | instskip(NEXT) | instid1(VALU_DEP_1)
	v_add_nc_u32_e32 v6, v2, v6
	v_and_b32_e32 v6, -16, v6
	s_delay_alu instid0(VALU_DEP_1) | instskip(NEXT) | instid1(VALU_DEP_1)
	v_sub_nc_u32_e32 v6, v2, v6
	v_cmpx_eq_u32_e64 v9, v6
	s_cbranch_execz .LBB295_11
; %bb.10:
	v_lshrrev_b32_e32 v4, 24, v4
	v_lshlrev_b32_e32 v2, 4, v2
	s_delay_alu instid0(VALU_DEP_2) | instskip(NEXT) | instid1(VALU_DEP_2)
	v_add_nc_u32_e32 v4, v0, v4
	v_sub_nc_u32_e32 v0, v0, v2
	s_delay_alu instid0(VALU_DEP_2) | instskip(NEXT) | instid1(VALU_DEP_1)
	v_ashrrev_i32_e32 v2, 8, v4
	v_lshl_add_u32 v0, v2, 4, v0
	s_delay_alu instid0(VALU_DEP_1) | instskip(NEXT) | instid1(VALU_DEP_1)
	v_cmp_ne_u32_e64 s0, 15, v0
	v_cndmask_b32_e64 v7, 0xff800000, v7, s0
	v_cmp_ne_u32_e64 s0, 14, v0
	s_delay_alu instid0(VALU_DEP_1) | instskip(SKIP_1) | instid1(VALU_DEP_1)
	v_cndmask_b32_e64 v11, 0xff800000, v11, s0
	v_cmp_ne_u32_e64 s0, 13, v0
	v_cndmask_b32_e64 v12, 0xff800000, v12, s0
	v_cmp_ne_u32_e64 s0, 12, v0
	s_delay_alu instid0(VALU_DEP_1) | instskip(SKIP_1) | instid1(VALU_DEP_1)
	v_cndmask_b32_e64 v13, 0xff800000, v13, s0
	;; [unrolled: 5-line block ×7, first 2 shown]
	v_cmp_ne_u32_e64 s0, 1, v0
	v_cndmask_b32_e64 v23, 0xff800000, v23, s0
	v_cmp_ne_u32_e64 s0, 0, v0
	s_delay_alu instid0(VALU_DEP_1)
	v_cndmask_b32_e64 v25, 0xff800000, v25, s0
.LBB295_11:
	s_or_b32 exec_lo, exec_lo, s1
	s_cmp_eq_u32 s4, 1
	s_cbranch_scc1 .LBB295_18
; %bb.12:
	s_add_i32 s18, s18, s16
	v_add_nc_u32_e32 v0, 1, v5
	v_add3_u32 v6, s18, v44, v43
	v_add_nc_u32_e32 v2, 1, v3
	v_add_nc_u32_e32 v4, 1, v1
	s_add_i32 s14, s4, -1
	s_branch .LBB295_14
.LBB295_13:                             ;   in Loop: Header=BB295_14 Depth=1
	s_or_b32 exec_lo, exec_lo, s1
	v_add_nc_u32_e32 v6, s16, v6
	v_add_nc_u32_e32 v0, 1, v0
	;; [unrolled: 1-line block ×4, first 2 shown]
	s_add_i32 s14, s14, -1
	s_delay_alu instid0(SALU_CYCLE_1)
	s_cmp_eq_u32 s14, 0
	s_cbranch_scc1 .LBB295_18
.LBB295_14:                             ; =>This Inner Loop Header: Depth=1
	v_cmp_gt_f32_e64 s0, v23, v25
	s_delay_alu instid0(VALU_DEP_1) | instskip(SKIP_1) | instid1(VALU_DEP_2)
	v_cndmask_b32_e64 v3, v25, v23, s0
	v_cndmask_b32_e64 v1, v22, v28, s0
	v_cmp_gt_f32_e64 s0, v27, v3
	s_delay_alu instid0(VALU_DEP_1) | instskip(NEXT) | instid1(VALU_DEP_3)
	v_cndmask_b32_e64 v3, v3, v27, s0
	v_cndmask_b32_e64 v1, v1, v29, s0
	s_delay_alu instid0(VALU_DEP_2) | instskip(NEXT) | instid1(VALU_DEP_1)
	v_cmp_gt_f32_e64 s0, v26, v3
	v_cndmask_b32_e64 v3, v3, v26, s0
	s_delay_alu instid0(VALU_DEP_3) | instskip(NEXT) | instid1(VALU_DEP_2)
	v_cndmask_b32_e64 v1, v1, v30, s0
	v_cmp_gt_f32_e64 s0, v24, v3
	s_delay_alu instid0(VALU_DEP_1) | instskip(NEXT) | instid1(VALU_DEP_3)
	v_cndmask_b32_e64 v3, v3, v24, s0
	v_cndmask_b32_e64 v1, v1, v31, s0
	s_delay_alu instid0(VALU_DEP_2) | instskip(NEXT) | instid1(VALU_DEP_1)
	v_cmp_gt_f32_e64 s0, v21, v3
	v_cndmask_b32_e64 v3, v3, v21, s0
	s_delay_alu instid0(VALU_DEP_3) | instskip(NEXT) | instid1(VALU_DEP_2)
	;; [unrolled: 9-line block ×6, first 2 shown]
	v_cndmask_b32_e64 v1, v1, v40, s0
	v_cmp_gt_f32_e64 s0, v11, v3
	s_delay_alu instid0(VALU_DEP_1) | instskip(NEXT) | instid1(VALU_DEP_3)
	v_cndmask_b32_e64 v3, v3, v11, s0
	v_cndmask_b32_e64 v1, v1, v41, s0
	s_delay_alu instid0(VALU_DEP_2) | instskip(NEXT) | instid1(VALU_DEP_1)
	v_cmp_gt_f32_e64 s0, v7, v3
	v_cndmask_b32_e64 v1, v1, v42, s0
	v_cndmask_b32_e64 v3, v3, v7, s0
	s_delay_alu instid0(VALU_DEP_2) | instskip(NEXT) | instid1(VALU_DEP_2)
	v_mov_b32_dpp v5, v1 quad_perm:[1,0,3,2] row_mask:0xf bank_mask:0xf
	v_mov_b32_dpp v43, v3 quad_perm:[1,0,3,2] row_mask:0xf bank_mask:0xf
	s_delay_alu instid0(VALU_DEP_2) | instskip(NEXT) | instid1(VALU_DEP_2)
	v_cmp_lt_i32_e64 s0, v5, v1
	v_cmp_eq_f32_e64 s1, v3, v43
	v_cmp_lt_f32_e64 s2, v3, v43
	s_delay_alu instid0(VALU_DEP_2)
	s_and_b32 s0, s1, s0
	s_delay_alu instid0(VALU_DEP_1) | instid1(SALU_CYCLE_1)
	s_or_b32 s0, s2, s0
	s_delay_alu instid0(SALU_CYCLE_1) | instskip(SKIP_1) | instid1(VALU_DEP_2)
	v_cndmask_b32_e64 v3, v3, v43, s0
	v_cndmask_b32_e64 v1, v1, v5, s0
	v_mov_b32_dpp v5, v3 quad_perm:[2,3,0,1] row_mask:0xf bank_mask:0xf
	s_delay_alu instid0(VALU_DEP_2) | instskip(NEXT) | instid1(VALU_DEP_2)
	v_mov_b32_dpp v43, v1 quad_perm:[2,3,0,1] row_mask:0xf bank_mask:0xf
	v_cmp_eq_f32_e64 s0, v3, v5
	s_delay_alu instid0(VALU_DEP_2) | instskip(SKIP_1) | instid1(VALU_DEP_2)
	v_cmp_lt_i32_e64 s1, v43, v1
	v_cmp_lt_f32_e64 s2, v3, v5
	s_and_b32 s0, s0, s1
	s_delay_alu instid0(VALU_DEP_1) | instid1(SALU_CYCLE_1)
	s_or_b32 s0, s2, s0
	s_delay_alu instid0(SALU_CYCLE_1) | instskip(SKIP_1) | instid1(VALU_DEP_2)
	v_cndmask_b32_e64 v3, v3, v5, s0
	v_cndmask_b32_e64 v5, v1, v43, s0
	v_mov_b32_dpp v1, v3 row_half_mirror row_mask:0xf bank_mask:0xf
	s_delay_alu instid0(VALU_DEP_2) | instskip(NEXT) | instid1(VALU_DEP_2)
	v_mov_b32_dpp v43, v5 row_half_mirror row_mask:0xf bank_mask:0xf
	v_cmp_eq_f32_e64 s0, v3, v1
	s_delay_alu instid0(VALU_DEP_2) | instskip(SKIP_1) | instid1(VALU_DEP_2)
	v_cmp_lt_i32_e64 s1, v43, v5
	v_cmp_lt_f32_e64 s2, v3, v1
	s_and_b32 s0, s0, s1
	s_delay_alu instid0(VALU_DEP_1) | instid1(SALU_CYCLE_1)
	s_or_b32 s0, s2, s0
	s_delay_alu instid0(SALU_CYCLE_1) | instskip(SKIP_1) | instid1(VALU_DEP_2)
	v_cndmask_b32_e64 v1, v3, v1, s0
	v_cndmask_b32_e64 v5, v5, v43, s0
	v_mov_b32_dpp v3, v1 row_mirror row_mask:0xf bank_mask:0xf
	s_delay_alu instid0(VALU_DEP_2) | instskip(NEXT) | instid1(VALU_DEP_2)
	v_mov_b32_dpp v43, v5 row_mirror row_mask:0xf bank_mask:0xf
	v_cmp_eq_f32_e64 s0, v1, v3
	s_delay_alu instid0(VALU_DEP_2) | instskip(SKIP_1) | instid1(VALU_DEP_2)
	v_cmp_lt_i32_e64 s1, v43, v5
	v_cmp_lt_f32_e64 s2, v1, v3
	s_and_b32 s0, s0, s1
	s_delay_alu instid0(VALU_DEP_1) | instid1(SALU_CYCLE_1)
	s_or_b32 s0, s2, s0
	s_delay_alu instid0(SALU_CYCLE_1)
	v_cndmask_b32_e64 v43, v5, v43, s0
	s_and_saveexec_b32 s2, vcc_lo
	s_cbranch_execz .LBB295_16
; %bb.15:                               ;   in Loop: Header=BB295_14 Depth=1
	v_cndmask_b32_e64 v1, v1, v3, s0
	s_delay_alu instid0(VALU_DEP_2) | instskip(SKIP_4) | instid1(VALU_DEP_4)
	v_cmp_le_i32_e64 s0, s5, v43
	v_cmp_gt_i32_e64 s1, s6, v43
	v_ashrrev_i32_e32 v5, 31, v4
	v_subrev_nc_u32_e32 v51, s5, v43
	v_sub_f32_e32 v50, v1, v14
	s_and_b32 s0, s0, s1
	s_delay_alu instid0(SALU_CYCLE_1) | instskip(NEXT) | instid1(VALU_DEP_1)
	s_and_b32 s0, s17, s0
	v_mul_f32_e32 v1, 0x3fb8aa3b, v50
	s_delay_alu instid0(VALU_DEP_1) | instskip(SKIP_1) | instid1(VALU_DEP_2)
	v_fma_f32 v3, 0x3fb8aa3b, v50, -v1
	v_rndne_f32_e32 v44, v1
	v_fmac_f32_e32 v3, 0x32a5705f, v50
	s_delay_alu instid0(VALU_DEP_2) | instskip(SKIP_2) | instid1(VALU_DEP_3)
	v_sub_f32_e32 v1, v1, v44
	v_cvt_i32_f32_e32 v49, v44
	v_lshlrev_b64 v[44:45], 2, v[4:5]
	v_add_f32_e32 v1, v1, v3
	v_ashrrev_i32_e32 v3, 31, v2
	s_delay_alu instid0(VALU_DEP_2) | instskip(SKIP_1) | instid1(VALU_DEP_2)
	v_exp_f32_e32 v48, v1
	v_ashrrev_i32_e32 v1, 31, v0
	v_lshlrev_b64 v[46:47], 2, v[2:3]
	s_waitcnt_depctr 0xfff
	v_ldexp_f32 v3, v48, v49
	v_lshlrev_b64 v[48:49], 2, v[0:1]
	v_cndmask_b32_e64 v1, 0x100, v51, s0
	v_cmp_ngt_f32_e64 s0, 0xc2ce8ed0, v50
	s_delay_alu instid0(VALU_DEP_1) | instskip(SKIP_1) | instid1(VALU_DEP_1)
	v_cndmask_b32_e64 v3, 0, v3, s0
	v_add_co_u32 v44, s0, s12, v44
	v_add_co_ci_u32_e64 v45, s0, s13, v45, s0
	v_cmp_nlt_f32_e64 s0, 0x42b17218, v50
	s_delay_alu instid0(VALU_DEP_1) | instskip(SKIP_2) | instid1(VALU_DEP_1)
	v_cndmask_b32_e64 v3, 0x7f800000, v3, s0
	s_waitcnt lgkmcnt(0)
	v_add_co_u32 v46, s0, s8, v46
	v_add_co_ci_u32_e64 v47, s0, s9, v47, s0
	s_delay_alu instid0(VALU_DEP_3) | instskip(SKIP_1) | instid1(VALU_DEP_1)
	v_add_f32_e32 v10, v10, v3
	v_add_co_u32 v48, s0, s10, v48
	v_add_co_ci_u32_e64 v49, s0, s11, v49, s0
	global_store_b32 v[44:45], v3, off
	global_store_b32 v[46:47], v1, off
	;; [unrolled: 1-line block ×3, first 2 shown]
.LBB295_16:                             ;   in Loop: Header=BB295_14 Depth=1
	s_or_b32 exec_lo, exec_lo, s2
	s_delay_alu instid0(VALU_DEP_1) | instskip(SKIP_1) | instid1(VALU_DEP_1)
	v_ashrrev_i32_e32 v3, 31, v43
	s_mov_b32 s1, exec_lo
	v_lshrrev_b32_e32 v1, 28, v3
	s_delay_alu instid0(VALU_DEP_1) | instskip(NEXT) | instid1(VALU_DEP_1)
	v_add_nc_u32_e32 v1, v43, v1
	v_ashrrev_i32_e32 v1, 4, v1
	s_delay_alu instid0(VALU_DEP_1) | instskip(NEXT) | instid1(VALU_DEP_1)
	v_lshrrev_b32_e32 v5, 28, v1
	v_add_nc_u32_e32 v5, v1, v5
	s_delay_alu instid0(VALU_DEP_1) | instskip(NEXT) | instid1(VALU_DEP_1)
	v_and_b32_e32 v5, -16, v5
	v_sub_nc_u32_e32 v5, v1, v5
	s_delay_alu instid0(VALU_DEP_1)
	v_cmpx_eq_u32_e64 v9, v5
	s_cbranch_execz .LBB295_13
; %bb.17:                               ;   in Loop: Header=BB295_14 Depth=1
	v_lshrrev_b32_e32 v3, 24, v3
	v_lshlrev_b32_e32 v1, 4, v1
	s_delay_alu instid0(VALU_DEP_2) | instskip(NEXT) | instid1(VALU_DEP_2)
	v_add_nc_u32_e32 v3, v43, v3
	v_sub_nc_u32_e32 v1, v43, v1
	s_delay_alu instid0(VALU_DEP_2) | instskip(NEXT) | instid1(VALU_DEP_1)
	v_ashrrev_i32_e32 v3, 8, v3
	v_lshl_add_u32 v1, v3, 4, v1
	s_delay_alu instid0(VALU_DEP_1) | instskip(NEXT) | instid1(VALU_DEP_1)
	v_cmp_ne_u32_e64 s0, 15, v1
	v_cndmask_b32_e64 v7, 0xff800000, v7, s0
	v_cmp_ne_u32_e64 s0, 14, v1
	s_delay_alu instid0(VALU_DEP_1) | instskip(SKIP_1) | instid1(VALU_DEP_1)
	v_cndmask_b32_e64 v11, 0xff800000, v11, s0
	v_cmp_ne_u32_e64 s0, 13, v1
	v_cndmask_b32_e64 v12, 0xff800000, v12, s0
	v_cmp_ne_u32_e64 s0, 12, v1
	s_delay_alu instid0(VALU_DEP_1) | instskip(SKIP_1) | instid1(VALU_DEP_1)
	v_cndmask_b32_e64 v13, 0xff800000, v13, s0
	;; [unrolled: 5-line block ×7, first 2 shown]
	v_cmp_ne_u32_e64 s0, 1, v1
	v_cndmask_b32_e64 v23, 0xff800000, v23, s0
	v_cmp_ne_u32_e64 s0, 0, v1
	s_delay_alu instid0(VALU_DEP_1)
	v_cndmask_b32_e64 v25, 0xff800000, v25, s0
	s_branch .LBB295_13
.LBB295_18:
	s_delay_alu instid0(VALU_DEP_1)
	v_sub_f32_e32 v3, v27, v14
	v_sub_f32_e32 v5, v26, v14
	;; [unrolled: 1-line block ×6, first 2 shown]
	v_mul_f32_e32 v27, 0x3fb8aa3b, v5
	v_dual_sub_f32 v1, v23, v14 :: v_dual_mul_f32 v2, 0x3fb8aa3b, v0
	v_cmp_ngt_f32_e32 vcc_lo, 0xc2ce8ed0, v0
	v_sub_f32_e32 v19, v19, v14
	s_delay_alu instid0(VALU_DEP_4) | instskip(NEXT) | instid1(VALU_DEP_4)
	v_rndne_f32_e32 v30, v27
	v_mul_f32_e32 v4, 0x3fb8aa3b, v1
	v_fma_f32 v22, 0x3fb8aa3b, v0, -v2
	v_rndne_f32_e32 v23, v2
	v_mul_f32_e32 v26, 0x3fb8aa3b, v3
	v_fma_f32 v29, 0x3fb8aa3b, v5, -v27
	v_sub_f32_e32 v6, v24, v14
	v_fma_f32 v24, 0x3fb8aa3b, v1, -v4
	v_rndne_f32_e32 v25, v4
	s_delay_alu instid0(VALU_DEP_4) | instskip(SKIP_1) | instid1(VALU_DEP_4)
	v_dual_fmac_f32 v22, 0x32a5705f, v0 :: v_dual_fmac_f32 v29, 0x32a5705f, v5
	v_sub_f32_e32 v2, v2, v23
	v_fmac_f32_e32 v24, 0x32a5705f, v1
	s_delay_alu instid0(VALU_DEP_4)
	v_sub_f32_e32 v4, v4, v25
	v_cvt_i32_f32_e32 v23, v23
	v_cvt_i32_f32_e32 v25, v25
	v_add_f32_e32 v2, v2, v22
	v_fma_f32 v22, 0x3fb8aa3b, v3, -v26
	v_add_f32_e32 v4, v4, v24
	v_rndne_f32_e32 v24, v26
	v_sub_f32_e32 v15, v15, v14
	v_exp_f32_e32 v2, v2
	v_fmac_f32_e32 v22, 0x32a5705f, v3
	v_exp_f32_e32 v4, v4
	v_sub_f32_e32 v26, v26, v24
	v_cvt_i32_f32_e32 v24, v24
	v_sub_f32_e32 v11, v11, v14
	s_delay_alu instid0(VALU_DEP_3) | instskip(NEXT) | instid1(TRANS32_DEP_2)
	v_add_f32_e32 v22, v26, v22
	v_ldexp_f32 v2, v2, v23
	v_sub_f32_e32 v23, v27, v30
	s_delay_alu instid0(TRANS32_DEP_1) | instskip(NEXT) | instid1(VALU_DEP_4)
	v_ldexp_f32 v4, v4, v25
	v_exp_f32_e32 v22, v22
	s_delay_alu instid0(VALU_DEP_3) | instskip(SKIP_1) | instid1(VALU_DEP_3)
	v_cndmask_b32_e32 v2, 0, v2, vcc_lo
	v_cmp_ngt_f32_e32 vcc_lo, 0xc2ce8ed0, v1
	v_dual_add_f32 v23, v23, v29 :: v_dual_cndmask_b32 v4, 0, v4
	v_cmp_nlt_f32_e32 vcc_lo, 0x42b17218, v0
	s_delay_alu instid0(VALU_DEP_2) | instskip(SKIP_3) | instid1(TRANS32_DEP_2)
	v_exp_f32_e32 v23, v23
	v_cndmask_b32_e32 v0, 0x7f800000, v2, vcc_lo
	v_cmp_nlt_f32_e32 vcc_lo, 0x42b17218, v1
	v_cndmask_b32_e32 v1, 0x7f800000, v4, vcc_lo
	v_ldexp_f32 v4, v22, v24
	v_cmp_ngt_f32_e32 vcc_lo, 0xc2ce8ed0, v3
	s_delay_alu instid0(VALU_DEP_2)
	v_dual_add_f32 v0, v0, v1 :: v_dual_cndmask_b32 v1, 0, v4
	v_cvt_i32_f32_e32 v4, v30
	v_cmp_nlt_f32_e32 vcc_lo, 0x42b17218, v3
	s_delay_alu instid0(TRANS32_DEP_1) | instid1(VALU_DEP_2)
	v_ldexp_f32 v3, v23, v4
	s_delay_alu instid0(VALU_DEP_4) | instskip(SKIP_3) | instid1(VALU_DEP_4)
	v_cndmask_b32_e32 v1, 0x7f800000, v1, vcc_lo
	v_cmp_ngt_f32_e32 vcc_lo, 0xc2ce8ed0, v5
	v_mul_f32_e32 v28, 0x3fb8aa3b, v6
	v_mul_f32_e32 v4, 0x3fb8aa3b, v21
	v_dual_add_f32 v0, v0, v1 :: v_dual_cndmask_b32 v1, 0, v3
	s_delay_alu instid0(VALU_DEP_3) | instskip(SKIP_1) | instid1(VALU_DEP_4)
	v_fma_f32 v2, 0x3fb8aa3b, v6, -v28
	v_rndne_f32_e32 v22, v28
	v_fma_f32 v3, 0x3fb8aa3b, v21, -v4
	v_rndne_f32_e32 v23, v4
	v_cmp_nlt_f32_e32 vcc_lo, 0x42b17218, v5
	v_fmac_f32_e32 v2, 0x32a5705f, v6
	v_sub_f32_e32 v24, v28, v22
	v_cvt_i32_f32_e32 v5, v22
	v_fmac_f32_e32 v3, 0x32a5705f, v21
	v_dual_cndmask_b32 v1, 0x7f800000, v1 :: v_dual_sub_f32 v4, v4, v23
	s_delay_alu instid0(VALU_DEP_4) | instskip(SKIP_1) | instid1(VALU_DEP_3)
	v_add_f32_e32 v2, v24, v2
	v_cmp_ngt_f32_e32 vcc_lo, 0xc2ce8ed0, v6
	v_add_f32_e32 v0, v0, v1
	s_delay_alu instid0(VALU_DEP_3) | instskip(SKIP_2) | instid1(VALU_DEP_1)
	v_exp_f32_e32 v2, v2
	s_waitcnt_depctr 0xfff
	v_ldexp_f32 v1, v2, v5
	v_dual_add_f32 v2, v4, v3 :: v_dual_cndmask_b32 v1, 0, v1
	s_delay_alu instid0(VALU_DEP_1) | instskip(SKIP_2) | instid1(VALU_DEP_3)
	v_exp_f32_e32 v2, v2
	v_cmp_nlt_f32_e32 vcc_lo, 0x42b17218, v6
	v_cvt_i32_f32_e32 v6, v23
	v_cndmask_b32_e32 v1, 0x7f800000, v1, vcc_lo
	v_cmp_ngt_f32_e32 vcc_lo, 0xc2ce8ed0, v21
	s_delay_alu instid0(VALU_DEP_2) | instskip(SKIP_2) | instid1(VALU_DEP_1)
	v_add_f32_e32 v0, v0, v1
	s_waitcnt_depctr 0xfff
	v_ldexp_f32 v1, v2, v6
	v_cndmask_b32_e32 v1, 0, v1, vcc_lo
	v_cmp_nlt_f32_e32 vcc_lo, 0x42b17218, v21
	v_mul_f32_e32 v21, 0x3fb8aa3b, v15
	s_delay_alu instid0(VALU_DEP_3) | instskip(SKIP_2) | instid1(VALU_DEP_3)
	v_cndmask_b32_e32 v1, 0x7f800000, v1, vcc_lo
	v_mul_f32_e32 v22, 0x3fb8aa3b, v20
	v_cmp_ngt_f32_e32 vcc_lo, 0xc2ce8ed0, v20
	v_add_f32_e32 v0, v0, v1
	s_delay_alu instid0(VALU_DEP_3) | instskip(SKIP_1) | instid1(VALU_DEP_2)
	v_fma_f32 v3, 0x3fb8aa3b, v20, -v22
	v_rndne_f32_e32 v4, v22
	v_fmac_f32_e32 v3, 0x32a5705f, v20
	s_delay_alu instid0(VALU_DEP_2) | instskip(SKIP_1) | instid1(VALU_DEP_2)
	v_sub_f32_e32 v5, v22, v4
	v_cvt_i32_f32_e32 v4, v4
	v_add_f32_e32 v3, v5, v3
	v_mul_f32_e32 v5, 0x3fb8aa3b, v19
	s_delay_alu instid0(VALU_DEP_2) | instskip(NEXT) | instid1(VALU_DEP_1)
	v_exp_f32_e32 v2, v3
	v_fma_f32 v3, 0x3fb8aa3b, v19, -v5
	v_rndne_f32_e32 v6, v5
	s_delay_alu instid0(VALU_DEP_2) | instskip(NEXT) | instid1(VALU_DEP_2)
	v_fmac_f32_e32 v3, 0x32a5705f, v19
	v_sub_f32_e32 v5, v5, v6
	v_cvt_i32_f32_e32 v6, v6
	s_waitcnt_depctr 0xfff
	v_ldexp_f32 v2, v2, v4
	v_add_f32_e32 v3, v5, v3
	v_sub_f32_e32 v5, v17, v14
	v_sub_f32_e32 v16, v16, v14
	s_delay_alu instid0(VALU_DEP_4)
	v_cndmask_b32_e32 v1, 0, v2, vcc_lo
	v_cmp_nlt_f32_e32 vcc_lo, 0x42b17218, v20
	v_sub_f32_e32 v4, v18, v14
	v_exp_f32_e32 v2, v3
	v_mul_f32_e32 v20, 0x3fb8aa3b, v5
	v_cndmask_b32_e32 v1, 0x7f800000, v1, vcc_lo
	s_delay_alu instid0(VALU_DEP_3) | instskip(SKIP_1) | instid1(VALU_DEP_3)
	v_mul_f32_e32 v3, 0x3fb8aa3b, v4
	v_cmp_ngt_f32_e32 vcc_lo, 0xc2ce8ed0, v19
	v_add_f32_e32 v0, v0, v1
	s_delay_alu instid0(VALU_DEP_3) | instskip(SKIP_1) | instid1(TRANS32_DEP_1)
	v_fma_f32 v17, 0x3fb8aa3b, v4, -v3
	v_rndne_f32_e32 v18, v3
	v_ldexp_f32 v1, v2, v6
	v_rndne_f32_e32 v6, v20
	s_delay_alu instid0(VALU_DEP_3) | instskip(NEXT) | instid1(VALU_DEP_3)
	v_dual_fmac_f32 v17, 0x32a5705f, v4 :: v_dual_sub_f32 v2, v3, v18
	v_cndmask_b32_e32 v1, 0, v1, vcc_lo
	v_fma_f32 v3, 0x3fb8aa3b, v5, -v20
	v_cmp_nlt_f32_e32 vcc_lo, 0x42b17218, v19
	v_cvt_i32_f32_e32 v18, v18
	v_dual_add_f32 v2, v2, v17 :: v_dual_sub_f32 v17, v20, v6
	s_delay_alu instid0(VALU_DEP_4) | instskip(SKIP_1) | instid1(VALU_DEP_3)
	v_fmac_f32_e32 v3, 0x32a5705f, v5
	v_mul_f32_e32 v20, 0x3fb8aa3b, v16
	v_exp_f32_e32 v2, v2
	s_delay_alu instid0(VALU_DEP_2) | instskip(NEXT) | instid1(VALU_DEP_2)
	v_add_f32_e32 v3, v17, v3
	v_fma_f32 v17, 0x3fb8aa3b, v16, -v20
	v_rndne_f32_e32 v19, v20
	v_cndmask_b32_e32 v1, 0x7f800000, v1, vcc_lo
	v_cmp_ngt_f32_e32 vcc_lo, 0xc2ce8ed0, v4
	v_exp_f32_e32 v3, v3
	s_delay_alu instid0(VALU_DEP_3) | instskip(NEXT) | instid1(VALU_DEP_3)
	v_dual_fmac_f32 v17, 0x32a5705f, v16 :: v_dual_sub_f32 v20, v20, v19
	v_add_f32_e32 v0, v0, v1
	s_delay_alu instid0(TRANS32_DEP_2)
	v_ldexp_f32 v1, v2, v18
	v_cvt_i32_f32_e32 v2, v6
	v_rndne_f32_e32 v18, v21
	v_add_f32_e32 v6, v20, v17
	v_fma_f32 v17, 0x3fb8aa3b, v15, -v21
	v_cndmask_b32_e32 v1, 0, v1, vcc_lo
	s_delay_alu instid0(TRANS32_DEP_1)
	v_ldexp_f32 v2, v3, v2
	v_cmp_nlt_f32_e32 vcc_lo, 0x42b17218, v4
	v_exp_f32_e32 v3, v6
	v_sub_f32_e32 v6, v21, v18
	v_cvt_i32_f32_e32 v4, v19
	v_fmac_f32_e32 v17, 0x32a5705f, v15
	v_cndmask_b32_e32 v1, 0x7f800000, v1, vcc_lo
	v_cmp_ngt_f32_e32 vcc_lo, 0xc2ce8ed0, v5
	s_delay_alu instid0(VALU_DEP_2) | instskip(NEXT) | instid1(TRANS32_DEP_1)
	v_add_f32_e32 v0, v0, v1
	v_ldexp_f32 v1, v3, v4
	v_cndmask_b32_e32 v2, 0, v2, vcc_lo
	v_cmp_nlt_f32_e32 vcc_lo, 0x42b17218, v5
	v_dual_sub_f32 v4, v13, v14 :: v_dual_mul_f32 v13, 0x3fb8aa3b, v11
	s_delay_alu instid0(VALU_DEP_3) | instskip(SKIP_1) | instid1(VALU_DEP_3)
	v_cndmask_b32_e32 v2, 0x7f800000, v2, vcc_lo
	v_cmp_ngt_f32_e32 vcc_lo, 0xc2ce8ed0, v16
	v_mul_f32_e32 v5, 0x3fb8aa3b, v4
	v_cndmask_b32_e32 v1, 0, v1, vcc_lo
	v_cmp_nlt_f32_e32 vcc_lo, 0x42b17218, v16
	v_add_f32_e32 v0, v0, v2
	v_cvt_i32_f32_e32 v2, v18
	s_delay_alu instid0(VALU_DEP_4) | instskip(SKIP_1) | instid1(VALU_DEP_2)
	v_cndmask_b32_e32 v1, 0x7f800000, v1, vcc_lo
	v_cmp_ngt_f32_e32 vcc_lo, 0xc2ce8ed0, v15
	v_add_f32_e32 v0, v0, v1
	v_fma_f32 v1, 0x3fb8aa3b, v4, -v5
	s_delay_alu instid0(VALU_DEP_1) | instskip(NEXT) | instid1(VALU_DEP_1)
	v_dual_add_f32 v6, v6, v17 :: v_dual_fmac_f32 v1, 0x32a5705f, v4
	v_exp_f32_e32 v3, v6
	v_sub_f32_e32 v6, v12, v14
	v_fma_f32 v14, 0x3fb8aa3b, v11, -v13
	s_delay_alu instid0(VALU_DEP_1) | instskip(SKIP_3) | instid1(VALU_DEP_1)
	v_fmac_f32_e32 v14, 0x32a5705f, v11
	s_waitcnt_depctr 0xfff
	v_ldexp_f32 v2, v3, v2
	v_rndne_f32_e32 v3, v5
	v_dual_cndmask_b32 v2, 0, v2 :: v_dual_sub_f32 v5, v5, v3
	v_cmp_nlt_f32_e32 vcc_lo, 0x42b17218, v15
	v_cvt_i32_f32_e32 v3, v3
	v_rndne_f32_e32 v15, v13
	s_delay_alu instid0(VALU_DEP_4) | instskip(SKIP_1) | instid1(VALU_DEP_2)
	v_dual_add_f32 v1, v5, v1 :: v_dual_cndmask_b32 v2, 0x7f800000, v2
	v_cmp_ngt_f32_e32 vcc_lo, 0xc2ce8ed0, v4
	v_exp_f32_e32 v1, v1
	s_waitcnt_depctr 0xfff
	v_ldexp_f32 v1, v1, v3
	s_delay_alu instid0(VALU_DEP_1) | instskip(NEXT) | instid1(VALU_DEP_1)
	v_dual_mul_f32 v12, 0x3fb8aa3b, v6 :: v_dual_cndmask_b32 v1, 0, v1
	v_rndne_f32_e32 v5, v12
	v_cmp_nlt_f32_e32 vcc_lo, 0x42b17218, v4
	v_add_f32_e32 v0, v0, v2
	v_fma_f32 v2, 0x3fb8aa3b, v6, -v12
	v_cvt_i32_f32_e32 v4, v15
	v_sub_f32_e32 v12, v12, v5
	v_cndmask_b32_e32 v1, 0x7f800000, v1, vcc_lo
	v_cvt_i32_f32_e32 v5, v5
	v_fmac_f32_e32 v2, 0x32a5705f, v6
	s_delay_alu instid0(VALU_DEP_3) | instskip(NEXT) | instid1(VALU_DEP_2)
	v_add_f32_e32 v0, v0, v1
	v_add_f32_e32 v2, v12, v2
	v_sub_f32_e32 v12, v13, v15
	v_mul_f32_e32 v16, 0x3fb8aa3b, v7
	s_delay_alu instid0(VALU_DEP_3) | instskip(NEXT) | instid1(VALU_DEP_2)
	v_exp_f32_e32 v2, v2
	v_add_f32_e32 v3, v12, v14
	s_delay_alu instid0(VALU_DEP_2) | instskip(SKIP_1) | instid1(VALU_DEP_3)
	v_fma_f32 v13, 0x3fb8aa3b, v7, -v16
	v_rndne_f32_e32 v17, v16
	v_exp_f32_e32 v3, v3
	s_delay_alu instid0(VALU_DEP_1) | instskip(SKIP_1) | instid1(TRANS32_DEP_2)
	v_dual_fmac_f32 v13, 0x32a5705f, v7 :: v_dual_sub_f32 v12, v16, v17
	v_cmp_ngt_f32_e32 vcc_lo, 0xc2ce8ed0, v6
	v_ldexp_f32 v2, v2, v5
	s_delay_alu instid0(VALU_DEP_3) | instskip(NEXT) | instid1(VALU_DEP_2)
	v_add_f32_e32 v12, v12, v13
	v_cndmask_b32_e32 v2, 0, v2, vcc_lo
	v_cmp_nlt_f32_e32 vcc_lo, 0x42b17218, v6
	s_delay_alu instid0(TRANS32_DEP_1) | instskip(NEXT) | instid1(VALU_DEP_4)
	v_ldexp_f32 v1, v3, v4
	v_exp_f32_e32 v5, v12
	v_cvt_i32_f32_e32 v3, v17
	v_cndmask_b32_e32 v2, 0x7f800000, v2, vcc_lo
	v_cmp_ngt_f32_e32 vcc_lo, 0xc2ce8ed0, v11
	s_delay_alu instid0(VALU_DEP_2)
	v_dual_add_f32 v0, v0, v2 :: v_dual_cndmask_b32 v1, 0, v1
	v_cmp_nlt_f32_e32 vcc_lo, 0x42b17218, v11
	s_waitcnt_depctr 0xfff
	v_ldexp_f32 v3, v5, v3
	v_cndmask_b32_e32 v1, 0x7f800000, v1, vcc_lo
	v_cmp_ngt_f32_e32 vcc_lo, 0xc2ce8ed0, v7
	s_delay_alu instid0(VALU_DEP_2) | instskip(NEXT) | instid1(VALU_DEP_4)
	v_add_f32_e32 v0, v0, v1
	v_cndmask_b32_e32 v2, 0, v3, vcc_lo
	v_cmp_nlt_f32_e32 vcc_lo, 0x42b17218, v7
	s_delay_alu instid0(VALU_DEP_2) | instskip(SKIP_1) | instid1(VALU_DEP_2)
	v_cndmask_b32_e32 v1, 0x7f800000, v2, vcc_lo
	v_cmp_eq_u32_e32 vcc_lo, 0, v9
	v_add_f32_e32 v0, v0, v1
	s_delay_alu instid0(VALU_DEP_1) | instskip(NEXT) | instid1(VALU_DEP_1)
	v_mov_b32_dpp v1, v0 quad_perm:[1,0,3,2] row_mask:0xf bank_mask:0xf
	v_add_f32_e32 v0, v0, v1
	s_delay_alu instid0(VALU_DEP_1) | instskip(NEXT) | instid1(VALU_DEP_1)
	v_mov_b32_dpp v1, v0 quad_perm:[2,3,0,1] row_mask:0xf bank_mask:0xf
	v_add_f32_e32 v0, v0, v1
	s_delay_alu instid0(VALU_DEP_1) | instskip(NEXT) | instid1(VALU_DEP_1)
	v_mov_b32_dpp v1, v0 row_half_mirror row_mask:0xf bank_mask:0xf
	v_add_f32_e32 v0, v0, v1
	s_delay_alu instid0(VALU_DEP_1)
	v_mov_b32_dpp v1, v0 row_mirror row_mask:0xf bank_mask:0xf
	s_and_b32 exec_lo, exec_lo, vcc_lo
	s_cbranch_execz .LBB295_23
; %bb.19:
	s_delay_alu instid0(VALU_DEP_1) | instskip(NEXT) | instid1(VALU_DEP_1)
	v_add_f32_e32 v0, v0, v1
	v_add_f32_e32 v0, v10, v0
	s_delay_alu instid0(VALU_DEP_1)
	v_cmp_neq_f32_e32 vcc_lo, 0, v0
	s_and_b32 exec_lo, exec_lo, vcc_lo
	s_cbranch_execz .LBB295_23
; %bb.20:
	s_and_not1_b32 vcc_lo, exec_lo, s3
	s_cbranch_vccnz .LBB295_23
; %bb.21:
	v_div_scale_f32 v2, null, v0, v0, 1.0
	v_div_scale_f32 v4, vcc_lo, 1.0, v0, 1.0
	s_delay_alu instid0(VALU_DEP_2) | instskip(SKIP_2) | instid1(VALU_DEP_1)
	v_rcp_f32_e32 v3, v2
	s_waitcnt_depctr 0xfff
	v_fma_f32 v1, -v2, v3, 1.0
	v_fmac_f32_e32 v3, v1, v3
	v_mul_lo_u32 v1, v8, s7
	s_delay_alu instid0(VALU_DEP_2) | instskip(NEXT) | instid1(VALU_DEP_1)
	v_mul_f32_e32 v5, v4, v3
	v_fma_f32 v6, -v2, v5, v4
	s_delay_alu instid0(VALU_DEP_1) | instskip(NEXT) | instid1(VALU_DEP_1)
	v_fmac_f32_e32 v5, v6, v3
	v_fma_f32 v4, -v2, v5, v4
	v_ashrrev_i32_e32 v2, 31, v1
	s_delay_alu instid0(VALU_DEP_2) | instskip(NEXT) | instid1(VALU_DEP_2)
	v_div_fmas_f32 v5, v4, v3, v5
	v_lshlrev_b64 v[3:4], 2, v[1:2]
	s_delay_alu instid0(VALU_DEP_2) | instskip(NEXT) | instid1(VALU_DEP_2)
	v_div_fixup_f32 v2, v5, v0, 1.0
	v_add_co_u32 v0, vcc_lo, s12, v3
	s_delay_alu instid0(VALU_DEP_3)
	v_add_co_ci_u32_e32 v1, vcc_lo, s13, v4, vcc_lo
.LBB295_22:                             ; =>This Inner Loop Header: Depth=1
	global_load_b32 v3, v[0:1], off
	s_add_i32 s4, s4, -1
	s_delay_alu instid0(SALU_CYCLE_1)
	s_cmp_lg_u32 s4, 0
	s_waitcnt vmcnt(0)
	v_mul_f32_e32 v3, v2, v3
	global_store_b32 v[0:1], v3, off
	v_add_co_u32 v0, vcc_lo, v0, 4
	v_add_co_ci_u32_e32 v1, vcc_lo, 0, v1, vcc_lo
	s_cbranch_scc1 .LBB295_22
.LBB295_23:
	s_nop 0
	s_sendmsg sendmsg(MSG_DEALLOC_VGPRS)
	s_endpgm
	.section	.rodata,"a",@progbits
	.p2align	6, 0x0
	.amdhsa_kernel _ZN4vllm3moe17topkGatingSoftmaxItLi16ELi256ELi8ELi32ELb0ELi4ELNS0_23SharedExpertScoringFuncE1EEEvPKT_PKbPfiPiS9_iiiiii
		.amdhsa_group_segment_fixed_size 0
		.amdhsa_private_segment_fixed_size 0
		.amdhsa_kernarg_size 72
		.amdhsa_user_sgpr_count 15
		.amdhsa_user_sgpr_dispatch_ptr 0
		.amdhsa_user_sgpr_queue_ptr 0
		.amdhsa_user_sgpr_kernarg_segment_ptr 1
		.amdhsa_user_sgpr_dispatch_id 0
		.amdhsa_user_sgpr_private_segment_size 0
		.amdhsa_wavefront_size32 1
		.amdhsa_uses_dynamic_stack 0
		.amdhsa_enable_private_segment 0
		.amdhsa_system_sgpr_workgroup_id_x 1
		.amdhsa_system_sgpr_workgroup_id_y 0
		.amdhsa_system_sgpr_workgroup_id_z 0
		.amdhsa_system_sgpr_workgroup_info 0
		.amdhsa_system_vgpr_workitem_id 1
		.amdhsa_next_free_vgpr 53
		.amdhsa_next_free_sgpr 19
		.amdhsa_reserve_vcc 1
		.amdhsa_float_round_mode_32 0
		.amdhsa_float_round_mode_16_64 0
		.amdhsa_float_denorm_mode_32 3
		.amdhsa_float_denorm_mode_16_64 3
		.amdhsa_dx10_clamp 1
		.amdhsa_ieee_mode 1
		.amdhsa_fp16_overflow 0
		.amdhsa_workgroup_processor_mode 1
		.amdhsa_memory_ordered 1
		.amdhsa_forward_progress 0
		.amdhsa_shared_vgpr_count 0
		.amdhsa_exception_fp_ieee_invalid_op 0
		.amdhsa_exception_fp_denorm_src 0
		.amdhsa_exception_fp_ieee_div_zero 0
		.amdhsa_exception_fp_ieee_overflow 0
		.amdhsa_exception_fp_ieee_underflow 0
		.amdhsa_exception_fp_ieee_inexact 0
		.amdhsa_exception_int_div_zero 0
	.end_amdhsa_kernel
	.section	.text._ZN4vllm3moe17topkGatingSoftmaxItLi16ELi256ELi8ELi32ELb0ELi4ELNS0_23SharedExpertScoringFuncE1EEEvPKT_PKbPfiPiS9_iiiiii,"axG",@progbits,_ZN4vllm3moe17topkGatingSoftmaxItLi16ELi256ELi8ELi32ELb0ELi4ELNS0_23SharedExpertScoringFuncE1EEEvPKT_PKbPfiPiS9_iiiiii,comdat
.Lfunc_end295:
	.size	_ZN4vllm3moe17topkGatingSoftmaxItLi16ELi256ELi8ELi32ELb0ELi4ELNS0_23SharedExpertScoringFuncE1EEEvPKT_PKbPfiPiS9_iiiiii, .Lfunc_end295-_ZN4vllm3moe17topkGatingSoftmaxItLi16ELi256ELi8ELi32ELb0ELi4ELNS0_23SharedExpertScoringFuncE1EEEvPKT_PKbPfiPiS9_iiiiii
                                        ; -- End function
	.section	.AMDGPU.csdata,"",@progbits
; Kernel info:
; codeLenInByte = 5752
; NumSgprs: 21
; NumVgprs: 53
; ScratchSize: 0
; MemoryBound: 0
; FloatMode: 240
; IeeeMode: 1
; LDSByteSize: 0 bytes/workgroup (compile time only)
; SGPRBlocks: 2
; VGPRBlocks: 6
; NumSGPRsForWavesPerEU: 21
; NumVGPRsForWavesPerEU: 53
; Occupancy: 16
; WaveLimiterHint : 0
; COMPUTE_PGM_RSRC2:SCRATCH_EN: 0
; COMPUTE_PGM_RSRC2:USER_SGPR: 15
; COMPUTE_PGM_RSRC2:TRAP_HANDLER: 0
; COMPUTE_PGM_RSRC2:TGID_X_EN: 1
; COMPUTE_PGM_RSRC2:TGID_Y_EN: 0
; COMPUTE_PGM_RSRC2:TGID_Z_EN: 0
; COMPUTE_PGM_RSRC2:TIDIG_COMP_CNT: 1
	.section	.text._ZN4vllm3moe17topkGatingSoftmaxItLi16ELi256ELi8ELi32ELb1ELi8ELNS0_23SharedExpertScoringFuncE1EEEvPKT_PKbPfiPiS9_iiiiii,"axG",@progbits,_ZN4vllm3moe17topkGatingSoftmaxItLi16ELi256ELi8ELi32ELb1ELi8ELNS0_23SharedExpertScoringFuncE1EEEvPKT_PKbPfiPiS9_iiiiii,comdat
	.protected	_ZN4vllm3moe17topkGatingSoftmaxItLi16ELi256ELi8ELi32ELb1ELi8ELNS0_23SharedExpertScoringFuncE1EEEvPKT_PKbPfiPiS9_iiiiii ; -- Begin function _ZN4vllm3moe17topkGatingSoftmaxItLi16ELi256ELi8ELi32ELb1ELi8ELNS0_23SharedExpertScoringFuncE1EEEvPKT_PKbPfiPiS9_iiiiii
	.globl	_ZN4vllm3moe17topkGatingSoftmaxItLi16ELi256ELi8ELi32ELb1ELi8ELNS0_23SharedExpertScoringFuncE1EEEvPKT_PKbPfiPiS9_iiiiii
	.p2align	8
	.type	_ZN4vllm3moe17topkGatingSoftmaxItLi16ELi256ELi8ELi32ELb1ELi8ELNS0_23SharedExpertScoringFuncE1EEEvPKT_PKbPfiPiS9_iiiiii,@function
_ZN4vllm3moe17topkGatingSoftmaxItLi16ELi256ELi8ELi32ELb1ELi8ELNS0_23SharedExpertScoringFuncE1EEEvPKT_PKbPfiPiS9_iiiiii: ; @_ZN4vllm3moe17topkGatingSoftmaxItLi16ELi256ELi8ELi32ELb1ELi8ELNS0_23SharedExpertScoringFuncE1EEEvPKT_PKbPfiPiS9_iiiiii
; %bb.0:
	s_load_b32 s16, s[0:1], 0x18
	v_bfe_u32 v1, v0, 10, 10
	v_and_b32_e32 v0, 0x3ff, v0
	s_lshl_b32 s18, s15, 4
	s_mov_b32 s2, exec_lo
	s_delay_alu instid0(VALU_DEP_2) | instskip(NEXT) | instid1(VALU_DEP_2)
	v_lshlrev_b32_e32 v42, 1, v1
	v_lshrrev_b32_e32 v43, 4, v0
	s_delay_alu instid0(VALU_DEP_1) | instskip(SKIP_1) | instid1(VALU_DEP_1)
	v_add3_u32 v8, s18, v42, v43
	s_waitcnt lgkmcnt(0)
	v_cmpx_gt_i32_e64 s16, v8
	s_cbranch_execz .LBB296_22
; %bb.1:
	s_clause 0x1
	s_load_b128 s[4:7], s[0:1], 0x0
	s_load_b64 s[12:13], s[0:1], 0x10
	s_waitcnt lgkmcnt(0)
	s_cmp_eq_u64 s[6:7], 0
	s_cbranch_scc1 .LBB296_3
; %bb.2:
	v_ashrrev_i32_e32 v2, 31, v8
	v_add_co_u32 v1, vcc_lo, s6, v8
	s_delay_alu instid0(VALU_DEP_2) | instskip(SKIP_3) | instid1(VALU_DEP_1)
	v_add_co_ci_u32_e32 v2, vcc_lo, s7, v2, vcc_lo
	global_load_u8 v1, v[1:2], off
	s_waitcnt vmcnt(0)
	v_and_b32_e32 v1, 1, v1
	v_cmp_eq_u32_e32 vcc_lo, 1, v1
	s_xor_b32 s2, vcc_lo, -1
	s_delay_alu instid0(SALU_CYCLE_1)
	s_or_not1_b32 s17, s2, exec_lo
	s_branch .LBB296_4
.LBB296_3:
	s_mov_b32 s17, -1
.LBB296_4:
	s_load_b64 s[14:15], s[0:1], 0x40
	v_and_b32_e32 v9, 15, v0
	s_mov_b32 s2, exec_lo
	s_delay_alu instid0(VALU_DEP_1) | instskip(SKIP_2) | instid1(VALU_DEP_1)
	v_dual_mov_b32 v11, 0 :: v_dual_lshlrev_b32 v10, 4, v9
	s_waitcnt lgkmcnt(0)
	v_mul_lo_u32 v1, v8, s15
	v_ashrrev_i32_e32 v2, 31, v1
	s_delay_alu instid0(VALU_DEP_1) | instskip(SKIP_1) | instid1(VALU_DEP_2)
	v_lshlrev_b64 v[0:1], 1, v[1:2]
	v_lshlrev_b32_e32 v2, 5, v9
	v_add_co_u32 v12, vcc_lo, s4, v0
	s_delay_alu instid0(VALU_DEP_3) | instskip(SKIP_1) | instid1(VALU_DEP_2)
	v_add_co_ci_u32_e32 v13, vcc_lo, s5, v1, vcc_lo
	s_load_b128 s[4:7], s[0:1], 0x30
	v_add_co_u32 v4, vcc_lo, v12, v2
	s_delay_alu instid0(VALU_DEP_2)
	v_add_co_ci_u32_e32 v5, vcc_lo, 0, v13, vcc_lo
	s_clause 0x1
	global_load_b128 v[0:3], v[4:5], off offset:16
	global_load_b128 v[4:7], v[4:5], off
	v_cmpx_gt_u32_e32 8, v9
	s_cbranch_execz .LBB296_6
; %bb.5:
	v_lshlrev_b32_e32 v14, 1, v9
	s_delay_alu instid0(VALU_DEP_1) | instskip(SKIP_4) | instid1(VALU_DEP_1)
	v_add_co_u32 v12, vcc_lo, v12, v14
	v_add_co_ci_u32_e32 v13, vcc_lo, 0, v13, vcc_lo
	global_load_u16 v12, v[12:13], off offset:512
	s_waitcnt vmcnt(0)
	v_cvt_f32_u32_e32 v12, v12
	v_mul_f32_e32 v13, 0xbfb8aa3b, v12
	v_cmp_nlt_f32_e32 vcc_lo, 0x42ce8ed0, v12
	s_delay_alu instid0(VALU_DEP_2) | instskip(SKIP_1) | instid1(VALU_DEP_1)
	v_fma_f32 v14, 0xbfb8aa3b, v12, -v13
	v_rndne_f32_e32 v15, v13
	v_dual_fmamk_f32 v14, v12, 0xb2a5705f, v14 :: v_dual_sub_f32 v13, v13, v15
	s_delay_alu instid0(VALU_DEP_1) | instskip(SKIP_1) | instid1(VALU_DEP_2)
	v_add_f32_e32 v13, v13, v14
	v_cvt_i32_f32_e32 v14, v15
	v_exp_f32_e32 v13, v13
	s_waitcnt_depctr 0xfff
	v_ldexp_f32 v13, v13, v14
	s_delay_alu instid0(VALU_DEP_1) | instskip(SKIP_1) | instid1(VALU_DEP_2)
	v_cndmask_b32_e32 v13, 0, v13, vcc_lo
	v_cmp_ngt_f32_e32 vcc_lo, 0xc2b17218, v12
	v_cndmask_b32_e32 v12, 0x7f800000, v13, vcc_lo
	s_delay_alu instid0(VALU_DEP_1) | instskip(NEXT) | instid1(VALU_DEP_1)
	v_add_f32_e32 v14, 1.0, v12
	v_div_scale_f32 v13, null, v14, v14, 1.0
	v_div_scale_f32 v16, vcc_lo, 1.0, v14, 1.0
	s_delay_alu instid0(VALU_DEP_2) | instskip(SKIP_2) | instid1(VALU_DEP_1)
	v_rcp_f32_e32 v15, v13
	s_waitcnt_depctr 0xfff
	v_fma_f32 v12, -v13, v15, 1.0
	v_fmac_f32_e32 v15, v12, v15
	s_waitcnt lgkmcnt(0)
	v_mul_lo_u32 v12, v8, s7
	s_delay_alu instid0(VALU_DEP_2) | instskip(NEXT) | instid1(VALU_DEP_2)
	v_mul_f32_e32 v17, v16, v15
	v_add3_u32 v12, v12, s4, v9
	s_delay_alu instid0(VALU_DEP_2) | instskip(NEXT) | instid1(VALU_DEP_1)
	v_fma_f32 v18, -v13, v17, v16
	v_fmac_f32_e32 v17, v18, v15
	s_delay_alu instid0(VALU_DEP_1) | instskip(NEXT) | instid1(VALU_DEP_4)
	v_fma_f32 v16, -v13, v17, v16
	v_ashrrev_i32_e32 v13, 31, v12
	s_delay_alu instid0(VALU_DEP_2) | instskip(NEXT) | instid1(VALU_DEP_2)
	v_div_fmas_f32 v15, v16, v15, v17
	v_lshlrev_b64 v[12:13], 2, v[12:13]
	s_delay_alu instid0(VALU_DEP_2) | instskip(NEXT) | instid1(VALU_DEP_2)
	v_div_fixup_f32 v14, v15, v14, 1.0
	v_add_co_u32 v12, vcc_lo, s12, v12
	s_delay_alu instid0(VALU_DEP_3)
	v_add_co_ci_u32_e32 v13, vcc_lo, s13, v13, vcc_lo
	global_store_b32 v[12:13], v14, off
.LBB296_6:
	s_or_b32 exec_lo, exec_lo, s2
	s_waitcnt vmcnt(0)
	v_and_b32_e32 v12, 0xffff, v4
	v_lshrrev_b32_e32 v4, 16, v4
	v_or_b32_e32 v14, 1, v10
	v_or_b32_e32 v16, 2, v10
	;; [unrolled: 1-line block ×3, first 2 shown]
	v_cvt_f32_u32_e32 v12, v12
	v_cvt_f32_u32_e32 v13, v4
	v_or_b32_e32 v22, 5, v10
	v_or_b32_e32 v25, 7, v10
	;; [unrolled: 1-line block ×4, first 2 shown]
	v_cmp_lt_f32_e32 vcc_lo, v12, v13
	v_or_b32_e32 v31, 10, v10
	v_or_b32_e32 v33, 11, v10
	;; [unrolled: 1-line block ×3, first 2 shown]
	v_dual_cndmask_b32 v18, v12, v13 :: v_dual_and_b32 v19, 0xffff, v6
	v_lshrrev_b32_e32 v6, 16, v6
	v_or_b32_e32 v37, 13, v10
	v_or_b32_e32 v39, 14, v10
	s_delay_alu instid0(VALU_DEP_4)
	v_cvt_f32_u32_e32 v19, v19
	v_and_b32_e32 v4, 0xffff, v5
	v_lshrrev_b32_e32 v5, 16, v5
	v_cvt_f32_u32_e32 v21, v6
	v_and_b32_e32 v6, 0xffff, v7
	v_or_b32_e32 v41, 15, v10
	v_cvt_f32_u32_e32 v15, v4
	v_cvt_f32_u32_e32 v17, v5
	v_cndmask_b32_e32 v4, v10, v14, vcc_lo
	v_cvt_f32_u32_e32 v23, v6
	v_lshrrev_b32_e32 v6, 16, v7
	v_cmp_lt_f32_e32 vcc_lo, v18, v15
	v_or_b32_e32 v7, 6, v10
	s_delay_alu instid0(VALU_DEP_3) | instskip(SKIP_4) | instid1(VALU_DEP_4)
	v_cvt_f32_u32_e32 v24, v6
	v_dual_cndmask_b32 v5, v18, v15 :: v_dual_cndmask_b32 v4, v4, v16
	v_or_b32_e32 v18, 3, v10
	v_and_b32_e32 v6, 0xffff, v0
	v_lshrrev_b32_e32 v0, 16, v0
	v_cmp_lt_f32_e32 vcc_lo, v5, v17
	s_delay_alu instid0(VALU_DEP_3) | instskip(NEXT) | instid1(VALU_DEP_3)
	v_cvt_f32_u32_e32 v26, v6
	v_cvt_f32_u32_e32 v28, v0
	v_dual_cndmask_b32 v5, v5, v17 :: v_dual_cndmask_b32 v4, v4, v18
	s_delay_alu instid0(VALU_DEP_1) | instskip(NEXT) | instid1(VALU_DEP_2)
	v_cmp_lt_f32_e32 vcc_lo, v5, v19
	v_dual_cndmask_b32 v5, v5, v19 :: v_dual_cndmask_b32 v4, v4, v20
	s_delay_alu instid0(VALU_DEP_1) | instskip(NEXT) | instid1(VALU_DEP_2)
	v_cmp_lt_f32_e32 vcc_lo, v5, v21
	v_dual_cndmask_b32 v5, v5, v21 :: v_dual_cndmask_b32 v4, v4, v22
	s_delay_alu instid0(VALU_DEP_1) | instskip(SKIP_1) | instid1(VALU_DEP_3)
	v_cmp_lt_f32_e32 vcc_lo, v5, v23
	v_cndmask_b32_e32 v5, v5, v23, vcc_lo
	v_cndmask_b32_e32 v4, v4, v7, vcc_lo
	s_delay_alu instid0(VALU_DEP_2) | instskip(NEXT) | instid1(VALU_DEP_2)
	v_cmp_lt_f32_e32 vcc_lo, v5, v24
	v_dual_cndmask_b32 v5, v5, v24 :: v_dual_cndmask_b32 v4, v4, v25
	s_delay_alu instid0(VALU_DEP_1) | instskip(NEXT) | instid1(VALU_DEP_2)
	v_cmp_lt_f32_e32 vcc_lo, v5, v26
	v_cndmask_b32_e32 v0, v4, v27, vcc_lo
	v_dual_cndmask_b32 v4, v5, v26 :: v_dual_and_b32 v5, 0xffff, v1
	v_lshrrev_b32_e32 v1, 16, v1
	s_delay_alu instid0(VALU_DEP_2) | instskip(NEXT) | instid1(VALU_DEP_3)
	v_cmp_lt_f32_e32 vcc_lo, v4, v28
	v_cvt_f32_u32_e32 v30, v5
	s_delay_alu instid0(VALU_DEP_3) | instskip(SKIP_2) | instid1(VALU_DEP_2)
	v_cvt_f32_u32_e32 v32, v1
	v_cndmask_b32_e32 v4, v4, v28, vcc_lo
	v_cndmask_b32_e32 v0, v0, v29, vcc_lo
	v_cmp_lt_f32_e32 vcc_lo, v4, v30
	v_cndmask_b32_e32 v1, v4, v30, vcc_lo
	s_delay_alu instid0(VALU_DEP_3) | instskip(SKIP_2) | instid1(VALU_DEP_4)
	v_cndmask_b32_e32 v0, v0, v31, vcc_lo
	v_and_b32_e32 v4, 0xffff, v2
	v_lshrrev_b32_e32 v2, 16, v2
	v_cmp_lt_f32_e32 vcc_lo, v1, v32
	s_delay_alu instid0(VALU_DEP_3) | instskip(NEXT) | instid1(VALU_DEP_3)
	v_cvt_f32_u32_e32 v34, v4
	v_cvt_f32_u32_e32 v36, v2
	v_dual_cndmask_b32 v1, v1, v32 :: v_dual_and_b32 v2, 0xffff, v3
	v_cndmask_b32_e32 v0, v0, v33, vcc_lo
	s_delay_alu instid0(VALU_DEP_2) | instskip(NEXT) | instid1(VALU_DEP_3)
	v_cvt_f32_u32_e32 v38, v2
	v_cmp_lt_f32_e32 vcc_lo, v1, v34
	v_lshrrev_b32_e32 v2, 16, v3
	s_delay_alu instid0(VALU_DEP_4) | instskip(NEXT) | instid1(VALU_DEP_2)
	v_dual_cndmask_b32 v1, v1, v34 :: v_dual_cndmask_b32 v0, v0, v35
	v_cvt_f32_u32_e32 v40, v2
	s_delay_alu instid0(VALU_DEP_2) | instskip(NEXT) | instid1(VALU_DEP_3)
	v_cmp_lt_f32_e32 vcc_lo, v1, v36
	v_dual_cndmask_b32 v1, v1, v36 :: v_dual_cndmask_b32 v0, v0, v37
	s_delay_alu instid0(VALU_DEP_1) | instskip(NEXT) | instid1(VALU_DEP_2)
	v_cmp_lt_f32_e32 vcc_lo, v1, v38
	v_dual_cndmask_b32 v1, v1, v38 :: v_dual_cndmask_b32 v0, v0, v39
	s_delay_alu instid0(VALU_DEP_1) | instskip(NEXT) | instid1(VALU_DEP_2)
	;; [unrolled: 3-line block ×3, first 2 shown]
	v_mov_b32_dpp v2, v0 quad_perm:[1,0,3,2] row_mask:0xf bank_mask:0xf
	v_mov_b32_dpp v3, v1 quad_perm:[1,0,3,2] row_mask:0xf bank_mask:0xf
	s_delay_alu instid0(VALU_DEP_2) | instskip(NEXT) | instid1(VALU_DEP_2)
	v_cmp_lt_i32_e32 vcc_lo, v2, v0
	v_cmp_eq_f32_e64 s2, v1, v3
	v_cmp_lt_f32_e64 s3, v1, v3
	s_delay_alu instid0(VALU_DEP_2)
	s_and_b32 s2, s2, vcc_lo
	s_delay_alu instid0(VALU_DEP_1) | instid1(SALU_CYCLE_1)
	s_or_b32 vcc_lo, s3, s2
	v_dual_cndmask_b32 v1, v1, v3 :: v_dual_cndmask_b32 v0, v0, v2
	s_delay_alu instid0(VALU_DEP_1) | instskip(NEXT) | instid1(VALU_DEP_2)
	v_mov_b32_dpp v2, v1 quad_perm:[2,3,0,1] row_mask:0xf bank_mask:0xf
	v_mov_b32_dpp v3, v0 quad_perm:[2,3,0,1] row_mask:0xf bank_mask:0xf
	s_delay_alu instid0(VALU_DEP_2) | instskip(NEXT) | instid1(VALU_DEP_2)
	v_cmp_eq_f32_e32 vcc_lo, v1, v2
	v_cmp_lt_i32_e64 s2, v3, v0
	v_cmp_lt_f32_e64 s3, v1, v2
	s_delay_alu instid0(VALU_DEP_2)
	s_and_b32 s2, vcc_lo, s2
	s_delay_alu instid0(VALU_DEP_1) | instid1(SALU_CYCLE_1)
	s_or_b32 vcc_lo, s3, s2
	v_dual_cndmask_b32 v1, v1, v2 :: v_dual_cndmask_b32 v0, v0, v3
	s_delay_alu instid0(VALU_DEP_1) | instskip(NEXT) | instid1(VALU_DEP_2)
	v_mov_b32_dpp v2, v1 row_half_mirror row_mask:0xf bank_mask:0xf
	v_mov_b32_dpp v3, v0 row_half_mirror row_mask:0xf bank_mask:0xf
	s_delay_alu instid0(VALU_DEP_2) | instskip(NEXT) | instid1(VALU_DEP_2)
	v_cmp_eq_f32_e32 vcc_lo, v1, v2
	v_cmp_lt_i32_e64 s2, v3, v0
	v_cmp_lt_f32_e64 s3, v1, v2
	s_delay_alu instid0(VALU_DEP_2)
	s_and_b32 s2, vcc_lo, s2
	s_delay_alu instid0(VALU_DEP_1) | instid1(SALU_CYCLE_1)
	s_or_b32 vcc_lo, s3, s2
	s_waitcnt lgkmcnt(0)
	s_cmp_gt_i32 s4, 0
	v_cndmask_b32_e32 v2, v1, v2, vcc_lo
	v_cndmask_b32_e32 v0, v0, v3, vcc_lo
	v_cmp_eq_u32_e32 vcc_lo, 0, v9
	s_cselect_b32 s3, -1, 0
	s_cmp_lt_i32 s4, 1
	v_mov_b32_dpp v4, v2 row_mirror row_mask:0xf bank_mask:0xf
	v_mov_b32_dpp v6, v0 row_mirror row_mask:0xf bank_mask:0xf
	s_cbranch_scc1 .LBB296_18
; %bb.7:
	s_load_b128 s[8:11], s[0:1], 0x20
	s_delay_alu instid0(VALU_DEP_2) | instskip(NEXT) | instid1(VALU_DEP_2)
	v_cmp_eq_f32_e64 s0, v2, v4
	v_cmp_lt_i32_e64 s1, v6, v0
	v_cmp_lt_f32_e64 s2, v2, v4
	v_mul_lo_u32 v1, v8, s7
	v_mul_lo_u32 v3, v8, s14
	;; [unrolled: 1-line block ×3, first 2 shown]
	s_and_b32 s0, s0, s1
	v_mov_b32_e32 v11, 0
	s_or_b32 s0, s2, s0
	s_delay_alu instid0(SALU_CYCLE_1)
	v_cndmask_b32_e64 v0, v0, v6, s0
	v_cndmask_b32_e64 v44, v2, v4, s0
	s_and_saveexec_b32 s2, vcc_lo
	s_cbranch_execz .LBB296_9
; %bb.8:
	s_delay_alu instid0(VALU_DEP_1)
	v_sub_f32_e32 v11, v44, v44
	v_cmp_le_i32_e64 s0, s5, v0
	v_cmp_gt_i32_e64 s1, s6, v0
	v_subrev_nc_u32_e32 v51, s5, v0
	v_ashrrev_i32_e32 v6, 31, v5
	v_mul_f32_e32 v2, 0x3fb8aa3b, v11
	s_delay_alu instid0(VALU_DEP_4) | instskip(NEXT) | instid1(SALU_CYCLE_1)
	s_and_b32 s0, s0, s1
	s_and_b32 s0, s17, s0
	s_delay_alu instid0(VALU_DEP_1) | instskip(SKIP_2) | instid1(VALU_DEP_3)
	v_rndne_f32_e32 v47, v2
	v_fma_f32 v4, 0x3fb8aa3b, v11, -v2
	v_lshlrev_b64 v[49:50], 2, v[5:6]
	v_sub_f32_e32 v2, v2, v47
	s_delay_alu instid0(VALU_DEP_3) | instskip(NEXT) | instid1(VALU_DEP_1)
	v_fmamk_f32 v4, v11, 0x32a5705f, v4
	v_add_f32_e32 v4, v2, v4
	v_ashrrev_i32_e32 v2, 31, v1
	s_delay_alu instid0(VALU_DEP_2) | instskip(NEXT) | instid1(VALU_DEP_1)
	v_exp_f32_e32 v52, v4
	v_lshlrev_b64 v[45:46], 2, v[1:2]
	v_ashrrev_i32_e32 v4, 31, v3
	v_cvt_i32_f32_e32 v2, v47
	s_delay_alu instid0(VALU_DEP_2) | instskip(SKIP_2) | instid1(VALU_DEP_1)
	v_lshlrev_b64 v[47:48], 2, v[3:4]
	v_cndmask_b32_e64 v4, 0x100, v51, s0
	v_add_co_u32 v45, s0, s12, v45
	v_add_co_ci_u32_e64 v46, s0, s13, v46, s0
	s_delay_alu instid0(TRANS32_DEP_1) | instskip(SKIP_1) | instid1(VALU_DEP_1)
	v_ldexp_f32 v2, v52, v2
	v_cmp_ngt_f32_e64 s0, 0xc2ce8ed0, v11
	v_cndmask_b32_e64 v2, 0, v2, s0
	s_waitcnt lgkmcnt(0)
	v_add_co_u32 v47, s0, s8, v47
	s_delay_alu instid0(VALU_DEP_1) | instskip(SKIP_1) | instid1(VALU_DEP_1)
	v_add_co_ci_u32_e64 v48, s0, s9, v48, s0
	v_cmp_nlt_f32_e64 s0, 0x42b17218, v11
	v_cndmask_b32_e64 v11, 0x7f800000, v2, s0
	v_add_co_u32 v49, s0, s10, v49
	s_delay_alu instid0(VALU_DEP_1)
	v_add_co_ci_u32_e64 v50, s0, s11, v50, s0
	global_store_b32 v[47:48], v4, off
	global_store_b32 v[45:46], v11, off
	;; [unrolled: 1-line block ×3, first 2 shown]
.LBB296_9:
	s_or_b32 exec_lo, exec_lo, s2
	v_ashrrev_i32_e32 v4, 31, v0
	s_mov_b32 s1, exec_lo
	s_delay_alu instid0(VALU_DEP_1) | instskip(NEXT) | instid1(VALU_DEP_1)
	v_lshrrev_b32_e32 v2, 28, v4
	v_add_nc_u32_e32 v2, v0, v2
	s_delay_alu instid0(VALU_DEP_1) | instskip(NEXT) | instid1(VALU_DEP_1)
	v_ashrrev_i32_e32 v2, 4, v2
	v_lshrrev_b32_e32 v6, 28, v2
	s_delay_alu instid0(VALU_DEP_1) | instskip(NEXT) | instid1(VALU_DEP_1)
	v_add_nc_u32_e32 v6, v2, v6
	v_and_b32_e32 v6, -16, v6
	s_delay_alu instid0(VALU_DEP_1) | instskip(NEXT) | instid1(VALU_DEP_1)
	v_sub_nc_u32_e32 v6, v2, v6
	v_cmpx_eq_u32_e64 v9, v6
	s_cbranch_execz .LBB296_11
; %bb.10:
	v_lshrrev_b32_e32 v4, 24, v4
	v_lshlrev_b32_e32 v2, 4, v2
	s_delay_alu instid0(VALU_DEP_2) | instskip(NEXT) | instid1(VALU_DEP_2)
	v_add_nc_u32_e32 v4, v0, v4
	v_sub_nc_u32_e32 v0, v0, v2
	s_delay_alu instid0(VALU_DEP_2) | instskip(NEXT) | instid1(VALU_DEP_1)
	v_ashrrev_i32_e32 v2, 8, v4
	v_lshl_add_u32 v0, v2, 4, v0
	s_delay_alu instid0(VALU_DEP_1) | instskip(NEXT) | instid1(VALU_DEP_1)
	v_cmp_ne_u32_e64 s0, 15, v0
	v_cndmask_b32_e64 v40, 0xff800000, v40, s0
	v_cmp_ne_u32_e64 s0, 14, v0
	s_delay_alu instid0(VALU_DEP_1) | instskip(SKIP_1) | instid1(VALU_DEP_1)
	v_cndmask_b32_e64 v38, 0xff800000, v38, s0
	v_cmp_ne_u32_e64 s0, 13, v0
	v_cndmask_b32_e64 v36, 0xff800000, v36, s0
	v_cmp_ne_u32_e64 s0, 12, v0
	s_delay_alu instid0(VALU_DEP_1) | instskip(SKIP_1) | instid1(VALU_DEP_1)
	v_cndmask_b32_e64 v34, 0xff800000, v34, s0
	;; [unrolled: 5-line block ×7, first 2 shown]
	v_cmp_ne_u32_e64 s0, 1, v0
	v_cndmask_b32_e64 v13, 0xff800000, v13, s0
	v_cmp_ne_u32_e64 s0, 0, v0
	s_delay_alu instid0(VALU_DEP_1)
	v_cndmask_b32_e64 v12, 0xff800000, v12, s0
.LBB296_11:
	s_or_b32 exec_lo, exec_lo, s1
	s_cmp_eq_u32 s4, 1
	s_cbranch_scc1 .LBB296_18
; %bb.12:
	s_add_i32 s18, s18, s16
	v_add_nc_u32_e32 v0, 1, v5
	v_add3_u32 v6, s18, v43, v42
	v_add_nc_u32_e32 v2, 1, v3
	v_add_nc_u32_e32 v4, 1, v1
	s_add_i32 s14, s4, -1
	s_branch .LBB296_14
.LBB296_13:                             ;   in Loop: Header=BB296_14 Depth=1
	s_or_b32 exec_lo, exec_lo, s1
	v_add_nc_u32_e32 v6, s16, v6
	v_add_nc_u32_e32 v0, 1, v0
	;; [unrolled: 1-line block ×4, first 2 shown]
	s_add_i32 s14, s14, -1
	s_delay_alu instid0(SALU_CYCLE_1)
	s_cmp_eq_u32 s14, 0
	s_cbranch_scc1 .LBB296_18
.LBB296_14:                             ; =>This Inner Loop Header: Depth=1
	v_cmp_gt_f32_e64 s0, v13, v12
	s_delay_alu instid0(VALU_DEP_1) | instskip(SKIP_1) | instid1(VALU_DEP_2)
	v_cndmask_b32_e64 v3, v12, v13, s0
	v_cndmask_b32_e64 v1, v10, v14, s0
	v_cmp_gt_f32_e64 s0, v15, v3
	s_delay_alu instid0(VALU_DEP_1) | instskip(NEXT) | instid1(VALU_DEP_3)
	v_cndmask_b32_e64 v3, v3, v15, s0
	v_cndmask_b32_e64 v1, v1, v16, s0
	s_delay_alu instid0(VALU_DEP_2) | instskip(NEXT) | instid1(VALU_DEP_1)
	v_cmp_gt_f32_e64 s0, v17, v3
	v_cndmask_b32_e64 v3, v3, v17, s0
	s_delay_alu instid0(VALU_DEP_3) | instskip(NEXT) | instid1(VALU_DEP_2)
	v_cndmask_b32_e64 v1, v1, v18, s0
	v_cmp_gt_f32_e64 s0, v19, v3
	s_delay_alu instid0(VALU_DEP_1) | instskip(NEXT) | instid1(VALU_DEP_3)
	v_cndmask_b32_e64 v3, v3, v19, s0
	v_cndmask_b32_e64 v1, v1, v20, s0
	s_delay_alu instid0(VALU_DEP_2) | instskip(NEXT) | instid1(VALU_DEP_1)
	v_cmp_gt_f32_e64 s0, v21, v3
	v_cndmask_b32_e64 v3, v3, v21, s0
	s_delay_alu instid0(VALU_DEP_3) | instskip(NEXT) | instid1(VALU_DEP_2)
	;; [unrolled: 9-line block ×6, first 2 shown]
	v_cndmask_b32_e64 v1, v1, v37, s0
	v_cmp_gt_f32_e64 s0, v38, v3
	s_delay_alu instid0(VALU_DEP_1) | instskip(NEXT) | instid1(VALU_DEP_3)
	v_cndmask_b32_e64 v3, v3, v38, s0
	v_cndmask_b32_e64 v1, v1, v39, s0
	s_delay_alu instid0(VALU_DEP_2) | instskip(NEXT) | instid1(VALU_DEP_1)
	v_cmp_gt_f32_e64 s0, v40, v3
	v_cndmask_b32_e64 v1, v1, v41, s0
	v_cndmask_b32_e64 v3, v3, v40, s0
	s_delay_alu instid0(VALU_DEP_2) | instskip(NEXT) | instid1(VALU_DEP_2)
	v_mov_b32_dpp v5, v1 quad_perm:[1,0,3,2] row_mask:0xf bank_mask:0xf
	v_mov_b32_dpp v42, v3 quad_perm:[1,0,3,2] row_mask:0xf bank_mask:0xf
	s_delay_alu instid0(VALU_DEP_2) | instskip(NEXT) | instid1(VALU_DEP_2)
	v_cmp_lt_i32_e64 s0, v5, v1
	v_cmp_eq_f32_e64 s1, v3, v42
	v_cmp_lt_f32_e64 s2, v3, v42
	s_delay_alu instid0(VALU_DEP_2)
	s_and_b32 s0, s1, s0
	s_delay_alu instid0(VALU_DEP_1) | instid1(SALU_CYCLE_1)
	s_or_b32 s0, s2, s0
	s_delay_alu instid0(SALU_CYCLE_1) | instskip(SKIP_1) | instid1(VALU_DEP_2)
	v_cndmask_b32_e64 v3, v3, v42, s0
	v_cndmask_b32_e64 v1, v1, v5, s0
	v_mov_b32_dpp v5, v3 quad_perm:[2,3,0,1] row_mask:0xf bank_mask:0xf
	s_delay_alu instid0(VALU_DEP_2) | instskip(NEXT) | instid1(VALU_DEP_2)
	v_mov_b32_dpp v42, v1 quad_perm:[2,3,0,1] row_mask:0xf bank_mask:0xf
	v_cmp_eq_f32_e64 s0, v3, v5
	s_delay_alu instid0(VALU_DEP_2) | instskip(SKIP_1) | instid1(VALU_DEP_2)
	v_cmp_lt_i32_e64 s1, v42, v1
	v_cmp_lt_f32_e64 s2, v3, v5
	s_and_b32 s0, s0, s1
	s_delay_alu instid0(VALU_DEP_1) | instid1(SALU_CYCLE_1)
	s_or_b32 s0, s2, s0
	s_delay_alu instid0(SALU_CYCLE_1) | instskip(SKIP_1) | instid1(VALU_DEP_2)
	v_cndmask_b32_e64 v3, v3, v5, s0
	v_cndmask_b32_e64 v5, v1, v42, s0
	v_mov_b32_dpp v1, v3 row_half_mirror row_mask:0xf bank_mask:0xf
	s_delay_alu instid0(VALU_DEP_2) | instskip(NEXT) | instid1(VALU_DEP_2)
	v_mov_b32_dpp v42, v5 row_half_mirror row_mask:0xf bank_mask:0xf
	v_cmp_eq_f32_e64 s0, v3, v1
	s_delay_alu instid0(VALU_DEP_2) | instskip(SKIP_1) | instid1(VALU_DEP_2)
	v_cmp_lt_i32_e64 s1, v42, v5
	v_cmp_lt_f32_e64 s2, v3, v1
	s_and_b32 s0, s0, s1
	s_delay_alu instid0(VALU_DEP_1) | instid1(SALU_CYCLE_1)
	s_or_b32 s0, s2, s0
	s_delay_alu instid0(SALU_CYCLE_1) | instskip(SKIP_1) | instid1(VALU_DEP_2)
	v_cndmask_b32_e64 v1, v3, v1, s0
	v_cndmask_b32_e64 v5, v5, v42, s0
	v_mov_b32_dpp v3, v1 row_mirror row_mask:0xf bank_mask:0xf
	s_delay_alu instid0(VALU_DEP_2) | instskip(NEXT) | instid1(VALU_DEP_2)
	v_mov_b32_dpp v42, v5 row_mirror row_mask:0xf bank_mask:0xf
	v_cmp_eq_f32_e64 s0, v1, v3
	s_delay_alu instid0(VALU_DEP_2) | instskip(SKIP_1) | instid1(VALU_DEP_2)
	v_cmp_lt_i32_e64 s1, v42, v5
	v_cmp_lt_f32_e64 s2, v1, v3
	s_and_b32 s0, s0, s1
	s_delay_alu instid0(VALU_DEP_1) | instid1(SALU_CYCLE_1)
	s_or_b32 s0, s2, s0
	s_delay_alu instid0(SALU_CYCLE_1)
	v_cndmask_b32_e64 v42, v5, v42, s0
	s_and_saveexec_b32 s2, vcc_lo
	s_cbranch_execz .LBB296_16
; %bb.15:                               ;   in Loop: Header=BB296_14 Depth=1
	v_cndmask_b32_e64 v1, v1, v3, s0
	s_delay_alu instid0(VALU_DEP_2) | instskip(SKIP_4) | instid1(VALU_DEP_4)
	v_cmp_le_i32_e64 s0, s5, v42
	v_cmp_gt_i32_e64 s1, s6, v42
	v_ashrrev_i32_e32 v5, 31, v4
	v_subrev_nc_u32_e32 v51, s5, v42
	v_sub_f32_e32 v43, v1, v44
	s_and_b32 s0, s0, s1
	s_delay_alu instid0(SALU_CYCLE_1) | instskip(NEXT) | instid1(VALU_DEP_1)
	s_and_b32 s0, s17, s0
	v_mul_f32_e32 v1, 0x3fb8aa3b, v43
	s_delay_alu instid0(VALU_DEP_1) | instskip(SKIP_1) | instid1(VALU_DEP_2)
	v_fma_f32 v3, 0x3fb8aa3b, v43, -v1
	v_rndne_f32_e32 v45, v1
	v_fmac_f32_e32 v3, 0x32a5705f, v43
	s_delay_alu instid0(VALU_DEP_2) | instskip(SKIP_2) | instid1(VALU_DEP_3)
	v_sub_f32_e32 v1, v1, v45
	v_cvt_i32_f32_e32 v50, v45
	v_lshlrev_b64 v[45:46], 2, v[4:5]
	v_add_f32_e32 v1, v1, v3
	v_ashrrev_i32_e32 v3, 31, v2
	s_delay_alu instid0(VALU_DEP_2) | instskip(SKIP_1) | instid1(VALU_DEP_2)
	v_exp_f32_e32 v49, v1
	v_ashrrev_i32_e32 v1, 31, v0
	v_lshlrev_b64 v[47:48], 2, v[2:3]
	s_waitcnt_depctr 0xfff
	v_ldexp_f32 v3, v49, v50
	v_lshlrev_b64 v[49:50], 2, v[0:1]
	v_cndmask_b32_e64 v1, 0x100, v51, s0
	v_cmp_ngt_f32_e64 s0, 0xc2ce8ed0, v43
	s_delay_alu instid0(VALU_DEP_1) | instskip(SKIP_1) | instid1(VALU_DEP_1)
	v_cndmask_b32_e64 v3, 0, v3, s0
	v_add_co_u32 v45, s0, s12, v45
	v_add_co_ci_u32_e64 v46, s0, s13, v46, s0
	v_cmp_nlt_f32_e64 s0, 0x42b17218, v43
	s_delay_alu instid0(VALU_DEP_1) | instskip(SKIP_2) | instid1(VALU_DEP_1)
	v_cndmask_b32_e64 v3, 0x7f800000, v3, s0
	s_waitcnt lgkmcnt(0)
	v_add_co_u32 v47, s0, s8, v47
	v_add_co_ci_u32_e64 v48, s0, s9, v48, s0
	v_add_co_u32 v49, s0, s10, v49
	v_add_f32_e32 v11, v11, v3
	v_add_co_ci_u32_e64 v50, s0, s11, v50, s0
	global_store_b32 v[45:46], v3, off
	global_store_b32 v[47:48], v1, off
	global_store_b32 v[49:50], v6, off
.LBB296_16:                             ;   in Loop: Header=BB296_14 Depth=1
	s_or_b32 exec_lo, exec_lo, s2
	s_delay_alu instid0(VALU_DEP_1) | instskip(SKIP_1) | instid1(VALU_DEP_1)
	v_ashrrev_i32_e32 v3, 31, v42
	s_mov_b32 s1, exec_lo
	v_lshrrev_b32_e32 v1, 28, v3
	s_delay_alu instid0(VALU_DEP_1) | instskip(NEXT) | instid1(VALU_DEP_1)
	v_add_nc_u32_e32 v1, v42, v1
	v_ashrrev_i32_e32 v1, 4, v1
	s_delay_alu instid0(VALU_DEP_1) | instskip(NEXT) | instid1(VALU_DEP_1)
	v_lshrrev_b32_e32 v5, 28, v1
	v_add_nc_u32_e32 v5, v1, v5
	s_delay_alu instid0(VALU_DEP_1) | instskip(NEXT) | instid1(VALU_DEP_1)
	v_and_b32_e32 v5, -16, v5
	v_sub_nc_u32_e32 v5, v1, v5
	s_delay_alu instid0(VALU_DEP_1)
	v_cmpx_eq_u32_e64 v9, v5
	s_cbranch_execz .LBB296_13
; %bb.17:                               ;   in Loop: Header=BB296_14 Depth=1
	v_lshrrev_b32_e32 v3, 24, v3
	v_lshlrev_b32_e32 v1, 4, v1
	s_delay_alu instid0(VALU_DEP_2) | instskip(NEXT) | instid1(VALU_DEP_2)
	v_add_nc_u32_e32 v3, v42, v3
	v_sub_nc_u32_e32 v1, v42, v1
	s_delay_alu instid0(VALU_DEP_2) | instskip(NEXT) | instid1(VALU_DEP_1)
	v_ashrrev_i32_e32 v3, 8, v3
	v_lshl_add_u32 v1, v3, 4, v1
	s_delay_alu instid0(VALU_DEP_1) | instskip(NEXT) | instid1(VALU_DEP_1)
	v_cmp_ne_u32_e64 s0, 15, v1
	v_cndmask_b32_e64 v40, 0xff800000, v40, s0
	v_cmp_ne_u32_e64 s0, 14, v1
	s_delay_alu instid0(VALU_DEP_1) | instskip(SKIP_1) | instid1(VALU_DEP_1)
	v_cndmask_b32_e64 v38, 0xff800000, v38, s0
	v_cmp_ne_u32_e64 s0, 13, v1
	v_cndmask_b32_e64 v36, 0xff800000, v36, s0
	v_cmp_ne_u32_e64 s0, 12, v1
	s_delay_alu instid0(VALU_DEP_1) | instskip(SKIP_1) | instid1(VALU_DEP_1)
	v_cndmask_b32_e64 v34, 0xff800000, v34, s0
	;; [unrolled: 5-line block ×7, first 2 shown]
	v_cmp_ne_u32_e64 s0, 1, v1
	v_cndmask_b32_e64 v13, 0xff800000, v13, s0
	v_cmp_ne_u32_e64 s0, 0, v1
	s_delay_alu instid0(VALU_DEP_1)
	v_cndmask_b32_e64 v12, 0xff800000, v12, s0
	s_branch .LBB296_13
.LBB296_18:
	v_cmp_eq_u32_e32 vcc_lo, 0, v9
	v_cmp_neq_f32_e64 s0, 0, v11
	s_delay_alu instid0(VALU_DEP_1) | instskip(NEXT) | instid1(SALU_CYCLE_1)
	s_and_b32 s0, vcc_lo, s0
	s_and_b32 exec_lo, exec_lo, s0
	s_cbranch_execz .LBB296_22
; %bb.19:
	s_and_not1_b32 vcc_lo, exec_lo, s3
	s_cbranch_vccnz .LBB296_22
; %bb.20:
	v_div_scale_f32 v1, null, v11, v11, 1.0
	v_div_scale_f32 v3, vcc_lo, 1.0, v11, 1.0
	s_delay_alu instid0(VALU_DEP_2) | instskip(SKIP_2) | instid1(VALU_DEP_1)
	v_rcp_f32_e32 v2, v1
	s_waitcnt_depctr 0xfff
	v_fma_f32 v0, -v1, v2, 1.0
	v_fmac_f32_e32 v2, v0, v2
	v_mul_lo_u32 v0, v8, s7
	s_delay_alu instid0(VALU_DEP_2) | instskip(NEXT) | instid1(VALU_DEP_1)
	v_mul_f32_e32 v4, v3, v2
	v_fma_f32 v5, -v1, v4, v3
	s_delay_alu instid0(VALU_DEP_1) | instskip(NEXT) | instid1(VALU_DEP_1)
	v_fmac_f32_e32 v4, v5, v2
	v_fma_f32 v3, -v1, v4, v3
	v_ashrrev_i32_e32 v1, 31, v0
	s_delay_alu instid0(VALU_DEP_2) | instskip(NEXT) | instid1(VALU_DEP_2)
	v_div_fmas_f32 v2, v3, v2, v4
	v_lshlrev_b64 v[0:1], 2, v[0:1]
	s_delay_alu instid0(VALU_DEP_2) | instskip(NEXT) | instid1(VALU_DEP_2)
	v_div_fixup_f32 v2, v2, v11, 1.0
	v_add_co_u32 v0, vcc_lo, s12, v0
	s_delay_alu instid0(VALU_DEP_3)
	v_add_co_ci_u32_e32 v1, vcc_lo, s13, v1, vcc_lo
.LBB296_21:                             ; =>This Inner Loop Header: Depth=1
	global_load_b32 v3, v[0:1], off
	s_add_i32 s4, s4, -1
	s_delay_alu instid0(SALU_CYCLE_1)
	s_cmp_lg_u32 s4, 0
	s_waitcnt vmcnt(0)
	v_mul_f32_e32 v3, v2, v3
	global_store_b32 v[0:1], v3, off
	v_add_co_u32 v0, vcc_lo, v0, 4
	v_add_co_ci_u32_e32 v1, vcc_lo, 0, v1, vcc_lo
	s_cbranch_scc1 .LBB296_21
.LBB296_22:
	s_nop 0
	s_sendmsg sendmsg(MSG_DEALLOC_VGPRS)
	s_endpgm
	.section	.rodata,"a",@progbits
	.p2align	6, 0x0
	.amdhsa_kernel _ZN4vllm3moe17topkGatingSoftmaxItLi16ELi256ELi8ELi32ELb1ELi8ELNS0_23SharedExpertScoringFuncE1EEEvPKT_PKbPfiPiS9_iiiiii
		.amdhsa_group_segment_fixed_size 0
		.amdhsa_private_segment_fixed_size 0
		.amdhsa_kernarg_size 72
		.amdhsa_user_sgpr_count 15
		.amdhsa_user_sgpr_dispatch_ptr 0
		.amdhsa_user_sgpr_queue_ptr 0
		.amdhsa_user_sgpr_kernarg_segment_ptr 1
		.amdhsa_user_sgpr_dispatch_id 0
		.amdhsa_user_sgpr_private_segment_size 0
		.amdhsa_wavefront_size32 1
		.amdhsa_uses_dynamic_stack 0
		.amdhsa_enable_private_segment 0
		.amdhsa_system_sgpr_workgroup_id_x 1
		.amdhsa_system_sgpr_workgroup_id_y 0
		.amdhsa_system_sgpr_workgroup_id_z 0
		.amdhsa_system_sgpr_workgroup_info 0
		.amdhsa_system_vgpr_workitem_id 1
		.amdhsa_next_free_vgpr 53
		.amdhsa_next_free_sgpr 19
		.amdhsa_reserve_vcc 1
		.amdhsa_float_round_mode_32 0
		.amdhsa_float_round_mode_16_64 0
		.amdhsa_float_denorm_mode_32 3
		.amdhsa_float_denorm_mode_16_64 3
		.amdhsa_dx10_clamp 1
		.amdhsa_ieee_mode 1
		.amdhsa_fp16_overflow 0
		.amdhsa_workgroup_processor_mode 1
		.amdhsa_memory_ordered 1
		.amdhsa_forward_progress 0
		.amdhsa_shared_vgpr_count 0
		.amdhsa_exception_fp_ieee_invalid_op 0
		.amdhsa_exception_fp_denorm_src 0
		.amdhsa_exception_fp_ieee_div_zero 0
		.amdhsa_exception_fp_ieee_overflow 0
		.amdhsa_exception_fp_ieee_underflow 0
		.amdhsa_exception_fp_ieee_inexact 0
		.amdhsa_exception_int_div_zero 0
	.end_amdhsa_kernel
	.section	.text._ZN4vllm3moe17topkGatingSoftmaxItLi16ELi256ELi8ELi32ELb1ELi8ELNS0_23SharedExpertScoringFuncE1EEEvPKT_PKbPfiPiS9_iiiiii,"axG",@progbits,_ZN4vllm3moe17topkGatingSoftmaxItLi16ELi256ELi8ELi32ELb1ELi8ELNS0_23SharedExpertScoringFuncE1EEEvPKT_PKbPfiPiS9_iiiiii,comdat
.Lfunc_end296:
	.size	_ZN4vllm3moe17topkGatingSoftmaxItLi16ELi256ELi8ELi32ELb1ELi8ELNS0_23SharedExpertScoringFuncE1EEEvPKT_PKbPfiPiS9_iiiiii, .Lfunc_end296-_ZN4vllm3moe17topkGatingSoftmaxItLi16ELi256ELi8ELi32ELb1ELi8ELNS0_23SharedExpertScoringFuncE1EEEvPKT_PKbPfiPiS9_iiiiii
                                        ; -- End function
	.section	.AMDGPU.csdata,"",@progbits
; Kernel info:
; codeLenInByte = 4012
; NumSgprs: 21
; NumVgprs: 53
; ScratchSize: 0
; MemoryBound: 0
; FloatMode: 240
; IeeeMode: 1
; LDSByteSize: 0 bytes/workgroup (compile time only)
; SGPRBlocks: 2
; VGPRBlocks: 6
; NumSGPRsForWavesPerEU: 21
; NumVGPRsForWavesPerEU: 53
; Occupancy: 16
; WaveLimiterHint : 0
; COMPUTE_PGM_RSRC2:SCRATCH_EN: 0
; COMPUTE_PGM_RSRC2:USER_SGPR: 15
; COMPUTE_PGM_RSRC2:TRAP_HANDLER: 0
; COMPUTE_PGM_RSRC2:TGID_X_EN: 1
; COMPUTE_PGM_RSRC2:TGID_Y_EN: 0
; COMPUTE_PGM_RSRC2:TGID_Z_EN: 0
; COMPUTE_PGM_RSRC2:TIDIG_COMP_CNT: 1
	.section	.text._ZN4vllm3moe17topkGatingSoftmaxItLi16ELi256ELi8ELi32ELb0ELi8ELNS0_23SharedExpertScoringFuncE1EEEvPKT_PKbPfiPiS9_iiiiii,"axG",@progbits,_ZN4vllm3moe17topkGatingSoftmaxItLi16ELi256ELi8ELi32ELb0ELi8ELNS0_23SharedExpertScoringFuncE1EEEvPKT_PKbPfiPiS9_iiiiii,comdat
	.protected	_ZN4vllm3moe17topkGatingSoftmaxItLi16ELi256ELi8ELi32ELb0ELi8ELNS0_23SharedExpertScoringFuncE1EEEvPKT_PKbPfiPiS9_iiiiii ; -- Begin function _ZN4vllm3moe17topkGatingSoftmaxItLi16ELi256ELi8ELi32ELb0ELi8ELNS0_23SharedExpertScoringFuncE1EEEvPKT_PKbPfiPiS9_iiiiii
	.globl	_ZN4vllm3moe17topkGatingSoftmaxItLi16ELi256ELi8ELi32ELb0ELi8ELNS0_23SharedExpertScoringFuncE1EEEvPKT_PKbPfiPiS9_iiiiii
	.p2align	8
	.type	_ZN4vllm3moe17topkGatingSoftmaxItLi16ELi256ELi8ELi32ELb0ELi8ELNS0_23SharedExpertScoringFuncE1EEEvPKT_PKbPfiPiS9_iiiiii,@function
_ZN4vllm3moe17topkGatingSoftmaxItLi16ELi256ELi8ELi32ELb0ELi8ELNS0_23SharedExpertScoringFuncE1EEEvPKT_PKbPfiPiS9_iiiiii: ; @_ZN4vllm3moe17topkGatingSoftmaxItLi16ELi256ELi8ELi32ELb0ELi8ELNS0_23SharedExpertScoringFuncE1EEEvPKT_PKbPfiPiS9_iiiiii
; %bb.0:
	s_load_b32 s16, s[0:1], 0x18
	v_bfe_u32 v1, v0, 10, 10
	v_and_b32_e32 v0, 0x3ff, v0
	s_lshl_b32 s18, s15, 4
	s_mov_b32 s2, exec_lo
	s_delay_alu instid0(VALU_DEP_2) | instskip(NEXT) | instid1(VALU_DEP_2)
	v_lshlrev_b32_e32 v43, 1, v1
	v_lshrrev_b32_e32 v44, 4, v0
	s_delay_alu instid0(VALU_DEP_1) | instskip(SKIP_1) | instid1(VALU_DEP_1)
	v_add3_u32 v8, s18, v43, v44
	s_waitcnt lgkmcnt(0)
	v_cmpx_gt_i32_e64 s16, v8
	s_cbranch_execz .LBB297_23
; %bb.1:
	s_clause 0x1
	s_load_b128 s[4:7], s[0:1], 0x0
	s_load_b64 s[12:13], s[0:1], 0x10
	s_waitcnt lgkmcnt(0)
	s_cmp_eq_u64 s[6:7], 0
	s_cbranch_scc1 .LBB297_3
; %bb.2:
	v_ashrrev_i32_e32 v2, 31, v8
	v_add_co_u32 v1, vcc_lo, s6, v8
	s_delay_alu instid0(VALU_DEP_2) | instskip(SKIP_3) | instid1(VALU_DEP_1)
	v_add_co_ci_u32_e32 v2, vcc_lo, s7, v2, vcc_lo
	global_load_u8 v1, v[1:2], off
	s_waitcnt vmcnt(0)
	v_and_b32_e32 v1, 1, v1
	v_cmp_eq_u32_e32 vcc_lo, 1, v1
	s_xor_b32 s2, vcc_lo, -1
	s_delay_alu instid0(SALU_CYCLE_1)
	s_or_not1_b32 s17, s2, exec_lo
	s_branch .LBB297_4
.LBB297_3:
	s_mov_b32 s17, -1
.LBB297_4:
	s_load_b64 s[14:15], s[0:1], 0x40
	v_dual_mov_b32 v10, 0 :: v_dual_and_b32 v9, 15, v0
	s_mov_b32 s2, exec_lo
	s_delay_alu instid0(VALU_DEP_1) | instskip(SKIP_2) | instid1(VALU_DEP_1)
	v_lshlrev_b32_e32 v22, 4, v9
	s_waitcnt lgkmcnt(0)
	v_mul_lo_u32 v1, v8, s15
	v_ashrrev_i32_e32 v2, 31, v1
	s_delay_alu instid0(VALU_DEP_1) | instskip(SKIP_1) | instid1(VALU_DEP_2)
	v_lshlrev_b64 v[0:1], 1, v[1:2]
	v_lshlrev_b32_e32 v2, 5, v9
	v_add_co_u32 v11, vcc_lo, s4, v0
	s_delay_alu instid0(VALU_DEP_3) | instskip(SKIP_1) | instid1(VALU_DEP_2)
	v_add_co_ci_u32_e32 v12, vcc_lo, s5, v1, vcc_lo
	s_load_b128 s[4:7], s[0:1], 0x30
	v_add_co_u32 v4, vcc_lo, v11, v2
	s_delay_alu instid0(VALU_DEP_2)
	v_add_co_ci_u32_e32 v5, vcc_lo, 0, v12, vcc_lo
	s_clause 0x1
	global_load_b128 v[0:3], v[4:5], off offset:16
	global_load_b128 v[4:7], v[4:5], off
	v_cmpx_gt_u32_e32 8, v9
	s_cbranch_execz .LBB297_6
; %bb.5:
	v_lshlrev_b32_e32 v13, 1, v9
	s_delay_alu instid0(VALU_DEP_1) | instskip(SKIP_4) | instid1(VALU_DEP_1)
	v_add_co_u32 v11, vcc_lo, v11, v13
	v_add_co_ci_u32_e32 v12, vcc_lo, 0, v12, vcc_lo
	global_load_u16 v11, v[11:12], off offset:512
	s_waitcnt vmcnt(0)
	v_cvt_f32_u32_e32 v11, v11
	v_mul_f32_e32 v12, 0xbfb8aa3b, v11
	v_cmp_nlt_f32_e32 vcc_lo, 0x42ce8ed0, v11
	s_delay_alu instid0(VALU_DEP_2) | instskip(SKIP_1) | instid1(VALU_DEP_1)
	v_fma_f32 v13, 0xbfb8aa3b, v11, -v12
	v_rndne_f32_e32 v14, v12
	v_dual_fmamk_f32 v13, v11, 0xb2a5705f, v13 :: v_dual_sub_f32 v12, v12, v14
	s_delay_alu instid0(VALU_DEP_1) | instskip(SKIP_1) | instid1(VALU_DEP_2)
	v_add_f32_e32 v12, v12, v13
	v_cvt_i32_f32_e32 v13, v14
	v_exp_f32_e32 v12, v12
	s_waitcnt_depctr 0xfff
	v_ldexp_f32 v12, v12, v13
	s_delay_alu instid0(VALU_DEP_1) | instskip(SKIP_1) | instid1(VALU_DEP_2)
	v_cndmask_b32_e32 v12, 0, v12, vcc_lo
	v_cmp_ngt_f32_e32 vcc_lo, 0xc2b17218, v11
	v_cndmask_b32_e32 v11, 0x7f800000, v12, vcc_lo
	s_delay_alu instid0(VALU_DEP_1) | instskip(NEXT) | instid1(VALU_DEP_1)
	v_add_f32_e32 v13, 1.0, v11
	v_div_scale_f32 v12, null, v13, v13, 1.0
	v_div_scale_f32 v15, vcc_lo, 1.0, v13, 1.0
	s_delay_alu instid0(VALU_DEP_2) | instskip(SKIP_2) | instid1(VALU_DEP_1)
	v_rcp_f32_e32 v14, v12
	s_waitcnt_depctr 0xfff
	v_fma_f32 v11, -v12, v14, 1.0
	v_fmac_f32_e32 v14, v11, v14
	s_waitcnt lgkmcnt(0)
	v_mul_lo_u32 v11, v8, s7
	s_delay_alu instid0(VALU_DEP_2) | instskip(NEXT) | instid1(VALU_DEP_2)
	v_mul_f32_e32 v16, v15, v14
	v_add3_u32 v11, v11, s4, v9
	s_delay_alu instid0(VALU_DEP_2) | instskip(NEXT) | instid1(VALU_DEP_1)
	v_fma_f32 v17, -v12, v16, v15
	v_fmac_f32_e32 v16, v17, v14
	s_delay_alu instid0(VALU_DEP_1) | instskip(NEXT) | instid1(VALU_DEP_4)
	v_fma_f32 v15, -v12, v16, v15
	v_ashrrev_i32_e32 v12, 31, v11
	s_delay_alu instid0(VALU_DEP_2) | instskip(NEXT) | instid1(VALU_DEP_2)
	v_div_fmas_f32 v14, v15, v14, v16
	v_lshlrev_b64 v[11:12], 2, v[11:12]
	s_delay_alu instid0(VALU_DEP_2) | instskip(NEXT) | instid1(VALU_DEP_2)
	v_div_fixup_f32 v13, v14, v13, 1.0
	v_add_co_u32 v11, vcc_lo, s12, v11
	s_delay_alu instid0(VALU_DEP_3)
	v_add_co_ci_u32_e32 v12, vcc_lo, s13, v12, vcc_lo
	global_store_b32 v[11:12], v13, off
.LBB297_6:
	s_or_b32 exec_lo, exec_lo, s2
	v_or_b32_e32 v29, 2, v22
	s_waitcnt vmcnt(0)
	v_and_b32_e32 v11, 0xffff, v4
	v_lshrrev_b32_e32 v4, 16, v4
	v_or_b32_e32 v28, 1, v22
	v_or_b32_e32 v30, 3, v22
	;; [unrolled: 1-line block ×3, first 2 shown]
	v_cvt_f32_u32_e32 v25, v11
	v_cvt_f32_u32_e32 v23, v4
	v_or_b32_e32 v32, 5, v22
	v_or_b32_e32 v33, 6, v22
	;; [unrolled: 1-line block ×4, first 2 shown]
	v_cmp_lt_f32_e32 vcc_lo, v25, v23
	v_and_b32_e32 v4, 0xffff, v5
	v_lshrrev_b32_e32 v5, 16, v5
	v_or_b32_e32 v36, 9, v22
	v_or_b32_e32 v37, 10, v22
	v_cndmask_b32_e32 v11, v25, v23, vcc_lo
	v_cvt_f32_u32_e32 v27, v4
	v_cndmask_b32_e32 v4, v22, v28, vcc_lo
	v_cvt_f32_u32_e32 v26, v5
	v_or_b32_e32 v38, 11, v22
	v_or_b32_e32 v39, 12, v22
	v_cmp_lt_f32_e32 vcc_lo, v11, v27
	v_or_b32_e32 v40, 13, v22
	v_or_b32_e32 v41, 14, v22
	;; [unrolled: 1-line block ×3, first 2 shown]
	v_dual_cndmask_b32 v5, v11, v27 :: v_dual_cndmask_b32 v4, v4, v29
	s_delay_alu instid0(VALU_DEP_1) | instskip(SKIP_1) | instid1(VALU_DEP_3)
	v_cmp_lt_f32_e32 vcc_lo, v5, v26
	v_cndmask_b32_e32 v5, v5, v26, vcc_lo
	v_cndmask_b32_e32 v4, v4, v30, vcc_lo
	v_and_b32_e32 v11, 0xffff, v6
	v_lshrrev_b32_e32 v6, 16, v6
	s_delay_alu instid0(VALU_DEP_2) | instskip(NEXT) | instid1(VALU_DEP_2)
	v_cvt_f32_u32_e32 v24, v11
	v_cvt_f32_u32_e32 v21, v6
	v_and_b32_e32 v6, 0xffff, v7
	s_delay_alu instid0(VALU_DEP_3) | instskip(NEXT) | instid1(VALU_DEP_2)
	v_cmp_lt_f32_e32 vcc_lo, v5, v24
	v_cvt_f32_u32_e32 v20, v6
	v_lshrrev_b32_e32 v6, 16, v7
	v_dual_cndmask_b32 v5, v5, v24 :: v_dual_cndmask_b32 v4, v4, v31
	s_delay_alu instid0(VALU_DEP_2) | instskip(NEXT) | instid1(VALU_DEP_2)
	v_cvt_f32_u32_e32 v19, v6
	v_cmp_lt_f32_e32 vcc_lo, v5, v21
	s_delay_alu instid0(VALU_DEP_3) | instskip(NEXT) | instid1(VALU_DEP_1)
	v_dual_cndmask_b32 v4, v4, v32 :: v_dual_cndmask_b32 v5, v5, v21
	v_cmp_lt_f32_e32 vcc_lo, v5, v20
	s_delay_alu instid0(VALU_DEP_2) | instskip(NEXT) | instid1(VALU_DEP_1)
	v_dual_cndmask_b32 v4, v4, v33 :: v_dual_cndmask_b32 v5, v5, v20
	v_cmp_lt_f32_e32 vcc_lo, v5, v19
	v_and_b32_e32 v6, 0xffff, v0
	v_lshrrev_b32_e32 v0, 16, v0
	v_cndmask_b32_e32 v5, v5, v19, vcc_lo
	s_delay_alu instid0(VALU_DEP_3) | instskip(SKIP_1) | instid1(VALU_DEP_4)
	v_cvt_f32_u32_e32 v18, v6
	v_cndmask_b32_e32 v4, v4, v34, vcc_lo
	v_cvt_f32_u32_e32 v17, v0
	s_delay_alu instid0(VALU_DEP_3) | instskip(NEXT) | instid1(VALU_DEP_3)
	v_cmp_lt_f32_e32 vcc_lo, v5, v18
	v_cndmask_b32_e32 v0, v4, v35, vcc_lo
	v_dual_cndmask_b32 v4, v5, v18 :: v_dual_and_b32 v5, 0xffff, v1
	v_lshrrev_b32_e32 v1, 16, v1
	s_delay_alu instid0(VALU_DEP_2) | instskip(NEXT) | instid1(VALU_DEP_3)
	v_cmp_lt_f32_e32 vcc_lo, v4, v17
	v_cvt_f32_u32_e32 v16, v5
	s_delay_alu instid0(VALU_DEP_3) | instskip(SKIP_2) | instid1(VALU_DEP_2)
	v_cvt_f32_u32_e32 v15, v1
	v_cndmask_b32_e32 v4, v4, v17, vcc_lo
	v_cndmask_b32_e32 v0, v0, v36, vcc_lo
	v_cmp_lt_f32_e32 vcc_lo, v4, v16
	v_dual_cndmask_b32 v1, v4, v16 :: v_dual_and_b32 v4, 0xffff, v2
	v_lshrrev_b32_e32 v2, 16, v2
	s_delay_alu instid0(VALU_DEP_2) | instskip(NEXT) | instid1(VALU_DEP_2)
	v_cvt_f32_u32_e32 v13, v4
	v_cvt_f32_u32_e32 v12, v2
	v_and_b32_e32 v2, 0xffff, v3
	s_delay_alu instid0(VALU_DEP_1) | instskip(SKIP_4) | instid1(VALU_DEP_2)
	v_cvt_f32_u32_e32 v11, v2
	v_cndmask_b32_e32 v0, v0, v37, vcc_lo
	v_cmp_lt_f32_e32 vcc_lo, v1, v15
	v_lshrrev_b32_e32 v2, 16, v3
	v_cndmask_b32_e32 v1, v1, v15, vcc_lo
	v_cvt_f32_u32_e32 v7, v2
	v_cndmask_b32_e32 v0, v0, v38, vcc_lo
	s_delay_alu instid0(VALU_DEP_3) | instskip(NEXT) | instid1(VALU_DEP_2)
	v_cmp_lt_f32_e32 vcc_lo, v1, v13
	v_dual_cndmask_b32 v1, v1, v13 :: v_dual_cndmask_b32 v0, v0, v39
	s_delay_alu instid0(VALU_DEP_1) | instskip(SKIP_1) | instid1(VALU_DEP_3)
	v_cmp_lt_f32_e32 vcc_lo, v1, v12
	v_cndmask_b32_e32 v1, v1, v12, vcc_lo
	v_cndmask_b32_e32 v0, v0, v40, vcc_lo
	s_delay_alu instid0(VALU_DEP_2) | instskip(NEXT) | instid1(VALU_DEP_2)
	v_cmp_lt_f32_e32 vcc_lo, v1, v11
	v_dual_cndmask_b32 v1, v1, v11 :: v_dual_cndmask_b32 v0, v0, v41
	s_delay_alu instid0(VALU_DEP_1) | instskip(NEXT) | instid1(VALU_DEP_2)
	v_cmp_lt_f32_e32 vcc_lo, v1, v7
	v_dual_cndmask_b32 v0, v0, v42 :: v_dual_cndmask_b32 v1, v1, v7
	s_delay_alu instid0(VALU_DEP_1) | instskip(NEXT) | instid1(VALU_DEP_2)
	v_mov_b32_dpp v2, v0 quad_perm:[1,0,3,2] row_mask:0xf bank_mask:0xf
	v_mov_b32_dpp v3, v1 quad_perm:[1,0,3,2] row_mask:0xf bank_mask:0xf
	s_delay_alu instid0(VALU_DEP_2) | instskip(NEXT) | instid1(VALU_DEP_2)
	v_cmp_lt_i32_e32 vcc_lo, v2, v0
	v_cmp_eq_f32_e64 s2, v1, v3
	v_cmp_lt_f32_e64 s3, v1, v3
	s_delay_alu instid0(VALU_DEP_2)
	s_and_b32 s2, s2, vcc_lo
	s_delay_alu instid0(VALU_DEP_1) | instid1(SALU_CYCLE_1)
	s_or_b32 vcc_lo, s3, s2
	v_dual_cndmask_b32 v1, v1, v3 :: v_dual_cndmask_b32 v0, v0, v2
	s_delay_alu instid0(VALU_DEP_1) | instskip(NEXT) | instid1(VALU_DEP_2)
	v_mov_b32_dpp v2, v1 quad_perm:[2,3,0,1] row_mask:0xf bank_mask:0xf
	v_mov_b32_dpp v3, v0 quad_perm:[2,3,0,1] row_mask:0xf bank_mask:0xf
	s_delay_alu instid0(VALU_DEP_2) | instskip(NEXT) | instid1(VALU_DEP_2)
	v_cmp_eq_f32_e32 vcc_lo, v1, v2
	v_cmp_lt_i32_e64 s2, v3, v0
	v_cmp_lt_f32_e64 s3, v1, v2
	s_delay_alu instid0(VALU_DEP_2)
	s_and_b32 s2, vcc_lo, s2
	s_delay_alu instid0(VALU_DEP_1) | instid1(SALU_CYCLE_1)
	s_or_b32 vcc_lo, s3, s2
	v_dual_cndmask_b32 v1, v1, v2 :: v_dual_cndmask_b32 v0, v0, v3
	s_delay_alu instid0(VALU_DEP_1) | instskip(NEXT) | instid1(VALU_DEP_2)
	v_mov_b32_dpp v2, v1 row_half_mirror row_mask:0xf bank_mask:0xf
	v_mov_b32_dpp v3, v0 row_half_mirror row_mask:0xf bank_mask:0xf
	s_delay_alu instid0(VALU_DEP_2) | instskip(NEXT) | instid1(VALU_DEP_2)
	v_cmp_eq_f32_e32 vcc_lo, v1, v2
	v_cmp_lt_i32_e64 s2, v3, v0
	v_cmp_lt_f32_e64 s3, v1, v2
	s_delay_alu instid0(VALU_DEP_2)
	s_and_b32 s2, vcc_lo, s2
	s_delay_alu instid0(VALU_DEP_1) | instid1(SALU_CYCLE_1)
	s_or_b32 vcc_lo, s3, s2
	v_dual_cndmask_b32 v1, v1, v2 :: v_dual_cndmask_b32 v0, v0, v3
	s_delay_alu instid0(VALU_DEP_1) | instskip(NEXT) | instid1(VALU_DEP_2)
	v_mov_b32_dpp v3, v1 row_mirror row_mask:0xf bank_mask:0xf
	v_mov_b32_dpp v2, v0 row_mirror row_mask:0xf bank_mask:0xf
	s_delay_alu instid0(VALU_DEP_2) | instskip(NEXT) | instid1(VALU_DEP_2)
	v_cmp_eq_f32_e32 vcc_lo, v1, v3
	v_cmp_lt_i32_e64 s2, v2, v0
	v_cmp_lt_f32_e64 s3, v1, v3
	s_delay_alu instid0(VALU_DEP_2) | instskip(SKIP_1) | instid1(VALU_DEP_2)
	s_and_b32 s2, vcc_lo, s2
	v_cmp_eq_u32_e32 vcc_lo, 0, v9
	s_or_b32 s2, s3, s2
	s_waitcnt lgkmcnt(0)
	s_cmp_gt_i32 s4, 0
	v_cndmask_b32_e64 v14, v1, v3, s2
	s_cselect_b32 s3, -1, 0
	s_cmp_lt_i32 s4, 1
	s_cbranch_scc1 .LBB297_18
; %bb.7:
	s_load_b128 s[8:11], s[0:1], 0x20
	v_mul_lo_u32 v1, v8, s7
	v_mul_lo_u32 v3, v8, s14
	;; [unrolled: 1-line block ×3, first 2 shown]
	v_cndmask_b32_e64 v0, v0, v2, s2
	v_mov_b32_e32 v10, 0
	s_and_saveexec_b32 s2, vcc_lo
	s_cbranch_execz .LBB297_9
; %bb.8:
	v_sub_f32_e32 v10, v14, v14
	v_cmp_le_i32_e64 s0, s5, v0
	v_cmp_gt_i32_e64 s1, s6, v0
	v_subrev_nc_u32_e32 v51, s5, v0
	v_ashrrev_i32_e32 v6, 31, v5
	v_mul_f32_e32 v2, 0x3fb8aa3b, v10
	s_delay_alu instid0(VALU_DEP_4) | instskip(NEXT) | instid1(SALU_CYCLE_1)
	s_and_b32 s0, s0, s1
	s_and_b32 s0, s17, s0
	s_delay_alu instid0(VALU_DEP_1) | instskip(SKIP_2) | instid1(VALU_DEP_3)
	v_rndne_f32_e32 v47, v2
	v_fma_f32 v4, 0x3fb8aa3b, v10, -v2
	v_lshlrev_b64 v[49:50], 2, v[5:6]
	v_sub_f32_e32 v2, v2, v47
	s_delay_alu instid0(VALU_DEP_3) | instskip(NEXT) | instid1(VALU_DEP_1)
	v_fmamk_f32 v4, v10, 0x32a5705f, v4
	v_add_f32_e32 v4, v2, v4
	v_ashrrev_i32_e32 v2, 31, v1
	s_delay_alu instid0(VALU_DEP_2) | instskip(NEXT) | instid1(VALU_DEP_1)
	v_exp_f32_e32 v52, v4
	v_lshlrev_b64 v[45:46], 2, v[1:2]
	v_ashrrev_i32_e32 v4, 31, v3
	v_cvt_i32_f32_e32 v2, v47
	s_delay_alu instid0(VALU_DEP_2) | instskip(SKIP_2) | instid1(VALU_DEP_1)
	v_lshlrev_b64 v[47:48], 2, v[3:4]
	v_cndmask_b32_e64 v4, 0x100, v51, s0
	v_add_co_u32 v45, s0, s12, v45
	v_add_co_ci_u32_e64 v46, s0, s13, v46, s0
	s_delay_alu instid0(TRANS32_DEP_1) | instskip(SKIP_1) | instid1(VALU_DEP_1)
	v_ldexp_f32 v2, v52, v2
	v_cmp_ngt_f32_e64 s0, 0xc2ce8ed0, v10
	v_cndmask_b32_e64 v2, 0, v2, s0
	s_waitcnt lgkmcnt(0)
	v_add_co_u32 v47, s0, s8, v47
	s_delay_alu instid0(VALU_DEP_1) | instskip(SKIP_1) | instid1(VALU_DEP_1)
	v_add_co_ci_u32_e64 v48, s0, s9, v48, s0
	v_cmp_nlt_f32_e64 s0, 0x42b17218, v10
	v_cndmask_b32_e64 v10, 0x7f800000, v2, s0
	v_add_co_u32 v49, s0, s10, v49
	s_delay_alu instid0(VALU_DEP_1)
	v_add_co_ci_u32_e64 v50, s0, s11, v50, s0
	global_store_b32 v[47:48], v4, off
	global_store_b32 v[45:46], v10, off
	global_store_b32 v[49:50], v8, off
.LBB297_9:
	s_or_b32 exec_lo, exec_lo, s2
	v_ashrrev_i32_e32 v4, 31, v0
	s_mov_b32 s1, exec_lo
	s_delay_alu instid0(VALU_DEP_1) | instskip(NEXT) | instid1(VALU_DEP_1)
	v_lshrrev_b32_e32 v2, 28, v4
	v_add_nc_u32_e32 v2, v0, v2
	s_delay_alu instid0(VALU_DEP_1) | instskip(NEXT) | instid1(VALU_DEP_1)
	v_ashrrev_i32_e32 v2, 4, v2
	v_lshrrev_b32_e32 v6, 28, v2
	s_delay_alu instid0(VALU_DEP_1) | instskip(NEXT) | instid1(VALU_DEP_1)
	v_add_nc_u32_e32 v6, v2, v6
	v_and_b32_e32 v6, -16, v6
	s_delay_alu instid0(VALU_DEP_1) | instskip(NEXT) | instid1(VALU_DEP_1)
	v_sub_nc_u32_e32 v6, v2, v6
	v_cmpx_eq_u32_e64 v9, v6
	s_cbranch_execz .LBB297_11
; %bb.10:
	v_lshrrev_b32_e32 v4, 24, v4
	v_lshlrev_b32_e32 v2, 4, v2
	s_delay_alu instid0(VALU_DEP_2) | instskip(NEXT) | instid1(VALU_DEP_2)
	v_add_nc_u32_e32 v4, v0, v4
	v_sub_nc_u32_e32 v0, v0, v2
	s_delay_alu instid0(VALU_DEP_2) | instskip(NEXT) | instid1(VALU_DEP_1)
	v_ashrrev_i32_e32 v2, 8, v4
	v_lshl_add_u32 v0, v2, 4, v0
	s_delay_alu instid0(VALU_DEP_1) | instskip(NEXT) | instid1(VALU_DEP_1)
	v_cmp_ne_u32_e64 s0, 15, v0
	v_cndmask_b32_e64 v7, 0xff800000, v7, s0
	v_cmp_ne_u32_e64 s0, 14, v0
	s_delay_alu instid0(VALU_DEP_1) | instskip(SKIP_1) | instid1(VALU_DEP_1)
	v_cndmask_b32_e64 v11, 0xff800000, v11, s0
	v_cmp_ne_u32_e64 s0, 13, v0
	v_cndmask_b32_e64 v12, 0xff800000, v12, s0
	v_cmp_ne_u32_e64 s0, 12, v0
	s_delay_alu instid0(VALU_DEP_1) | instskip(SKIP_1) | instid1(VALU_DEP_1)
	v_cndmask_b32_e64 v13, 0xff800000, v13, s0
	;; [unrolled: 5-line block ×7, first 2 shown]
	v_cmp_ne_u32_e64 s0, 1, v0
	v_cndmask_b32_e64 v23, 0xff800000, v23, s0
	v_cmp_ne_u32_e64 s0, 0, v0
	s_delay_alu instid0(VALU_DEP_1)
	v_cndmask_b32_e64 v25, 0xff800000, v25, s0
.LBB297_11:
	s_or_b32 exec_lo, exec_lo, s1
	s_cmp_eq_u32 s4, 1
	s_cbranch_scc1 .LBB297_18
; %bb.12:
	s_add_i32 s18, s18, s16
	v_add_nc_u32_e32 v0, 1, v5
	v_add3_u32 v6, s18, v44, v43
	v_add_nc_u32_e32 v2, 1, v3
	v_add_nc_u32_e32 v4, 1, v1
	s_add_i32 s14, s4, -1
	s_branch .LBB297_14
.LBB297_13:                             ;   in Loop: Header=BB297_14 Depth=1
	s_or_b32 exec_lo, exec_lo, s1
	v_add_nc_u32_e32 v6, s16, v6
	v_add_nc_u32_e32 v0, 1, v0
	v_add_nc_u32_e32 v2, 1, v2
	v_add_nc_u32_e32 v4, 1, v4
	s_add_i32 s14, s14, -1
	s_delay_alu instid0(SALU_CYCLE_1)
	s_cmp_eq_u32 s14, 0
	s_cbranch_scc1 .LBB297_18
.LBB297_14:                             ; =>This Inner Loop Header: Depth=1
	v_cmp_gt_f32_e64 s0, v23, v25
	s_delay_alu instid0(VALU_DEP_1) | instskip(SKIP_1) | instid1(VALU_DEP_2)
	v_cndmask_b32_e64 v3, v25, v23, s0
	v_cndmask_b32_e64 v1, v22, v28, s0
	v_cmp_gt_f32_e64 s0, v27, v3
	s_delay_alu instid0(VALU_DEP_1) | instskip(NEXT) | instid1(VALU_DEP_3)
	v_cndmask_b32_e64 v3, v3, v27, s0
	v_cndmask_b32_e64 v1, v1, v29, s0
	s_delay_alu instid0(VALU_DEP_2) | instskip(NEXT) | instid1(VALU_DEP_1)
	v_cmp_gt_f32_e64 s0, v26, v3
	v_cndmask_b32_e64 v3, v3, v26, s0
	s_delay_alu instid0(VALU_DEP_3) | instskip(NEXT) | instid1(VALU_DEP_2)
	v_cndmask_b32_e64 v1, v1, v30, s0
	v_cmp_gt_f32_e64 s0, v24, v3
	s_delay_alu instid0(VALU_DEP_1) | instskip(NEXT) | instid1(VALU_DEP_3)
	v_cndmask_b32_e64 v3, v3, v24, s0
	v_cndmask_b32_e64 v1, v1, v31, s0
	s_delay_alu instid0(VALU_DEP_2) | instskip(NEXT) | instid1(VALU_DEP_1)
	v_cmp_gt_f32_e64 s0, v21, v3
	v_cndmask_b32_e64 v3, v3, v21, s0
	s_delay_alu instid0(VALU_DEP_3) | instskip(NEXT) | instid1(VALU_DEP_2)
	;; [unrolled: 9-line block ×6, first 2 shown]
	v_cndmask_b32_e64 v1, v1, v40, s0
	v_cmp_gt_f32_e64 s0, v11, v3
	s_delay_alu instid0(VALU_DEP_1) | instskip(NEXT) | instid1(VALU_DEP_3)
	v_cndmask_b32_e64 v3, v3, v11, s0
	v_cndmask_b32_e64 v1, v1, v41, s0
	s_delay_alu instid0(VALU_DEP_2) | instskip(NEXT) | instid1(VALU_DEP_1)
	v_cmp_gt_f32_e64 s0, v7, v3
	v_cndmask_b32_e64 v1, v1, v42, s0
	v_cndmask_b32_e64 v3, v3, v7, s0
	s_delay_alu instid0(VALU_DEP_2) | instskip(NEXT) | instid1(VALU_DEP_2)
	v_mov_b32_dpp v5, v1 quad_perm:[1,0,3,2] row_mask:0xf bank_mask:0xf
	v_mov_b32_dpp v43, v3 quad_perm:[1,0,3,2] row_mask:0xf bank_mask:0xf
	s_delay_alu instid0(VALU_DEP_2) | instskip(NEXT) | instid1(VALU_DEP_2)
	v_cmp_lt_i32_e64 s0, v5, v1
	v_cmp_eq_f32_e64 s1, v3, v43
	v_cmp_lt_f32_e64 s2, v3, v43
	s_delay_alu instid0(VALU_DEP_2)
	s_and_b32 s0, s1, s0
	s_delay_alu instid0(VALU_DEP_1) | instid1(SALU_CYCLE_1)
	s_or_b32 s0, s2, s0
	s_delay_alu instid0(SALU_CYCLE_1) | instskip(SKIP_1) | instid1(VALU_DEP_2)
	v_cndmask_b32_e64 v3, v3, v43, s0
	v_cndmask_b32_e64 v1, v1, v5, s0
	v_mov_b32_dpp v5, v3 quad_perm:[2,3,0,1] row_mask:0xf bank_mask:0xf
	s_delay_alu instid0(VALU_DEP_2) | instskip(NEXT) | instid1(VALU_DEP_2)
	v_mov_b32_dpp v43, v1 quad_perm:[2,3,0,1] row_mask:0xf bank_mask:0xf
	v_cmp_eq_f32_e64 s0, v3, v5
	s_delay_alu instid0(VALU_DEP_2) | instskip(SKIP_1) | instid1(VALU_DEP_2)
	v_cmp_lt_i32_e64 s1, v43, v1
	v_cmp_lt_f32_e64 s2, v3, v5
	s_and_b32 s0, s0, s1
	s_delay_alu instid0(VALU_DEP_1) | instid1(SALU_CYCLE_1)
	s_or_b32 s0, s2, s0
	s_delay_alu instid0(SALU_CYCLE_1) | instskip(SKIP_1) | instid1(VALU_DEP_2)
	v_cndmask_b32_e64 v3, v3, v5, s0
	v_cndmask_b32_e64 v5, v1, v43, s0
	v_mov_b32_dpp v1, v3 row_half_mirror row_mask:0xf bank_mask:0xf
	s_delay_alu instid0(VALU_DEP_2) | instskip(NEXT) | instid1(VALU_DEP_2)
	v_mov_b32_dpp v43, v5 row_half_mirror row_mask:0xf bank_mask:0xf
	v_cmp_eq_f32_e64 s0, v3, v1
	s_delay_alu instid0(VALU_DEP_2) | instskip(SKIP_1) | instid1(VALU_DEP_2)
	v_cmp_lt_i32_e64 s1, v43, v5
	v_cmp_lt_f32_e64 s2, v3, v1
	s_and_b32 s0, s0, s1
	s_delay_alu instid0(VALU_DEP_1) | instid1(SALU_CYCLE_1)
	s_or_b32 s0, s2, s0
	s_delay_alu instid0(SALU_CYCLE_1) | instskip(SKIP_1) | instid1(VALU_DEP_2)
	v_cndmask_b32_e64 v1, v3, v1, s0
	v_cndmask_b32_e64 v5, v5, v43, s0
	v_mov_b32_dpp v3, v1 row_mirror row_mask:0xf bank_mask:0xf
	s_delay_alu instid0(VALU_DEP_2) | instskip(NEXT) | instid1(VALU_DEP_2)
	v_mov_b32_dpp v43, v5 row_mirror row_mask:0xf bank_mask:0xf
	v_cmp_eq_f32_e64 s0, v1, v3
	s_delay_alu instid0(VALU_DEP_2) | instskip(SKIP_1) | instid1(VALU_DEP_2)
	v_cmp_lt_i32_e64 s1, v43, v5
	v_cmp_lt_f32_e64 s2, v1, v3
	s_and_b32 s0, s0, s1
	s_delay_alu instid0(VALU_DEP_1) | instid1(SALU_CYCLE_1)
	s_or_b32 s0, s2, s0
	s_delay_alu instid0(SALU_CYCLE_1)
	v_cndmask_b32_e64 v43, v5, v43, s0
	s_and_saveexec_b32 s2, vcc_lo
	s_cbranch_execz .LBB297_16
; %bb.15:                               ;   in Loop: Header=BB297_14 Depth=1
	v_cndmask_b32_e64 v1, v1, v3, s0
	s_delay_alu instid0(VALU_DEP_2) | instskip(SKIP_4) | instid1(VALU_DEP_4)
	v_cmp_le_i32_e64 s0, s5, v43
	v_cmp_gt_i32_e64 s1, s6, v43
	v_ashrrev_i32_e32 v5, 31, v4
	v_subrev_nc_u32_e32 v51, s5, v43
	v_sub_f32_e32 v50, v1, v14
	s_and_b32 s0, s0, s1
	s_delay_alu instid0(SALU_CYCLE_1) | instskip(NEXT) | instid1(VALU_DEP_1)
	s_and_b32 s0, s17, s0
	v_mul_f32_e32 v1, 0x3fb8aa3b, v50
	s_delay_alu instid0(VALU_DEP_1) | instskip(SKIP_1) | instid1(VALU_DEP_2)
	v_fma_f32 v3, 0x3fb8aa3b, v50, -v1
	v_rndne_f32_e32 v44, v1
	v_fmac_f32_e32 v3, 0x32a5705f, v50
	s_delay_alu instid0(VALU_DEP_2) | instskip(SKIP_2) | instid1(VALU_DEP_3)
	v_sub_f32_e32 v1, v1, v44
	v_cvt_i32_f32_e32 v49, v44
	v_lshlrev_b64 v[44:45], 2, v[4:5]
	v_add_f32_e32 v1, v1, v3
	v_ashrrev_i32_e32 v3, 31, v2
	s_delay_alu instid0(VALU_DEP_2) | instskip(SKIP_1) | instid1(VALU_DEP_2)
	v_exp_f32_e32 v48, v1
	v_ashrrev_i32_e32 v1, 31, v0
	v_lshlrev_b64 v[46:47], 2, v[2:3]
	s_waitcnt_depctr 0xfff
	v_ldexp_f32 v3, v48, v49
	v_lshlrev_b64 v[48:49], 2, v[0:1]
	v_cndmask_b32_e64 v1, 0x100, v51, s0
	v_cmp_ngt_f32_e64 s0, 0xc2ce8ed0, v50
	s_delay_alu instid0(VALU_DEP_1) | instskip(SKIP_1) | instid1(VALU_DEP_1)
	v_cndmask_b32_e64 v3, 0, v3, s0
	v_add_co_u32 v44, s0, s12, v44
	v_add_co_ci_u32_e64 v45, s0, s13, v45, s0
	v_cmp_nlt_f32_e64 s0, 0x42b17218, v50
	s_delay_alu instid0(VALU_DEP_1) | instskip(SKIP_2) | instid1(VALU_DEP_1)
	v_cndmask_b32_e64 v3, 0x7f800000, v3, s0
	s_waitcnt lgkmcnt(0)
	v_add_co_u32 v46, s0, s8, v46
	v_add_co_ci_u32_e64 v47, s0, s9, v47, s0
	s_delay_alu instid0(VALU_DEP_3) | instskip(SKIP_1) | instid1(VALU_DEP_1)
	v_add_f32_e32 v10, v10, v3
	v_add_co_u32 v48, s0, s10, v48
	v_add_co_ci_u32_e64 v49, s0, s11, v49, s0
	global_store_b32 v[44:45], v3, off
	global_store_b32 v[46:47], v1, off
	;; [unrolled: 1-line block ×3, first 2 shown]
.LBB297_16:                             ;   in Loop: Header=BB297_14 Depth=1
	s_or_b32 exec_lo, exec_lo, s2
	s_delay_alu instid0(VALU_DEP_1) | instskip(SKIP_1) | instid1(VALU_DEP_1)
	v_ashrrev_i32_e32 v3, 31, v43
	s_mov_b32 s1, exec_lo
	v_lshrrev_b32_e32 v1, 28, v3
	s_delay_alu instid0(VALU_DEP_1) | instskip(NEXT) | instid1(VALU_DEP_1)
	v_add_nc_u32_e32 v1, v43, v1
	v_ashrrev_i32_e32 v1, 4, v1
	s_delay_alu instid0(VALU_DEP_1) | instskip(NEXT) | instid1(VALU_DEP_1)
	v_lshrrev_b32_e32 v5, 28, v1
	v_add_nc_u32_e32 v5, v1, v5
	s_delay_alu instid0(VALU_DEP_1) | instskip(NEXT) | instid1(VALU_DEP_1)
	v_and_b32_e32 v5, -16, v5
	v_sub_nc_u32_e32 v5, v1, v5
	s_delay_alu instid0(VALU_DEP_1)
	v_cmpx_eq_u32_e64 v9, v5
	s_cbranch_execz .LBB297_13
; %bb.17:                               ;   in Loop: Header=BB297_14 Depth=1
	v_lshrrev_b32_e32 v3, 24, v3
	v_lshlrev_b32_e32 v1, 4, v1
	s_delay_alu instid0(VALU_DEP_2) | instskip(NEXT) | instid1(VALU_DEP_2)
	v_add_nc_u32_e32 v3, v43, v3
	v_sub_nc_u32_e32 v1, v43, v1
	s_delay_alu instid0(VALU_DEP_2) | instskip(NEXT) | instid1(VALU_DEP_1)
	v_ashrrev_i32_e32 v3, 8, v3
	v_lshl_add_u32 v1, v3, 4, v1
	s_delay_alu instid0(VALU_DEP_1) | instskip(NEXT) | instid1(VALU_DEP_1)
	v_cmp_ne_u32_e64 s0, 15, v1
	v_cndmask_b32_e64 v7, 0xff800000, v7, s0
	v_cmp_ne_u32_e64 s0, 14, v1
	s_delay_alu instid0(VALU_DEP_1) | instskip(SKIP_1) | instid1(VALU_DEP_1)
	v_cndmask_b32_e64 v11, 0xff800000, v11, s0
	v_cmp_ne_u32_e64 s0, 13, v1
	v_cndmask_b32_e64 v12, 0xff800000, v12, s0
	v_cmp_ne_u32_e64 s0, 12, v1
	s_delay_alu instid0(VALU_DEP_1) | instskip(SKIP_1) | instid1(VALU_DEP_1)
	v_cndmask_b32_e64 v13, 0xff800000, v13, s0
	;; [unrolled: 5-line block ×7, first 2 shown]
	v_cmp_ne_u32_e64 s0, 1, v1
	v_cndmask_b32_e64 v23, 0xff800000, v23, s0
	v_cmp_ne_u32_e64 s0, 0, v1
	s_delay_alu instid0(VALU_DEP_1)
	v_cndmask_b32_e64 v25, 0xff800000, v25, s0
	s_branch .LBB297_13
.LBB297_18:
	s_delay_alu instid0(VALU_DEP_1)
	v_sub_f32_e32 v3, v27, v14
	v_sub_f32_e32 v5, v26, v14
	;; [unrolled: 1-line block ×6, first 2 shown]
	v_mul_f32_e32 v27, 0x3fb8aa3b, v5
	v_dual_sub_f32 v1, v23, v14 :: v_dual_mul_f32 v2, 0x3fb8aa3b, v0
	v_cmp_ngt_f32_e32 vcc_lo, 0xc2ce8ed0, v0
	v_sub_f32_e32 v19, v19, v14
	s_delay_alu instid0(VALU_DEP_4) | instskip(NEXT) | instid1(VALU_DEP_4)
	v_rndne_f32_e32 v30, v27
	v_mul_f32_e32 v4, 0x3fb8aa3b, v1
	v_fma_f32 v22, 0x3fb8aa3b, v0, -v2
	v_rndne_f32_e32 v23, v2
	v_mul_f32_e32 v26, 0x3fb8aa3b, v3
	v_fma_f32 v29, 0x3fb8aa3b, v5, -v27
	v_sub_f32_e32 v6, v24, v14
	v_fma_f32 v24, 0x3fb8aa3b, v1, -v4
	v_rndne_f32_e32 v25, v4
	s_delay_alu instid0(VALU_DEP_4) | instskip(SKIP_1) | instid1(VALU_DEP_4)
	v_dual_fmac_f32 v22, 0x32a5705f, v0 :: v_dual_fmac_f32 v29, 0x32a5705f, v5
	v_sub_f32_e32 v2, v2, v23
	v_fmac_f32_e32 v24, 0x32a5705f, v1
	s_delay_alu instid0(VALU_DEP_4)
	v_sub_f32_e32 v4, v4, v25
	v_cvt_i32_f32_e32 v23, v23
	v_cvt_i32_f32_e32 v25, v25
	v_add_f32_e32 v2, v2, v22
	v_fma_f32 v22, 0x3fb8aa3b, v3, -v26
	v_add_f32_e32 v4, v4, v24
	v_rndne_f32_e32 v24, v26
	v_sub_f32_e32 v15, v15, v14
	v_exp_f32_e32 v2, v2
	v_fmac_f32_e32 v22, 0x32a5705f, v3
	v_exp_f32_e32 v4, v4
	v_sub_f32_e32 v26, v26, v24
	v_cvt_i32_f32_e32 v24, v24
	v_sub_f32_e32 v11, v11, v14
	s_delay_alu instid0(VALU_DEP_3) | instskip(NEXT) | instid1(TRANS32_DEP_2)
	v_add_f32_e32 v22, v26, v22
	v_ldexp_f32 v2, v2, v23
	v_sub_f32_e32 v23, v27, v30
	s_delay_alu instid0(TRANS32_DEP_1) | instskip(NEXT) | instid1(VALU_DEP_4)
	v_ldexp_f32 v4, v4, v25
	v_exp_f32_e32 v22, v22
	s_delay_alu instid0(VALU_DEP_3) | instskip(SKIP_1) | instid1(VALU_DEP_3)
	v_cndmask_b32_e32 v2, 0, v2, vcc_lo
	v_cmp_ngt_f32_e32 vcc_lo, 0xc2ce8ed0, v1
	v_dual_add_f32 v23, v23, v29 :: v_dual_cndmask_b32 v4, 0, v4
	v_cmp_nlt_f32_e32 vcc_lo, 0x42b17218, v0
	s_delay_alu instid0(VALU_DEP_2) | instskip(SKIP_3) | instid1(TRANS32_DEP_2)
	v_exp_f32_e32 v23, v23
	v_cndmask_b32_e32 v0, 0x7f800000, v2, vcc_lo
	v_cmp_nlt_f32_e32 vcc_lo, 0x42b17218, v1
	v_cndmask_b32_e32 v1, 0x7f800000, v4, vcc_lo
	v_ldexp_f32 v4, v22, v24
	v_cmp_ngt_f32_e32 vcc_lo, 0xc2ce8ed0, v3
	s_delay_alu instid0(VALU_DEP_2)
	v_dual_add_f32 v0, v0, v1 :: v_dual_cndmask_b32 v1, 0, v4
	v_cvt_i32_f32_e32 v4, v30
	v_cmp_nlt_f32_e32 vcc_lo, 0x42b17218, v3
	s_delay_alu instid0(TRANS32_DEP_1) | instid1(VALU_DEP_2)
	v_ldexp_f32 v3, v23, v4
	s_delay_alu instid0(VALU_DEP_4) | instskip(SKIP_3) | instid1(VALU_DEP_4)
	v_cndmask_b32_e32 v1, 0x7f800000, v1, vcc_lo
	v_cmp_ngt_f32_e32 vcc_lo, 0xc2ce8ed0, v5
	v_mul_f32_e32 v28, 0x3fb8aa3b, v6
	v_mul_f32_e32 v4, 0x3fb8aa3b, v21
	v_dual_add_f32 v0, v0, v1 :: v_dual_cndmask_b32 v1, 0, v3
	s_delay_alu instid0(VALU_DEP_3) | instskip(SKIP_1) | instid1(VALU_DEP_4)
	v_fma_f32 v2, 0x3fb8aa3b, v6, -v28
	v_rndne_f32_e32 v22, v28
	v_fma_f32 v3, 0x3fb8aa3b, v21, -v4
	v_rndne_f32_e32 v23, v4
	v_cmp_nlt_f32_e32 vcc_lo, 0x42b17218, v5
	v_fmac_f32_e32 v2, 0x32a5705f, v6
	v_sub_f32_e32 v24, v28, v22
	v_cvt_i32_f32_e32 v5, v22
	v_fmac_f32_e32 v3, 0x32a5705f, v21
	v_dual_cndmask_b32 v1, 0x7f800000, v1 :: v_dual_sub_f32 v4, v4, v23
	s_delay_alu instid0(VALU_DEP_4) | instskip(SKIP_1) | instid1(VALU_DEP_3)
	v_add_f32_e32 v2, v24, v2
	v_cmp_ngt_f32_e32 vcc_lo, 0xc2ce8ed0, v6
	v_add_f32_e32 v0, v0, v1
	s_delay_alu instid0(VALU_DEP_3) | instskip(SKIP_2) | instid1(VALU_DEP_1)
	v_exp_f32_e32 v2, v2
	s_waitcnt_depctr 0xfff
	v_ldexp_f32 v1, v2, v5
	v_dual_add_f32 v2, v4, v3 :: v_dual_cndmask_b32 v1, 0, v1
	s_delay_alu instid0(VALU_DEP_1) | instskip(SKIP_2) | instid1(VALU_DEP_3)
	v_exp_f32_e32 v2, v2
	v_cmp_nlt_f32_e32 vcc_lo, 0x42b17218, v6
	v_cvt_i32_f32_e32 v6, v23
	v_cndmask_b32_e32 v1, 0x7f800000, v1, vcc_lo
	v_cmp_ngt_f32_e32 vcc_lo, 0xc2ce8ed0, v21
	s_delay_alu instid0(VALU_DEP_2) | instskip(SKIP_2) | instid1(VALU_DEP_1)
	v_add_f32_e32 v0, v0, v1
	s_waitcnt_depctr 0xfff
	v_ldexp_f32 v1, v2, v6
	v_cndmask_b32_e32 v1, 0, v1, vcc_lo
	v_cmp_nlt_f32_e32 vcc_lo, 0x42b17218, v21
	v_mul_f32_e32 v21, 0x3fb8aa3b, v15
	s_delay_alu instid0(VALU_DEP_3) | instskip(SKIP_2) | instid1(VALU_DEP_3)
	v_cndmask_b32_e32 v1, 0x7f800000, v1, vcc_lo
	v_mul_f32_e32 v22, 0x3fb8aa3b, v20
	v_cmp_ngt_f32_e32 vcc_lo, 0xc2ce8ed0, v20
	v_add_f32_e32 v0, v0, v1
	s_delay_alu instid0(VALU_DEP_3) | instskip(SKIP_1) | instid1(VALU_DEP_2)
	v_fma_f32 v3, 0x3fb8aa3b, v20, -v22
	v_rndne_f32_e32 v4, v22
	v_fmac_f32_e32 v3, 0x32a5705f, v20
	s_delay_alu instid0(VALU_DEP_2) | instskip(SKIP_1) | instid1(VALU_DEP_2)
	v_sub_f32_e32 v5, v22, v4
	v_cvt_i32_f32_e32 v4, v4
	v_add_f32_e32 v3, v5, v3
	v_mul_f32_e32 v5, 0x3fb8aa3b, v19
	s_delay_alu instid0(VALU_DEP_2) | instskip(NEXT) | instid1(VALU_DEP_1)
	v_exp_f32_e32 v2, v3
	v_fma_f32 v3, 0x3fb8aa3b, v19, -v5
	v_rndne_f32_e32 v6, v5
	s_delay_alu instid0(VALU_DEP_2) | instskip(NEXT) | instid1(VALU_DEP_2)
	v_fmac_f32_e32 v3, 0x32a5705f, v19
	v_sub_f32_e32 v5, v5, v6
	v_cvt_i32_f32_e32 v6, v6
	s_waitcnt_depctr 0xfff
	v_ldexp_f32 v2, v2, v4
	v_add_f32_e32 v3, v5, v3
	v_sub_f32_e32 v5, v17, v14
	v_sub_f32_e32 v16, v16, v14
	s_delay_alu instid0(VALU_DEP_4)
	v_cndmask_b32_e32 v1, 0, v2, vcc_lo
	v_cmp_nlt_f32_e32 vcc_lo, 0x42b17218, v20
	v_sub_f32_e32 v4, v18, v14
	v_exp_f32_e32 v2, v3
	v_mul_f32_e32 v20, 0x3fb8aa3b, v5
	v_cndmask_b32_e32 v1, 0x7f800000, v1, vcc_lo
	s_delay_alu instid0(VALU_DEP_3) | instskip(SKIP_1) | instid1(VALU_DEP_3)
	v_mul_f32_e32 v3, 0x3fb8aa3b, v4
	v_cmp_ngt_f32_e32 vcc_lo, 0xc2ce8ed0, v19
	v_add_f32_e32 v0, v0, v1
	s_delay_alu instid0(VALU_DEP_3) | instskip(SKIP_1) | instid1(TRANS32_DEP_1)
	v_fma_f32 v17, 0x3fb8aa3b, v4, -v3
	v_rndne_f32_e32 v18, v3
	v_ldexp_f32 v1, v2, v6
	v_rndne_f32_e32 v6, v20
	s_delay_alu instid0(VALU_DEP_3) | instskip(NEXT) | instid1(VALU_DEP_3)
	v_dual_fmac_f32 v17, 0x32a5705f, v4 :: v_dual_sub_f32 v2, v3, v18
	v_cndmask_b32_e32 v1, 0, v1, vcc_lo
	v_fma_f32 v3, 0x3fb8aa3b, v5, -v20
	v_cmp_nlt_f32_e32 vcc_lo, 0x42b17218, v19
	v_cvt_i32_f32_e32 v18, v18
	v_dual_add_f32 v2, v2, v17 :: v_dual_sub_f32 v17, v20, v6
	s_delay_alu instid0(VALU_DEP_4) | instskip(SKIP_1) | instid1(VALU_DEP_3)
	v_fmac_f32_e32 v3, 0x32a5705f, v5
	v_mul_f32_e32 v20, 0x3fb8aa3b, v16
	v_exp_f32_e32 v2, v2
	s_delay_alu instid0(VALU_DEP_2) | instskip(NEXT) | instid1(VALU_DEP_2)
	v_add_f32_e32 v3, v17, v3
	v_fma_f32 v17, 0x3fb8aa3b, v16, -v20
	v_rndne_f32_e32 v19, v20
	v_cndmask_b32_e32 v1, 0x7f800000, v1, vcc_lo
	v_cmp_ngt_f32_e32 vcc_lo, 0xc2ce8ed0, v4
	v_exp_f32_e32 v3, v3
	s_delay_alu instid0(VALU_DEP_3) | instskip(NEXT) | instid1(VALU_DEP_3)
	v_dual_fmac_f32 v17, 0x32a5705f, v16 :: v_dual_sub_f32 v20, v20, v19
	v_add_f32_e32 v0, v0, v1
	s_delay_alu instid0(TRANS32_DEP_2)
	v_ldexp_f32 v1, v2, v18
	v_cvt_i32_f32_e32 v2, v6
	v_rndne_f32_e32 v18, v21
	v_add_f32_e32 v6, v20, v17
	v_fma_f32 v17, 0x3fb8aa3b, v15, -v21
	v_cndmask_b32_e32 v1, 0, v1, vcc_lo
	s_delay_alu instid0(TRANS32_DEP_1)
	v_ldexp_f32 v2, v3, v2
	v_cmp_nlt_f32_e32 vcc_lo, 0x42b17218, v4
	v_exp_f32_e32 v3, v6
	v_sub_f32_e32 v6, v21, v18
	v_cvt_i32_f32_e32 v4, v19
	v_fmac_f32_e32 v17, 0x32a5705f, v15
	v_cndmask_b32_e32 v1, 0x7f800000, v1, vcc_lo
	v_cmp_ngt_f32_e32 vcc_lo, 0xc2ce8ed0, v5
	s_delay_alu instid0(VALU_DEP_2) | instskip(NEXT) | instid1(TRANS32_DEP_1)
	v_add_f32_e32 v0, v0, v1
	v_ldexp_f32 v1, v3, v4
	v_cndmask_b32_e32 v2, 0, v2, vcc_lo
	v_cmp_nlt_f32_e32 vcc_lo, 0x42b17218, v5
	v_dual_sub_f32 v4, v13, v14 :: v_dual_mul_f32 v13, 0x3fb8aa3b, v11
	s_delay_alu instid0(VALU_DEP_3) | instskip(SKIP_1) | instid1(VALU_DEP_3)
	v_cndmask_b32_e32 v2, 0x7f800000, v2, vcc_lo
	v_cmp_ngt_f32_e32 vcc_lo, 0xc2ce8ed0, v16
	v_mul_f32_e32 v5, 0x3fb8aa3b, v4
	v_cndmask_b32_e32 v1, 0, v1, vcc_lo
	v_cmp_nlt_f32_e32 vcc_lo, 0x42b17218, v16
	v_add_f32_e32 v0, v0, v2
	v_cvt_i32_f32_e32 v2, v18
	s_delay_alu instid0(VALU_DEP_4) | instskip(SKIP_1) | instid1(VALU_DEP_2)
	v_cndmask_b32_e32 v1, 0x7f800000, v1, vcc_lo
	v_cmp_ngt_f32_e32 vcc_lo, 0xc2ce8ed0, v15
	v_add_f32_e32 v0, v0, v1
	v_fma_f32 v1, 0x3fb8aa3b, v4, -v5
	s_delay_alu instid0(VALU_DEP_1) | instskip(NEXT) | instid1(VALU_DEP_1)
	v_dual_add_f32 v6, v6, v17 :: v_dual_fmac_f32 v1, 0x32a5705f, v4
	v_exp_f32_e32 v3, v6
	v_sub_f32_e32 v6, v12, v14
	v_fma_f32 v14, 0x3fb8aa3b, v11, -v13
	s_delay_alu instid0(VALU_DEP_1) | instskip(SKIP_3) | instid1(VALU_DEP_1)
	v_fmac_f32_e32 v14, 0x32a5705f, v11
	s_waitcnt_depctr 0xfff
	v_ldexp_f32 v2, v3, v2
	v_rndne_f32_e32 v3, v5
	v_dual_cndmask_b32 v2, 0, v2 :: v_dual_sub_f32 v5, v5, v3
	v_cmp_nlt_f32_e32 vcc_lo, 0x42b17218, v15
	v_cvt_i32_f32_e32 v3, v3
	v_rndne_f32_e32 v15, v13
	s_delay_alu instid0(VALU_DEP_4) | instskip(SKIP_1) | instid1(VALU_DEP_2)
	v_dual_add_f32 v1, v5, v1 :: v_dual_cndmask_b32 v2, 0x7f800000, v2
	v_cmp_ngt_f32_e32 vcc_lo, 0xc2ce8ed0, v4
	v_exp_f32_e32 v1, v1
	s_waitcnt_depctr 0xfff
	v_ldexp_f32 v1, v1, v3
	s_delay_alu instid0(VALU_DEP_1) | instskip(NEXT) | instid1(VALU_DEP_1)
	v_dual_mul_f32 v12, 0x3fb8aa3b, v6 :: v_dual_cndmask_b32 v1, 0, v1
	v_rndne_f32_e32 v5, v12
	v_cmp_nlt_f32_e32 vcc_lo, 0x42b17218, v4
	v_add_f32_e32 v0, v0, v2
	v_fma_f32 v2, 0x3fb8aa3b, v6, -v12
	v_cvt_i32_f32_e32 v4, v15
	v_sub_f32_e32 v12, v12, v5
	v_cndmask_b32_e32 v1, 0x7f800000, v1, vcc_lo
	v_cvt_i32_f32_e32 v5, v5
	v_fmac_f32_e32 v2, 0x32a5705f, v6
	s_delay_alu instid0(VALU_DEP_3) | instskip(NEXT) | instid1(VALU_DEP_2)
	v_add_f32_e32 v0, v0, v1
	v_add_f32_e32 v2, v12, v2
	v_sub_f32_e32 v12, v13, v15
	v_mul_f32_e32 v16, 0x3fb8aa3b, v7
	s_delay_alu instid0(VALU_DEP_3) | instskip(NEXT) | instid1(VALU_DEP_2)
	v_exp_f32_e32 v2, v2
	v_add_f32_e32 v3, v12, v14
	s_delay_alu instid0(VALU_DEP_2) | instskip(SKIP_1) | instid1(VALU_DEP_3)
	v_fma_f32 v13, 0x3fb8aa3b, v7, -v16
	v_rndne_f32_e32 v17, v16
	v_exp_f32_e32 v3, v3
	s_delay_alu instid0(VALU_DEP_1) | instskip(SKIP_1) | instid1(TRANS32_DEP_2)
	v_dual_fmac_f32 v13, 0x32a5705f, v7 :: v_dual_sub_f32 v12, v16, v17
	v_cmp_ngt_f32_e32 vcc_lo, 0xc2ce8ed0, v6
	v_ldexp_f32 v2, v2, v5
	s_delay_alu instid0(VALU_DEP_3) | instskip(NEXT) | instid1(VALU_DEP_2)
	v_add_f32_e32 v12, v12, v13
	v_cndmask_b32_e32 v2, 0, v2, vcc_lo
	v_cmp_nlt_f32_e32 vcc_lo, 0x42b17218, v6
	s_delay_alu instid0(TRANS32_DEP_1) | instskip(NEXT) | instid1(VALU_DEP_4)
	v_ldexp_f32 v1, v3, v4
	v_exp_f32_e32 v5, v12
	v_cvt_i32_f32_e32 v3, v17
	v_cndmask_b32_e32 v2, 0x7f800000, v2, vcc_lo
	v_cmp_ngt_f32_e32 vcc_lo, 0xc2ce8ed0, v11
	s_delay_alu instid0(VALU_DEP_2)
	v_dual_add_f32 v0, v0, v2 :: v_dual_cndmask_b32 v1, 0, v1
	v_cmp_nlt_f32_e32 vcc_lo, 0x42b17218, v11
	s_waitcnt_depctr 0xfff
	v_ldexp_f32 v3, v5, v3
	v_cndmask_b32_e32 v1, 0x7f800000, v1, vcc_lo
	v_cmp_ngt_f32_e32 vcc_lo, 0xc2ce8ed0, v7
	s_delay_alu instid0(VALU_DEP_2) | instskip(NEXT) | instid1(VALU_DEP_4)
	v_add_f32_e32 v0, v0, v1
	v_cndmask_b32_e32 v2, 0, v3, vcc_lo
	v_cmp_nlt_f32_e32 vcc_lo, 0x42b17218, v7
	s_delay_alu instid0(VALU_DEP_2) | instskip(SKIP_1) | instid1(VALU_DEP_2)
	v_cndmask_b32_e32 v1, 0x7f800000, v2, vcc_lo
	v_cmp_eq_u32_e32 vcc_lo, 0, v9
	v_add_f32_e32 v0, v0, v1
	s_delay_alu instid0(VALU_DEP_1) | instskip(NEXT) | instid1(VALU_DEP_1)
	v_mov_b32_dpp v1, v0 quad_perm:[1,0,3,2] row_mask:0xf bank_mask:0xf
	v_add_f32_e32 v0, v0, v1
	s_delay_alu instid0(VALU_DEP_1) | instskip(NEXT) | instid1(VALU_DEP_1)
	v_mov_b32_dpp v1, v0 quad_perm:[2,3,0,1] row_mask:0xf bank_mask:0xf
	v_add_f32_e32 v0, v0, v1
	s_delay_alu instid0(VALU_DEP_1) | instskip(NEXT) | instid1(VALU_DEP_1)
	v_mov_b32_dpp v1, v0 row_half_mirror row_mask:0xf bank_mask:0xf
	v_add_f32_e32 v0, v0, v1
	s_delay_alu instid0(VALU_DEP_1)
	v_mov_b32_dpp v1, v0 row_mirror row_mask:0xf bank_mask:0xf
	s_and_b32 exec_lo, exec_lo, vcc_lo
	s_cbranch_execz .LBB297_23
; %bb.19:
	s_delay_alu instid0(VALU_DEP_1) | instskip(NEXT) | instid1(VALU_DEP_1)
	v_add_f32_e32 v0, v0, v1
	v_add_f32_e32 v0, v10, v0
	s_delay_alu instid0(VALU_DEP_1)
	v_cmp_neq_f32_e32 vcc_lo, 0, v0
	s_and_b32 exec_lo, exec_lo, vcc_lo
	s_cbranch_execz .LBB297_23
; %bb.20:
	s_and_not1_b32 vcc_lo, exec_lo, s3
	s_cbranch_vccnz .LBB297_23
; %bb.21:
	v_div_scale_f32 v2, null, v0, v0, 1.0
	v_div_scale_f32 v4, vcc_lo, 1.0, v0, 1.0
	s_delay_alu instid0(VALU_DEP_2) | instskip(SKIP_2) | instid1(VALU_DEP_1)
	v_rcp_f32_e32 v3, v2
	s_waitcnt_depctr 0xfff
	v_fma_f32 v1, -v2, v3, 1.0
	v_fmac_f32_e32 v3, v1, v3
	v_mul_lo_u32 v1, v8, s7
	s_delay_alu instid0(VALU_DEP_2) | instskip(NEXT) | instid1(VALU_DEP_1)
	v_mul_f32_e32 v5, v4, v3
	v_fma_f32 v6, -v2, v5, v4
	s_delay_alu instid0(VALU_DEP_1) | instskip(NEXT) | instid1(VALU_DEP_1)
	v_fmac_f32_e32 v5, v6, v3
	v_fma_f32 v4, -v2, v5, v4
	v_ashrrev_i32_e32 v2, 31, v1
	s_delay_alu instid0(VALU_DEP_2) | instskip(NEXT) | instid1(VALU_DEP_2)
	v_div_fmas_f32 v5, v4, v3, v5
	v_lshlrev_b64 v[3:4], 2, v[1:2]
	s_delay_alu instid0(VALU_DEP_2) | instskip(NEXT) | instid1(VALU_DEP_2)
	v_div_fixup_f32 v2, v5, v0, 1.0
	v_add_co_u32 v0, vcc_lo, s12, v3
	s_delay_alu instid0(VALU_DEP_3)
	v_add_co_ci_u32_e32 v1, vcc_lo, s13, v4, vcc_lo
.LBB297_22:                             ; =>This Inner Loop Header: Depth=1
	global_load_b32 v3, v[0:1], off
	s_add_i32 s4, s4, -1
	s_delay_alu instid0(SALU_CYCLE_1)
	s_cmp_lg_u32 s4, 0
	s_waitcnt vmcnt(0)
	v_mul_f32_e32 v3, v2, v3
	global_store_b32 v[0:1], v3, off
	v_add_co_u32 v0, vcc_lo, v0, 4
	v_add_co_ci_u32_e32 v1, vcc_lo, 0, v1, vcc_lo
	s_cbranch_scc1 .LBB297_22
.LBB297_23:
	s_nop 0
	s_sendmsg sendmsg(MSG_DEALLOC_VGPRS)
	s_endpgm
	.section	.rodata,"a",@progbits
	.p2align	6, 0x0
	.amdhsa_kernel _ZN4vllm3moe17topkGatingSoftmaxItLi16ELi256ELi8ELi32ELb0ELi8ELNS0_23SharedExpertScoringFuncE1EEEvPKT_PKbPfiPiS9_iiiiii
		.amdhsa_group_segment_fixed_size 0
		.amdhsa_private_segment_fixed_size 0
		.amdhsa_kernarg_size 72
		.amdhsa_user_sgpr_count 15
		.amdhsa_user_sgpr_dispatch_ptr 0
		.amdhsa_user_sgpr_queue_ptr 0
		.amdhsa_user_sgpr_kernarg_segment_ptr 1
		.amdhsa_user_sgpr_dispatch_id 0
		.amdhsa_user_sgpr_private_segment_size 0
		.amdhsa_wavefront_size32 1
		.amdhsa_uses_dynamic_stack 0
		.amdhsa_enable_private_segment 0
		.amdhsa_system_sgpr_workgroup_id_x 1
		.amdhsa_system_sgpr_workgroup_id_y 0
		.amdhsa_system_sgpr_workgroup_id_z 0
		.amdhsa_system_sgpr_workgroup_info 0
		.amdhsa_system_vgpr_workitem_id 1
		.amdhsa_next_free_vgpr 53
		.amdhsa_next_free_sgpr 19
		.amdhsa_reserve_vcc 1
		.amdhsa_float_round_mode_32 0
		.amdhsa_float_round_mode_16_64 0
		.amdhsa_float_denorm_mode_32 3
		.amdhsa_float_denorm_mode_16_64 3
		.amdhsa_dx10_clamp 1
		.amdhsa_ieee_mode 1
		.amdhsa_fp16_overflow 0
		.amdhsa_workgroup_processor_mode 1
		.amdhsa_memory_ordered 1
		.amdhsa_forward_progress 0
		.amdhsa_shared_vgpr_count 0
		.amdhsa_exception_fp_ieee_invalid_op 0
		.amdhsa_exception_fp_denorm_src 0
		.amdhsa_exception_fp_ieee_div_zero 0
		.amdhsa_exception_fp_ieee_overflow 0
		.amdhsa_exception_fp_ieee_underflow 0
		.amdhsa_exception_fp_ieee_inexact 0
		.amdhsa_exception_int_div_zero 0
	.end_amdhsa_kernel
	.section	.text._ZN4vllm3moe17topkGatingSoftmaxItLi16ELi256ELi8ELi32ELb0ELi8ELNS0_23SharedExpertScoringFuncE1EEEvPKT_PKbPfiPiS9_iiiiii,"axG",@progbits,_ZN4vllm3moe17topkGatingSoftmaxItLi16ELi256ELi8ELi32ELb0ELi8ELNS0_23SharedExpertScoringFuncE1EEEvPKT_PKbPfiPiS9_iiiiii,comdat
.Lfunc_end297:
	.size	_ZN4vllm3moe17topkGatingSoftmaxItLi16ELi256ELi8ELi32ELb0ELi8ELNS0_23SharedExpertScoringFuncE1EEEvPKT_PKbPfiPiS9_iiiiii, .Lfunc_end297-_ZN4vllm3moe17topkGatingSoftmaxItLi16ELi256ELi8ELi32ELb0ELi8ELNS0_23SharedExpertScoringFuncE1EEEvPKT_PKbPfiPiS9_iiiiii
                                        ; -- End function
	.section	.AMDGPU.csdata,"",@progbits
; Kernel info:
; codeLenInByte = 5752
; NumSgprs: 21
; NumVgprs: 53
; ScratchSize: 0
; MemoryBound: 0
; FloatMode: 240
; IeeeMode: 1
; LDSByteSize: 0 bytes/workgroup (compile time only)
; SGPRBlocks: 2
; VGPRBlocks: 6
; NumSGPRsForWavesPerEU: 21
; NumVGPRsForWavesPerEU: 53
; Occupancy: 16
; WaveLimiterHint : 0
; COMPUTE_PGM_RSRC2:SCRATCH_EN: 0
; COMPUTE_PGM_RSRC2:USER_SGPR: 15
; COMPUTE_PGM_RSRC2:TRAP_HANDLER: 0
; COMPUTE_PGM_RSRC2:TGID_X_EN: 1
; COMPUTE_PGM_RSRC2:TGID_Y_EN: 0
; COMPUTE_PGM_RSRC2:TGID_Z_EN: 0
; COMPUTE_PGM_RSRC2:TIDIG_COMP_CNT: 1
	.section	.text._ZN4vllm3moe17topkGatingSoftmaxItLi32ELi512ELi2ELi64ELb1ELi0ELNS0_23SharedExpertScoringFuncE0EEEvPKT_PKbPfiPiS9_iiiiii,"axG",@progbits,_ZN4vllm3moe17topkGatingSoftmaxItLi32ELi512ELi2ELi64ELb1ELi0ELNS0_23SharedExpertScoringFuncE0EEEvPKT_PKbPfiPiS9_iiiiii,comdat
	.protected	_ZN4vllm3moe17topkGatingSoftmaxItLi32ELi512ELi2ELi64ELb1ELi0ELNS0_23SharedExpertScoringFuncE0EEEvPKT_PKbPfiPiS9_iiiiii ; -- Begin function _ZN4vllm3moe17topkGatingSoftmaxItLi32ELi512ELi2ELi64ELb1ELi0ELNS0_23SharedExpertScoringFuncE0EEEvPKT_PKbPfiPiS9_iiiiii
	.globl	_ZN4vllm3moe17topkGatingSoftmaxItLi32ELi512ELi2ELi64ELb1ELi0ELNS0_23SharedExpertScoringFuncE0EEEvPKT_PKbPfiPiS9_iiiiii
	.p2align	8
	.type	_ZN4vllm3moe17topkGatingSoftmaxItLi32ELi512ELi2ELi64ELb1ELi0ELNS0_23SharedExpertScoringFuncE0EEEvPKT_PKbPfiPiS9_iiiiii,@function
_ZN4vllm3moe17topkGatingSoftmaxItLi32ELi512ELi2ELi64ELb1ELi0ELNS0_23SharedExpertScoringFuncE0EEEvPKT_PKbPfiPiS9_iiiiii: ; @_ZN4vllm3moe17topkGatingSoftmaxItLi32ELi512ELi2ELi64ELb1ELi0ELNS0_23SharedExpertScoringFuncE0EEEvPKT_PKbPfiPiS9_iiiiii
; %bb.0:
	s_load_b32 s16, s[0:1], 0x18
	v_bfe_u32 v1, v0, 10, 10
	v_and_b32_e32 v0, 0x3ff, v0
	s_lshl_b32 s18, s15, 2
	s_mov_b32 s2, exec_lo
	s_delay_alu instid0(VALU_DEP_2) | instskip(NEXT) | instid1(VALU_DEP_2)
	v_lshlrev_b32_e32 v38, 1, v1
	v_lshrrev_b32_e32 v39, 4, v0
	s_delay_alu instid0(VALU_DEP_1) | instskip(SKIP_1) | instid1(VALU_DEP_1)
	v_add3_u32 v7, s18, v38, v39
	s_waitcnt lgkmcnt(0)
	v_cmpx_gt_i32_e64 s16, v7
	s_cbranch_execz .LBB298_20
; %bb.1:
	s_clause 0x1
	s_load_b128 s[4:7], s[0:1], 0x0
	s_load_b64 s[12:13], s[0:1], 0x10
	s_waitcnt lgkmcnt(0)
	s_cmp_eq_u64 s[6:7], 0
	s_cbranch_scc1 .LBB298_3
; %bb.2:
	v_ashrrev_i32_e32 v2, 31, v7
	v_add_co_u32 v1, vcc_lo, s6, v7
	s_delay_alu instid0(VALU_DEP_2) | instskip(SKIP_3) | instid1(VALU_DEP_1)
	v_add_co_ci_u32_e32 v2, vcc_lo, s7, v2, vcc_lo
	global_load_u8 v1, v[1:2], off
	s_waitcnt vmcnt(0)
	v_and_b32_e32 v1, 1, v1
	v_cmp_eq_u32_e32 vcc_lo, 1, v1
	s_xor_b32 s2, vcc_lo, -1
	s_delay_alu instid0(SALU_CYCLE_1)
	s_or_not1_b32 s17, s2, exec_lo
	s_branch .LBB298_4
.LBB298_3:
	s_mov_b32 s17, -1
.LBB298_4:
	s_load_b64 s[14:15], s[0:1], 0x40
	v_and_b32_e32 v8, 15, v0
	s_waitcnt lgkmcnt(0)
	v_mul_lo_u32 v1, v7, s15
	s_delay_alu instid0(VALU_DEP_1) | instskip(NEXT) | instid1(VALU_DEP_1)
	v_ashrrev_i32_e32 v2, 31, v1
	v_lshlrev_b64 v[0:1], 1, v[1:2]
	v_lshlrev_b32_e32 v2, 6, v8
	s_delay_alu instid0(VALU_DEP_2) | instskip(NEXT) | instid1(VALU_DEP_3)
	v_add_co_u32 v0, vcc_lo, s4, v0
	v_add_co_ci_u32_e32 v1, vcc_lo, s5, v1, vcc_lo
	s_load_b128 s[4:7], s[0:1], 0x30
	s_delay_alu instid0(VALU_DEP_2) | instskip(NEXT) | instid1(VALU_DEP_2)
	v_add_co_u32 v4, vcc_lo, v0, v2
	v_add_co_ci_u32_e32 v5, vcc_lo, 0, v1, vcc_lo
	s_clause 0x3
	global_load_b128 v[0:3], v[4:5], off
	global_load_b128 v[20:23], v[4:5], off offset:16
	global_load_b128 v[28:31], v[4:5], off offset:32
	;; [unrolled: 1-line block ×3, first 2 shown]
	s_waitcnt vmcnt(3)
	v_lshrrev_b32_e32 v4, 16, v0
	v_and_b32_e32 v0, 0xffff, v0
	s_waitcnt vmcnt(1)
	v_and_b32_e32 v6, 0xffff, v30
	s_delay_alu instid0(VALU_DEP_3) | instskip(NEXT) | instid1(VALU_DEP_3)
	v_cvt_f32_u32_e32 v45, v4
	v_cvt_f32_u32_e32 v44, v0
	v_and_b32_e32 v0, 0xffff, v1
	v_lshrrev_b32_e32 v1, 16, v1
	v_cvt_f32_u32_e32 v60, v6
	v_lshrrev_b32_e32 v6, 16, v30
	v_cmp_lt_f32_e32 vcc_lo, v44, v45
	v_lshlrev_b32_e32 v9, 5, v8
	v_cvt_f32_u32_e32 v46, v0
	v_cvt_f32_u32_e32 v47, v1
	;; [unrolled: 1-line block ×3, first 2 shown]
	v_cndmask_b32_e32 v4, v44, v45, vcc_lo
	v_or_b32_e32 v10, 1, v9
	v_or_b32_e32 v11, 2, v9
	;; [unrolled: 1-line block ×5, first 2 shown]
	v_cndmask_b32_e32 v0, v9, v10, vcc_lo
	v_cmp_lt_f32_e32 vcc_lo, v4, v46
	v_and_b32_e32 v6, 0xffff, v31
	v_or_b32_e32 v15, 6, v9
	v_or_b32_e32 v16, 7, v9
	;; [unrolled: 1-line block ×3, first 2 shown]
	v_cndmask_b32_e32 v1, v4, v46, vcc_lo
	v_and_b32_e32 v4, 0xffff, v2
	v_lshrrev_b32_e32 v2, 16, v2
	v_cvt_f32_u32_e32 v62, v6
	v_lshrrev_b32_e32 v6, 16, v31
	v_or_b32_e32 v18, 9, v9
	v_cvt_f32_u32_e32 v48, v4
	v_cvt_f32_u32_e32 v49, v2
	v_and_b32_e32 v2, 0xffff, v3
	v_cvt_f32_u32_e32 v63, v6
	s_waitcnt vmcnt(0)
	v_and_b32_e32 v6, 0xffff, v40
	v_or_b32_e32 v19, 10, v9
	v_or_b32_e32 v24, 15, v9
	v_cvt_f32_u32_e32 v50, v2
	v_lshrrev_b32_e32 v2, 16, v3
	v_cndmask_b32_e32 v0, v0, v11, vcc_lo
	v_cmp_lt_f32_e32 vcc_lo, v1, v47
	v_cvt_f32_u32_e32 v64, v6
	v_lshrrev_b32_e32 v6, 16, v40
	v_cvt_f32_u32_e32 v51, v2
	v_dual_cndmask_b32 v1, v1, v47 :: v_dual_and_b32 v2, 0xffff, v20
	v_or_b32_e32 v25, 16, v9
	s_delay_alu instid0(VALU_DEP_4) | instskip(SKIP_1) | instid1(VALU_DEP_4)
	v_cvt_f32_u32_e32 v65, v6
	v_and_b32_e32 v6, 0xffff, v41
	v_cvt_f32_u32_e32 v52, v2
	v_lshrrev_b32_e32 v2, 16, v20
	v_or_b32_e32 v20, 11, v9
	v_or_b32_e32 v26, 17, v9
	v_cvt_f32_u32_e32 v66, v6
	v_lshrrev_b32_e32 v6, 16, v41
	v_cvt_f32_u32_e32 v53, v2
	v_cndmask_b32_e32 v0, v0, v12, vcc_lo
	v_cmp_lt_f32_e32 vcc_lo, v1, v48
	v_and_b32_e32 v2, 0xffff, v21
	v_cvt_f32_u32_e32 v67, v6
	v_and_b32_e32 v6, 0xffff, v42
	v_or_b32_e32 v27, 18, v9
	v_dual_cndmask_b32 v1, v1, v48 :: v_dual_cndmask_b32 v0, v0, v13
	v_cvt_f32_u32_e32 v54, v2
	v_lshrrev_b32_e32 v2, 16, v21
	v_or_b32_e32 v21, 12, v9
	s_delay_alu instid0(VALU_DEP_4)
	v_cmp_lt_f32_e32 vcc_lo, v1, v49
	v_cvt_f32_u32_e32 v68, v6
	v_lshrrev_b32_e32 v6, 16, v42
	v_cvt_f32_u32_e32 v55, v2
	v_dual_cndmask_b32 v1, v1, v49 :: v_dual_and_b32 v2, 0xffff, v22
	v_cndmask_b32_e32 v0, v0, v14, vcc_lo
	s_delay_alu instid0(VALU_DEP_4) | instskip(SKIP_1) | instid1(VALU_DEP_4)
	v_cvt_f32_u32_e32 v69, v6
	v_and_b32_e32 v6, 0xffff, v43
	v_cvt_f32_u32_e32 v56, v2
	v_cmp_lt_f32_e32 vcc_lo, v1, v50
	v_lshrrev_b32_e32 v2, 16, v22
	v_or_b32_e32 v22, 13, v9
	v_cvt_f32_u32_e32 v70, v6
	v_or_b32_e32 v30, 21, v9
	v_dual_cndmask_b32 v1, v1, v50 :: v_dual_cndmask_b32 v0, v0, v15
	v_cvt_f32_u32_e32 v57, v2
	v_and_b32_e32 v2, 0xffff, v23
	v_or_b32_e32 v31, 22, v9
	s_delay_alu instid0(VALU_DEP_4)
	v_cmp_lt_f32_e32 vcc_lo, v1, v51
	v_or_b32_e32 v32, 23, v9
	v_or_b32_e32 v33, 24, v9
	v_cvt_f32_u32_e32 v58, v2
	v_lshrrev_b32_e32 v2, 16, v23
	v_dual_cndmask_b32 v1, v1, v51 :: v_dual_cndmask_b32 v0, v0, v16
	v_or_b32_e32 v23, 14, v9
	v_or_b32_e32 v34, 25, v9
	s_delay_alu instid0(VALU_DEP_4) | instskip(NEXT) | instid1(VALU_DEP_4)
	v_cvt_f32_u32_e32 v59, v2
	v_cmp_lt_f32_e32 vcc_lo, v1, v52
	v_or_b32_e32 v35, 26, v9
	v_or_b32_e32 v36, 27, v9
	;; [unrolled: 1-line block ×4, first 2 shown]
	v_dual_cndmask_b32 v1, v1, v52 :: v_dual_cndmask_b32 v0, v0, v17
	v_lshrrev_b32_e32 v6, 16, v43
	v_or_b32_e32 v41, 30, v9
	v_or_b32_e32 v42, 31, v9
	s_delay_alu instid0(VALU_DEP_4) | instskip(NEXT) | instid1(VALU_DEP_4)
	v_cmp_lt_f32_e32 vcc_lo, v1, v53
	v_cvt_f32_u32_e32 v71, v6
	s_clause 0x1
	scratch_store_b128 off, v[68:71], off offset:112
	scratch_store_b128 off, v[64:67], off offset:96
	v_dual_cndmask_b32 v1, v1, v53 :: v_dual_cndmask_b32 v0, v0, v18
	s_delay_alu instid0(VALU_DEP_1) | instskip(NEXT) | instid1(VALU_DEP_2)
	v_cmp_lt_f32_e32 vcc_lo, v1, v54
	v_dual_cndmask_b32 v1, v1, v54 :: v_dual_cndmask_b32 v0, v0, v19
	s_delay_alu instid0(VALU_DEP_1) | instskip(NEXT) | instid1(VALU_DEP_2)
	v_cmp_lt_f32_e32 vcc_lo, v1, v55
	;; [unrolled: 3-line block ×5, first 2 shown]
	v_dual_cndmask_b32 v1, v1, v58 :: v_dual_cndmask_b32 v2, v0, v23
	v_and_b32_e32 v0, 0xffff, v28
	s_delay_alu instid0(VALU_DEP_2) | instskip(NEXT) | instid1(VALU_DEP_2)
	v_cmp_lt_f32_e32 vcc_lo, v1, v59
	v_cvt_f32_u32_e32 v0, v0
	s_delay_alu instid0(VALU_DEP_4) | instskip(SKIP_2) | instid1(VALU_DEP_3)
	v_dual_cndmask_b32 v3, v1, v59 :: v_dual_cndmask_b32 v2, v2, v24
	v_lshrrev_b32_e32 v1, 16, v28
	v_or_b32_e32 v28, 19, v9
	v_cmp_lt_f32_e32 vcc_lo, v3, v0
	s_delay_alu instid0(VALU_DEP_3) | instskip(SKIP_2) | instid1(VALU_DEP_2)
	v_cvt_f32_u32_e32 v1, v1
	v_dual_cndmask_b32 v3, v3, v0 :: v_dual_cndmask_b32 v4, v2, v25
	v_and_b32_e32 v2, 0xffff, v29
	v_cmp_lt_f32_e32 vcc_lo, v3, v1
	s_delay_alu instid0(VALU_DEP_2) | instskip(NEXT) | instid1(VALU_DEP_4)
	v_cvt_f32_u32_e32 v2, v2
	v_dual_cndmask_b32 v5, v3, v1 :: v_dual_cndmask_b32 v4, v4, v26
	v_lshrrev_b32_e32 v3, 16, v29
	v_or_b32_e32 v29, 20, v9
	s_delay_alu instid0(VALU_DEP_3) | instskip(NEXT) | instid1(VALU_DEP_3)
	v_cmp_lt_f32_e32 vcc_lo, v5, v2
	v_cvt_f32_u32_e32 v3, v3
	s_clause 0x1
	scratch_store_b128 off, v[60:63], off offset:80
	scratch_store_b128 off, v[0:3], off offset:64
	v_dual_cndmask_b32 v5, v5, v2 :: v_dual_cndmask_b32 v4, v4, v27
	s_clause 0x3
	scratch_store_b128 off, v[56:59], off offset:48
	scratch_store_b128 off, v[52:55], off offset:32
	scratch_store_b128 off, v[48:51], off offset:16
	scratch_store_b128 off, v[44:47], off
	v_cmp_lt_f32_e32 vcc_lo, v5, v3
	v_dual_cndmask_b32 v5, v5, v3 :: v_dual_cndmask_b32 v4, v4, v28
	s_delay_alu instid0(VALU_DEP_1) | instskip(NEXT) | instid1(VALU_DEP_2)
	v_cmp_lt_f32_e32 vcc_lo, v5, v60
	v_dual_cndmask_b32 v5, v5, v60 :: v_dual_cndmask_b32 v4, v4, v29
	s_delay_alu instid0(VALU_DEP_1) | instskip(NEXT) | instid1(VALU_DEP_2)
	v_cmp_lt_f32_e32 vcc_lo, v5, v61
	v_dual_cndmask_b32 v5, v5, v61 :: v_dual_cndmask_b32 v4, v4, v30
	s_delay_alu instid0(VALU_DEP_1) | instskip(NEXT) | instid1(VALU_DEP_2)
	v_cmp_lt_f32_e32 vcc_lo, v5, v62
	v_dual_cndmask_b32 v5, v5, v62 :: v_dual_cndmask_b32 v4, v4, v31
	s_delay_alu instid0(VALU_DEP_1) | instskip(NEXT) | instid1(VALU_DEP_2)
	v_cmp_lt_f32_e32 vcc_lo, v5, v63
	v_dual_cndmask_b32 v5, v5, v63 :: v_dual_cndmask_b32 v4, v4, v32
	s_delay_alu instid0(VALU_DEP_1) | instskip(NEXT) | instid1(VALU_DEP_2)
	v_cmp_lt_f32_e32 vcc_lo, v5, v64
	v_dual_cndmask_b32 v5, v5, v64 :: v_dual_cndmask_b32 v4, v4, v33
	s_delay_alu instid0(VALU_DEP_1) | instskip(NEXT) | instid1(VALU_DEP_2)
	v_cmp_lt_f32_e32 vcc_lo, v5, v65
	v_dual_cndmask_b32 v5, v5, v65 :: v_dual_cndmask_b32 v4, v4, v34
	s_delay_alu instid0(VALU_DEP_1) | instskip(NEXT) | instid1(VALU_DEP_2)
	v_cmp_lt_f32_e32 vcc_lo, v5, v66
	v_dual_cndmask_b32 v5, v5, v66 :: v_dual_cndmask_b32 v4, v4, v35
	s_delay_alu instid0(VALU_DEP_1) | instskip(NEXT) | instid1(VALU_DEP_2)
	v_cmp_lt_f32_e32 vcc_lo, v5, v67
	v_dual_cndmask_b32 v5, v5, v67 :: v_dual_cndmask_b32 v4, v4, v36
	s_delay_alu instid0(VALU_DEP_1) | instskip(NEXT) | instid1(VALU_DEP_2)
	v_cmp_lt_f32_e32 vcc_lo, v5, v68
	v_dual_cndmask_b32 v5, v5, v68 :: v_dual_cndmask_b32 v4, v4, v37
	s_delay_alu instid0(VALU_DEP_1) | instskip(NEXT) | instid1(VALU_DEP_2)
	v_cmp_lt_f32_e32 vcc_lo, v5, v69
	v_dual_cndmask_b32 v5, v5, v69 :: v_dual_cndmask_b32 v4, v4, v40
	s_delay_alu instid0(VALU_DEP_1) | instskip(NEXT) | instid1(VALU_DEP_2)
	v_cmp_lt_f32_e32 vcc_lo, v5, v70
	v_dual_cndmask_b32 v5, v5, v70 :: v_dual_cndmask_b32 v4, v4, v41
	s_delay_alu instid0(VALU_DEP_1) | instskip(NEXT) | instid1(VALU_DEP_2)
	v_cmp_lt_f32_e32 vcc_lo, v5, v71
	v_dual_cndmask_b32 v4, v4, v42 :: v_dual_cndmask_b32 v5, v5, v71
	s_delay_alu instid0(VALU_DEP_1) | instskip(NEXT) | instid1(VALU_DEP_2)
	v_mov_b32_dpp v6, v4 quad_perm:[1,0,3,2] row_mask:0xf bank_mask:0xf
	v_mov_b32_dpp v43, v5 quad_perm:[1,0,3,2] row_mask:0xf bank_mask:0xf
	s_delay_alu instid0(VALU_DEP_2) | instskip(NEXT) | instid1(VALU_DEP_2)
	v_cmp_lt_i32_e32 vcc_lo, v6, v4
	v_cmp_eq_f32_e64 s2, v5, v43
	v_cmp_lt_f32_e64 s3, v5, v43
	s_delay_alu instid0(VALU_DEP_2)
	s_and_b32 s2, s2, vcc_lo
	s_delay_alu instid0(VALU_DEP_1) | instid1(SALU_CYCLE_1)
	s_or_b32 vcc_lo, s3, s2
	v_dual_cndmask_b32 v5, v5, v43 :: v_dual_cndmask_b32 v4, v4, v6
	s_delay_alu instid0(VALU_DEP_1) | instskip(NEXT) | instid1(VALU_DEP_2)
	v_mov_b32_dpp v6, v5 quad_perm:[2,3,0,1] row_mask:0xf bank_mask:0xf
	v_mov_b32_dpp v43, v4 quad_perm:[2,3,0,1] row_mask:0xf bank_mask:0xf
	s_delay_alu instid0(VALU_DEP_2) | instskip(NEXT) | instid1(VALU_DEP_2)
	v_cmp_eq_f32_e32 vcc_lo, v5, v6
	v_cmp_lt_i32_e64 s2, v43, v4
	v_cmp_lt_f32_e64 s3, v5, v6
	s_delay_alu instid0(VALU_DEP_2)
	s_and_b32 s2, vcc_lo, s2
	s_delay_alu instid0(VALU_DEP_1) | instid1(SALU_CYCLE_1)
	s_or_b32 vcc_lo, s3, s2
	v_dual_cndmask_b32 v5, v5, v6 :: v_dual_cndmask_b32 v4, v4, v43
	v_mov_b32_e32 v6, 0
	s_delay_alu instid0(VALU_DEP_2) | instskip(NEXT) | instid1(VALU_DEP_3)
	v_mov_b32_dpp v43, v5 row_half_mirror row_mask:0xf bank_mask:0xf
	v_mov_b32_dpp v72, v4 row_half_mirror row_mask:0xf bank_mask:0xf
	s_delay_alu instid0(VALU_DEP_2) | instskip(NEXT) | instid1(VALU_DEP_2)
	v_cmp_eq_f32_e32 vcc_lo, v5, v43
	v_cmp_lt_i32_e64 s2, v72, v4
	v_cmp_lt_f32_e64 s3, v5, v43
	s_delay_alu instid0(VALU_DEP_2)
	s_and_b32 s2, vcc_lo, s2
	s_delay_alu instid0(VALU_DEP_1) | instid1(SALU_CYCLE_1)
	s_or_b32 vcc_lo, s3, s2
	s_waitcnt lgkmcnt(0)
	s_cmp_gt_i32 s4, 0
	v_cndmask_b32_e32 v2, v5, v43, vcc_lo
	v_cndmask_b32_e32 v0, v4, v72, vcc_lo
	v_cmp_eq_u32_e32 vcc_lo, 0, v8
	s_cselect_b32 s3, -1, 0
	s_cmp_lt_i32 s4, 1
	v_mov_b32_dpp v4, v2 row_mirror row_mask:0xf bank_mask:0xf
	v_mov_b32_dpp v43, v0 row_mirror row_mask:0xf bank_mask:0xf
	s_cbranch_scc1 .LBB298_16
; %bb.5:
	s_load_b128 s[8:11], s[0:1], 0x20
	s_delay_alu instid0(VALU_DEP_2) | instskip(NEXT) | instid1(VALU_DEP_2)
	v_cmp_eq_f32_e64 s0, v2, v4
	v_cmp_lt_i32_e64 s1, v43, v0
	v_cmp_lt_f32_e64 s2, v2, v4
	v_mul_lo_u32 v1, v7, s7
	v_mul_lo_u32 v3, v7, s14
	;; [unrolled: 1-line block ×3, first 2 shown]
	s_and_b32 s0, s0, s1
	v_mov_b32_e32 v6, 0
	s_or_b32 s0, s2, s0
	s_delay_alu instid0(SALU_CYCLE_1)
	v_cndmask_b32_e64 v0, v0, v43, s0
	v_cndmask_b32_e64 v43, v2, v4, s0
	s_and_saveexec_b32 s2, vcc_lo
	s_cbranch_execz .LBB298_7
; %bb.6:
	s_delay_alu instid0(VALU_DEP_1)
	v_sub_f32_e32 v50, v43, v43
	v_cmp_le_i32_e64 s0, s5, v0
	v_cmp_gt_i32_e64 s1, s6, v0
	v_subrev_nc_u32_e32 v51, s5, v0
	v_ashrrev_i32_e32 v6, 31, v5
	v_mul_f32_e32 v2, 0x3fb8aa3b, v50
	s_delay_alu instid0(VALU_DEP_4) | instskip(NEXT) | instid1(SALU_CYCLE_1)
	s_and_b32 s0, s0, s1
	s_and_b32 s0, s17, s0
	s_delay_alu instid0(VALU_DEP_1) | instskip(SKIP_2) | instid1(VALU_DEP_3)
	v_rndne_f32_e32 v46, v2
	v_fma_f32 v4, 0x3fb8aa3b, v50, -v2
	v_lshlrev_b64 v[48:49], 2, v[5:6]
	v_sub_f32_e32 v2, v2, v46
	s_delay_alu instid0(VALU_DEP_3) | instskip(NEXT) | instid1(VALU_DEP_1)
	v_fmamk_f32 v4, v50, 0x32a5705f, v4
	v_add_f32_e32 v4, v2, v4
	v_ashrrev_i32_e32 v2, 31, v1
	s_delay_alu instid0(VALU_DEP_2) | instskip(NEXT) | instid1(VALU_DEP_1)
	v_exp_f32_e32 v52, v4
	v_lshlrev_b64 v[44:45], 2, v[1:2]
	v_ashrrev_i32_e32 v4, 31, v3
	v_cvt_i32_f32_e32 v2, v46
	s_delay_alu instid0(VALU_DEP_2) | instskip(SKIP_2) | instid1(VALU_DEP_1)
	v_lshlrev_b64 v[46:47], 2, v[3:4]
	v_cndmask_b32_e64 v4, 0x200, v51, s0
	v_add_co_u32 v44, s0, s12, v44
	v_add_co_ci_u32_e64 v45, s0, s13, v45, s0
	s_delay_alu instid0(TRANS32_DEP_1) | instskip(SKIP_1) | instid1(VALU_DEP_1)
	v_ldexp_f32 v2, v52, v2
	v_cmp_ngt_f32_e64 s0, 0xc2ce8ed0, v50
	v_cndmask_b32_e64 v2, 0, v2, s0
	s_waitcnt lgkmcnt(0)
	v_add_co_u32 v46, s0, s8, v46
	s_delay_alu instid0(VALU_DEP_1) | instskip(SKIP_1) | instid1(VALU_DEP_1)
	v_add_co_ci_u32_e64 v47, s0, s9, v47, s0
	v_cmp_nlt_f32_e64 s0, 0x42b17218, v50
	v_cndmask_b32_e64 v6, 0x7f800000, v2, s0
	v_add_co_u32 v48, s0, s10, v48
	s_delay_alu instid0(VALU_DEP_1)
	v_add_co_ci_u32_e64 v49, s0, s11, v49, s0
	global_store_b32 v[46:47], v4, off
	global_store_b32 v[44:45], v6, off
	;; [unrolled: 1-line block ×3, first 2 shown]
.LBB298_7:
	s_or_b32 exec_lo, exec_lo, s2
	v_ashrrev_i32_e32 v4, 31, v0
	s_mov_b32 s1, exec_lo
	s_delay_alu instid0(VALU_DEP_1) | instskip(NEXT) | instid1(VALU_DEP_1)
	v_lshrrev_b32_e32 v2, 27, v4
	v_add_nc_u32_e32 v2, v0, v2
	s_delay_alu instid0(VALU_DEP_1) | instskip(NEXT) | instid1(VALU_DEP_1)
	v_ashrrev_i32_e32 v2, 5, v2
	v_lshrrev_b32_e32 v44, 28, v2
	s_delay_alu instid0(VALU_DEP_1) | instskip(NEXT) | instid1(VALU_DEP_1)
	v_add_nc_u32_e32 v44, v2, v44
	v_and_b32_e32 v44, -16, v44
	s_delay_alu instid0(VALU_DEP_1) | instskip(NEXT) | instid1(VALU_DEP_1)
	v_sub_nc_u32_e32 v44, v2, v44
	v_cmpx_eq_u32_e64 v8, v44
	s_cbranch_execz .LBB298_9
; %bb.8:
	v_lshrrev_b32_e32 v4, 23, v4
	v_lshlrev_b32_e32 v2, 5, v2
	s_delay_alu instid0(VALU_DEP_2) | instskip(NEXT) | instid1(VALU_DEP_2)
	v_add_nc_u32_e32 v4, v0, v4
	v_sub_nc_u32_e32 v0, v0, v2
	s_delay_alu instid0(VALU_DEP_2) | instskip(NEXT) | instid1(VALU_DEP_1)
	v_ashrrev_i32_e32 v2, 9, v4
	v_lshl_add_u32 v0, v2, 5, v0
	v_mov_b32_e32 v2, 0xff800000
	s_delay_alu instid0(VALU_DEP_2)
	v_lshl_add_u32 v0, v0, 2, 0
	scratch_store_b32 v0, v2, off
.LBB298_9:
	s_or_b32 exec_lo, exec_lo, s1
	s_cmp_eq_u32 s4, 1
	s_cbranch_scc1 .LBB298_16
; %bb.10:
	s_add_i32 s18, s18, s16
	v_add_nc_u32_e32 v0, 1, v5
	v_add3_u32 v38, s18, v39, v38
	v_dual_mov_b32 v39, 0xff800000 :: v_dual_add_nc_u32 v2, 1, v3
	v_add_nc_u32_e32 v4, 1, v1
	s_add_i32 s14, s4, -1
	s_branch .LBB298_12
.LBB298_11:                             ;   in Loop: Header=BB298_12 Depth=1
	s_or_b32 exec_lo, exec_lo, s1
	v_add_nc_u32_e32 v38, s16, v38
	v_add_nc_u32_e32 v0, 1, v0
	;; [unrolled: 1-line block ×4, first 2 shown]
	s_add_i32 s14, s14, -1
	s_delay_alu instid0(SALU_CYCLE_1)
	s_cmp_eq_u32 s14, 0
	s_cbranch_scc1 .LBB298_16
.LBB298_12:                             ; =>This Inner Loop Header: Depth=1
	s_clause 0x7
	scratch_load_b128 v[44:47], off, off
	scratch_load_b128 v[48:51], off, off offset:16
	scratch_load_b128 v[52:55], off, off offset:32
	;; [unrolled: 1-line block ×7, first 2 shown]
	s_waitcnt vmcnt(7)
	v_cmp_gt_f32_e64 s0, v45, v44
	s_delay_alu instid0(VALU_DEP_1) | instskip(SKIP_1) | instid1(VALU_DEP_2)
	v_cndmask_b32_e64 v3, v44, v45, s0
	v_cndmask_b32_e64 v1, v9, v10, s0
	v_cmp_gt_f32_e64 s0, v46, v3
	s_delay_alu instid0(VALU_DEP_1) | instskip(NEXT) | instid1(VALU_DEP_3)
	v_cndmask_b32_e64 v3, v3, v46, s0
	v_cndmask_b32_e64 v1, v1, v11, s0
	s_delay_alu instid0(VALU_DEP_2) | instskip(NEXT) | instid1(VALU_DEP_1)
	v_cmp_gt_f32_e64 s0, v47, v3
	v_cndmask_b32_e64 v3, v3, v47, s0
	s_delay_alu instid0(VALU_DEP_3) | instskip(SKIP_1) | instid1(VALU_DEP_2)
	v_cndmask_b32_e64 v1, v1, v12, s0
	s_waitcnt vmcnt(6)
	v_cmp_gt_f32_e64 s0, v48, v3
	s_delay_alu instid0(VALU_DEP_1) | instskip(NEXT) | instid1(VALU_DEP_3)
	v_cndmask_b32_e64 v3, v3, v48, s0
	v_cndmask_b32_e64 v1, v1, v13, s0
	s_delay_alu instid0(VALU_DEP_2) | instskip(NEXT) | instid1(VALU_DEP_1)
	v_cmp_gt_f32_e64 s0, v49, v3
	v_cndmask_b32_e64 v3, v3, v49, s0
	s_delay_alu instid0(VALU_DEP_3) | instskip(NEXT) | instid1(VALU_DEP_2)
	v_cndmask_b32_e64 v1, v1, v14, s0
	v_cmp_gt_f32_e64 s0, v50, v3
	s_delay_alu instid0(VALU_DEP_1) | instskip(NEXT) | instid1(VALU_DEP_3)
	v_cndmask_b32_e64 v3, v3, v50, s0
	v_cndmask_b32_e64 v1, v1, v15, s0
	s_delay_alu instid0(VALU_DEP_2) | instskip(NEXT) | instid1(VALU_DEP_1)
	v_cmp_gt_f32_e64 s0, v51, v3
	v_cndmask_b32_e64 v3, v3, v51, s0
	s_delay_alu instid0(VALU_DEP_3) | instskip(SKIP_1) | instid1(VALU_DEP_2)
	v_cndmask_b32_e64 v1, v1, v16, s0
	s_waitcnt vmcnt(5)
	v_cmp_gt_f32_e64 s0, v52, v3
	s_delay_alu instid0(VALU_DEP_1) | instskip(NEXT) | instid1(VALU_DEP_3)
	v_cndmask_b32_e64 v3, v3, v52, s0
	v_cndmask_b32_e64 v1, v1, v17, s0
	s_delay_alu instid0(VALU_DEP_2) | instskip(NEXT) | instid1(VALU_DEP_1)
	v_cmp_gt_f32_e64 s0, v53, v3
	v_cndmask_b32_e64 v3, v3, v53, s0
	s_delay_alu instid0(VALU_DEP_3) | instskip(NEXT) | instid1(VALU_DEP_2)
	;; [unrolled: 19-line block ×7, first 2 shown]
	v_cndmask_b32_e64 v1, v1, v40, s0
	v_cmp_gt_f32_e64 s0, v74, v3
	s_delay_alu instid0(VALU_DEP_1) | instskip(NEXT) | instid1(VALU_DEP_3)
	v_cndmask_b32_e64 v3, v3, v74, s0
	v_cndmask_b32_e64 v1, v1, v41, s0
	s_delay_alu instid0(VALU_DEP_2) | instskip(NEXT) | instid1(VALU_DEP_1)
	v_cmp_gt_f32_e64 s0, v75, v3
	v_cndmask_b32_e64 v1, v1, v42, s0
	v_cndmask_b32_e64 v3, v3, v75, s0
	s_delay_alu instid0(VALU_DEP_2) | instskip(NEXT) | instid1(VALU_DEP_2)
	v_mov_b32_dpp v5, v1 quad_perm:[1,0,3,2] row_mask:0xf bank_mask:0xf
	v_mov_b32_dpp v44, v3 quad_perm:[1,0,3,2] row_mask:0xf bank_mask:0xf
	s_delay_alu instid0(VALU_DEP_2) | instskip(NEXT) | instid1(VALU_DEP_2)
	v_cmp_lt_i32_e64 s0, v5, v1
	v_cmp_eq_f32_e64 s1, v3, v44
	v_cmp_lt_f32_e64 s2, v3, v44
	s_delay_alu instid0(VALU_DEP_2)
	s_and_b32 s0, s1, s0
	s_delay_alu instid0(VALU_DEP_1) | instid1(SALU_CYCLE_1)
	s_or_b32 s0, s2, s0
	s_delay_alu instid0(SALU_CYCLE_1) | instskip(SKIP_1) | instid1(VALU_DEP_2)
	v_cndmask_b32_e64 v3, v3, v44, s0
	v_cndmask_b32_e64 v1, v1, v5, s0
	v_mov_b32_dpp v5, v3 quad_perm:[2,3,0,1] row_mask:0xf bank_mask:0xf
	s_delay_alu instid0(VALU_DEP_2) | instskip(NEXT) | instid1(VALU_DEP_2)
	v_mov_b32_dpp v44, v1 quad_perm:[2,3,0,1] row_mask:0xf bank_mask:0xf
	v_cmp_eq_f32_e64 s0, v3, v5
	s_delay_alu instid0(VALU_DEP_2) | instskip(SKIP_1) | instid1(VALU_DEP_2)
	v_cmp_lt_i32_e64 s1, v44, v1
	v_cmp_lt_f32_e64 s2, v3, v5
	s_and_b32 s0, s0, s1
	s_delay_alu instid0(VALU_DEP_1) | instid1(SALU_CYCLE_1)
	s_or_b32 s0, s2, s0
	s_delay_alu instid0(SALU_CYCLE_1) | instskip(SKIP_1) | instid1(VALU_DEP_2)
	v_cndmask_b32_e64 v3, v3, v5, s0
	v_cndmask_b32_e64 v5, v1, v44, s0
	v_mov_b32_dpp v1, v3 row_half_mirror row_mask:0xf bank_mask:0xf
	s_delay_alu instid0(VALU_DEP_2) | instskip(NEXT) | instid1(VALU_DEP_2)
	v_mov_b32_dpp v44, v5 row_half_mirror row_mask:0xf bank_mask:0xf
	v_cmp_eq_f32_e64 s0, v3, v1
	s_delay_alu instid0(VALU_DEP_2) | instskip(SKIP_1) | instid1(VALU_DEP_2)
	v_cmp_lt_i32_e64 s1, v44, v5
	v_cmp_lt_f32_e64 s2, v3, v1
	s_and_b32 s0, s0, s1
	s_delay_alu instid0(VALU_DEP_1) | instid1(SALU_CYCLE_1)
	s_or_b32 s0, s2, s0
	s_delay_alu instid0(SALU_CYCLE_1) | instskip(SKIP_1) | instid1(VALU_DEP_2)
	v_cndmask_b32_e64 v1, v3, v1, s0
	v_cndmask_b32_e64 v5, v5, v44, s0
	v_mov_b32_dpp v3, v1 row_mirror row_mask:0xf bank_mask:0xf
	s_delay_alu instid0(VALU_DEP_2) | instskip(NEXT) | instid1(VALU_DEP_2)
	v_mov_b32_dpp v44, v5 row_mirror row_mask:0xf bank_mask:0xf
	v_cmp_eq_f32_e64 s0, v1, v3
	s_delay_alu instid0(VALU_DEP_2) | instskip(SKIP_1) | instid1(VALU_DEP_2)
	v_cmp_lt_i32_e64 s1, v44, v5
	v_cmp_lt_f32_e64 s2, v1, v3
	s_and_b32 s0, s0, s1
	s_delay_alu instid0(VALU_DEP_1) | instid1(SALU_CYCLE_1)
	s_or_b32 s0, s2, s0
	s_delay_alu instid0(SALU_CYCLE_1)
	v_cndmask_b32_e64 v44, v5, v44, s0
	s_and_saveexec_b32 s2, vcc_lo
	s_cbranch_execz .LBB298_14
; %bb.13:                               ;   in Loop: Header=BB298_12 Depth=1
	v_cndmask_b32_e64 v1, v1, v3, s0
	s_delay_alu instid0(VALU_DEP_2) | instskip(SKIP_4) | instid1(VALU_DEP_4)
	v_cmp_le_i32_e64 s0, s5, v44
	v_cmp_gt_i32_e64 s1, s6, v44
	v_ashrrev_i32_e32 v5, 31, v4
	v_subrev_nc_u32_e32 v52, s5, v44
	v_sub_f32_e32 v51, v1, v43
	s_and_b32 s0, s0, s1
	s_delay_alu instid0(SALU_CYCLE_1) | instskip(NEXT) | instid1(VALU_DEP_1)
	s_and_b32 s0, s17, s0
	v_mul_f32_e32 v1, 0x3fb8aa3b, v51
	s_delay_alu instid0(VALU_DEP_1) | instskip(SKIP_1) | instid1(VALU_DEP_2)
	v_fma_f32 v3, 0x3fb8aa3b, v51, -v1
	v_rndne_f32_e32 v45, v1
	v_fmac_f32_e32 v3, 0x32a5705f, v51
	s_delay_alu instid0(VALU_DEP_2) | instskip(SKIP_2) | instid1(VALU_DEP_3)
	v_sub_f32_e32 v1, v1, v45
	v_cvt_i32_f32_e32 v50, v45
	v_lshlrev_b64 v[45:46], 2, v[4:5]
	v_add_f32_e32 v1, v1, v3
	v_ashrrev_i32_e32 v3, 31, v2
	s_delay_alu instid0(VALU_DEP_2) | instskip(SKIP_1) | instid1(VALU_DEP_2)
	v_exp_f32_e32 v49, v1
	v_ashrrev_i32_e32 v1, 31, v0
	v_lshlrev_b64 v[47:48], 2, v[2:3]
	s_waitcnt_depctr 0xfff
	v_ldexp_f32 v3, v49, v50
	v_lshlrev_b64 v[49:50], 2, v[0:1]
	v_cndmask_b32_e64 v1, 0x200, v52, s0
	v_cmp_ngt_f32_e64 s0, 0xc2ce8ed0, v51
	s_delay_alu instid0(VALU_DEP_1) | instskip(SKIP_1) | instid1(VALU_DEP_1)
	v_cndmask_b32_e64 v3, 0, v3, s0
	v_add_co_u32 v45, s0, s12, v45
	v_add_co_ci_u32_e64 v46, s0, s13, v46, s0
	v_cmp_nlt_f32_e64 s0, 0x42b17218, v51
	s_delay_alu instid0(VALU_DEP_1) | instskip(SKIP_2) | instid1(VALU_DEP_1)
	v_cndmask_b32_e64 v3, 0x7f800000, v3, s0
	s_waitcnt lgkmcnt(0)
	v_add_co_u32 v47, s0, s8, v47
	v_add_co_ci_u32_e64 v48, s0, s9, v48, s0
	s_delay_alu instid0(VALU_DEP_3) | instskip(SKIP_1) | instid1(VALU_DEP_1)
	v_add_f32_e32 v6, v6, v3
	v_add_co_u32 v49, s0, s10, v49
	v_add_co_ci_u32_e64 v50, s0, s11, v50, s0
	global_store_b32 v[45:46], v3, off
	global_store_b32 v[47:48], v1, off
	;; [unrolled: 1-line block ×3, first 2 shown]
.LBB298_14:                             ;   in Loop: Header=BB298_12 Depth=1
	s_or_b32 exec_lo, exec_lo, s2
	s_delay_alu instid0(VALU_DEP_1) | instskip(SKIP_1) | instid1(VALU_DEP_1)
	v_ashrrev_i32_e32 v3, 31, v44
	s_mov_b32 s1, exec_lo
	v_lshrrev_b32_e32 v1, 27, v3
	s_delay_alu instid0(VALU_DEP_1) | instskip(NEXT) | instid1(VALU_DEP_1)
	v_add_nc_u32_e32 v1, v44, v1
	v_ashrrev_i32_e32 v1, 5, v1
	s_delay_alu instid0(VALU_DEP_1) | instskip(NEXT) | instid1(VALU_DEP_1)
	v_lshrrev_b32_e32 v5, 28, v1
	v_add_nc_u32_e32 v5, v1, v5
	s_delay_alu instid0(VALU_DEP_1) | instskip(NEXT) | instid1(VALU_DEP_1)
	v_and_b32_e32 v5, -16, v5
	v_sub_nc_u32_e32 v5, v1, v5
	s_delay_alu instid0(VALU_DEP_1)
	v_cmpx_eq_u32_e64 v8, v5
	s_cbranch_execz .LBB298_11
; %bb.15:                               ;   in Loop: Header=BB298_12 Depth=1
	v_lshrrev_b32_e32 v3, 23, v3
	v_lshlrev_b32_e32 v1, 5, v1
	s_delay_alu instid0(VALU_DEP_2) | instskip(NEXT) | instid1(VALU_DEP_2)
	v_add_nc_u32_e32 v3, v44, v3
	v_sub_nc_u32_e32 v1, v44, v1
	s_delay_alu instid0(VALU_DEP_2) | instskip(NEXT) | instid1(VALU_DEP_1)
	v_ashrrev_i32_e32 v3, 9, v3
	v_lshl_add_u32 v1, v3, 5, v1
	s_delay_alu instid0(VALU_DEP_1)
	v_lshl_add_u32 v1, v1, 2, 0
	scratch_store_b32 v1, v39, off
	s_branch .LBB298_11
.LBB298_16:
	v_cmp_eq_u32_e32 vcc_lo, 0, v8
	v_cmp_neq_f32_e64 s0, 0, v6
	s_delay_alu instid0(VALU_DEP_1) | instskip(NEXT) | instid1(SALU_CYCLE_1)
	s_and_b32 s0, vcc_lo, s0
	s_and_b32 exec_lo, exec_lo, s0
	s_cbranch_execz .LBB298_20
; %bb.17:
	s_and_not1_b32 vcc_lo, exec_lo, s3
	s_cbranch_vccnz .LBB298_20
; %bb.18:
	v_div_scale_f32 v1, null, v6, v6, 1.0
	v_div_scale_f32 v3, vcc_lo, 1.0, v6, 1.0
	s_delay_alu instid0(VALU_DEP_2) | instskip(SKIP_2) | instid1(VALU_DEP_1)
	v_rcp_f32_e32 v2, v1
	s_waitcnt_depctr 0xfff
	v_fma_f32 v0, -v1, v2, 1.0
	v_fmac_f32_e32 v2, v0, v2
	v_mul_lo_u32 v0, v7, s7
	s_delay_alu instid0(VALU_DEP_2) | instskip(NEXT) | instid1(VALU_DEP_1)
	v_mul_f32_e32 v4, v3, v2
	v_fma_f32 v5, -v1, v4, v3
	s_delay_alu instid0(VALU_DEP_1) | instskip(NEXT) | instid1(VALU_DEP_1)
	v_fmac_f32_e32 v4, v5, v2
	v_fma_f32 v3, -v1, v4, v3
	v_ashrrev_i32_e32 v1, 31, v0
	s_delay_alu instid0(VALU_DEP_2) | instskip(NEXT) | instid1(VALU_DEP_2)
	v_div_fmas_f32 v2, v3, v2, v4
	v_lshlrev_b64 v[0:1], 2, v[0:1]
	s_delay_alu instid0(VALU_DEP_2) | instskip(NEXT) | instid1(VALU_DEP_2)
	v_div_fixup_f32 v2, v2, v6, 1.0
	v_add_co_u32 v0, vcc_lo, s12, v0
	s_delay_alu instid0(VALU_DEP_3)
	v_add_co_ci_u32_e32 v1, vcc_lo, s13, v1, vcc_lo
.LBB298_19:                             ; =>This Inner Loop Header: Depth=1
	global_load_b32 v3, v[0:1], off
	s_add_i32 s4, s4, -1
	s_delay_alu instid0(SALU_CYCLE_1)
	s_cmp_lg_u32 s4, 0
	s_waitcnt vmcnt(0)
	v_mul_f32_e32 v3, v2, v3
	global_store_b32 v[0:1], v3, off
	v_add_co_u32 v0, vcc_lo, v0, 4
	v_add_co_ci_u32_e32 v1, vcc_lo, 0, v1, vcc_lo
	s_cbranch_scc1 .LBB298_19
.LBB298_20:
	s_endpgm
	.section	.rodata,"a",@progbits
	.p2align	6, 0x0
	.amdhsa_kernel _ZN4vllm3moe17topkGatingSoftmaxItLi32ELi512ELi2ELi64ELb1ELi0ELNS0_23SharedExpertScoringFuncE0EEEvPKT_PKbPfiPiS9_iiiiii
		.amdhsa_group_segment_fixed_size 0
		.amdhsa_private_segment_fixed_size 144
		.amdhsa_kernarg_size 72
		.amdhsa_user_sgpr_count 15
		.amdhsa_user_sgpr_dispatch_ptr 0
		.amdhsa_user_sgpr_queue_ptr 0
		.amdhsa_user_sgpr_kernarg_segment_ptr 1
		.amdhsa_user_sgpr_dispatch_id 0
		.amdhsa_user_sgpr_private_segment_size 0
		.amdhsa_wavefront_size32 1
		.amdhsa_uses_dynamic_stack 0
		.amdhsa_enable_private_segment 1
		.amdhsa_system_sgpr_workgroup_id_x 1
		.amdhsa_system_sgpr_workgroup_id_y 0
		.amdhsa_system_sgpr_workgroup_id_z 0
		.amdhsa_system_sgpr_workgroup_info 0
		.amdhsa_system_vgpr_workitem_id 1
		.amdhsa_next_free_vgpr 76
		.amdhsa_next_free_sgpr 19
		.amdhsa_reserve_vcc 1
		.amdhsa_float_round_mode_32 0
		.amdhsa_float_round_mode_16_64 0
		.amdhsa_float_denorm_mode_32 3
		.amdhsa_float_denorm_mode_16_64 3
		.amdhsa_dx10_clamp 1
		.amdhsa_ieee_mode 1
		.amdhsa_fp16_overflow 0
		.amdhsa_workgroup_processor_mode 1
		.amdhsa_memory_ordered 1
		.amdhsa_forward_progress 0
		.amdhsa_shared_vgpr_count 0
		.amdhsa_exception_fp_ieee_invalid_op 0
		.amdhsa_exception_fp_denorm_src 0
		.amdhsa_exception_fp_ieee_div_zero 0
		.amdhsa_exception_fp_ieee_overflow 0
		.amdhsa_exception_fp_ieee_underflow 0
		.amdhsa_exception_fp_ieee_inexact 0
		.amdhsa_exception_int_div_zero 0
	.end_amdhsa_kernel
	.section	.text._ZN4vllm3moe17topkGatingSoftmaxItLi32ELi512ELi2ELi64ELb1ELi0ELNS0_23SharedExpertScoringFuncE0EEEvPKT_PKbPfiPiS9_iiiiii,"axG",@progbits,_ZN4vllm3moe17topkGatingSoftmaxItLi32ELi512ELi2ELi64ELb1ELi0ELNS0_23SharedExpertScoringFuncE0EEEvPKT_PKbPfiPiS9_iiiiii,comdat
.Lfunc_end298:
	.size	_ZN4vllm3moe17topkGatingSoftmaxItLi32ELi512ELi2ELi64ELb1ELi0ELNS0_23SharedExpertScoringFuncE0EEEvPKT_PKbPfiPiS9_iiiiii, .Lfunc_end298-_ZN4vllm3moe17topkGatingSoftmaxItLi32ELi512ELi2ELi64ELb1ELi0ELNS0_23SharedExpertScoringFuncE0EEEvPKT_PKbPfiPiS9_iiiiii
                                        ; -- End function
	.section	.AMDGPU.csdata,"",@progbits
; Kernel info:
; codeLenInByte = 4176
; NumSgprs: 21
; NumVgprs: 76
; ScratchSize: 144
; MemoryBound: 0
; FloatMode: 240
; IeeeMode: 1
; LDSByteSize: 0 bytes/workgroup (compile time only)
; SGPRBlocks: 2
; VGPRBlocks: 9
; NumSGPRsForWavesPerEU: 21
; NumVGPRsForWavesPerEU: 76
; Occupancy: 16
; WaveLimiterHint : 0
; COMPUTE_PGM_RSRC2:SCRATCH_EN: 1
; COMPUTE_PGM_RSRC2:USER_SGPR: 15
; COMPUTE_PGM_RSRC2:TRAP_HANDLER: 0
; COMPUTE_PGM_RSRC2:TGID_X_EN: 1
; COMPUTE_PGM_RSRC2:TGID_Y_EN: 0
; COMPUTE_PGM_RSRC2:TGID_Z_EN: 0
; COMPUTE_PGM_RSRC2:TIDIG_COMP_CNT: 1
	.section	.text._ZN4vllm3moe17topkGatingSoftmaxItLi32ELi512ELi2ELi64ELb0ELi0ELNS0_23SharedExpertScoringFuncE0EEEvPKT_PKbPfiPiS9_iiiiii,"axG",@progbits,_ZN4vllm3moe17topkGatingSoftmaxItLi32ELi512ELi2ELi64ELb0ELi0ELNS0_23SharedExpertScoringFuncE0EEEvPKT_PKbPfiPiS9_iiiiii,comdat
	.protected	_ZN4vllm3moe17topkGatingSoftmaxItLi32ELi512ELi2ELi64ELb0ELi0ELNS0_23SharedExpertScoringFuncE0EEEvPKT_PKbPfiPiS9_iiiiii ; -- Begin function _ZN4vllm3moe17topkGatingSoftmaxItLi32ELi512ELi2ELi64ELb0ELi0ELNS0_23SharedExpertScoringFuncE0EEEvPKT_PKbPfiPiS9_iiiiii
	.globl	_ZN4vllm3moe17topkGatingSoftmaxItLi32ELi512ELi2ELi64ELb0ELi0ELNS0_23SharedExpertScoringFuncE0EEEvPKT_PKbPfiPiS9_iiiiii
	.p2align	8
	.type	_ZN4vllm3moe17topkGatingSoftmaxItLi32ELi512ELi2ELi64ELb0ELi0ELNS0_23SharedExpertScoringFuncE0EEEvPKT_PKbPfiPiS9_iiiiii,@function
_ZN4vllm3moe17topkGatingSoftmaxItLi32ELi512ELi2ELi64ELb0ELi0ELNS0_23SharedExpertScoringFuncE0EEEvPKT_PKbPfiPiS9_iiiiii: ; @_ZN4vllm3moe17topkGatingSoftmaxItLi32ELi512ELi2ELi64ELb0ELi0ELNS0_23SharedExpertScoringFuncE0EEEvPKT_PKbPfiPiS9_iiiiii
; %bb.0:
	s_load_b32 s16, s[0:1], 0x18
	v_bfe_u32 v1, v0, 10, 10
	v_and_b32_e32 v0, 0x3ff, v0
	s_lshl_b32 s18, s15, 2
	s_mov_b32 s2, exec_lo
	s_delay_alu instid0(VALU_DEP_2) | instskip(NEXT) | instid1(VALU_DEP_2)
	v_lshlrev_b32_e32 v40, 1, v1
	v_lshrrev_b32_e32 v41, 4, v0
	s_delay_alu instid0(VALU_DEP_1) | instskip(SKIP_1) | instid1(VALU_DEP_1)
	v_add3_u32 v8, s18, v40, v41
	s_waitcnt lgkmcnt(0)
	v_cmpx_gt_i32_e64 s16, v8
	s_cbranch_execz .LBB299_22
; %bb.1:
	s_clause 0x1
	s_load_b128 s[4:7], s[0:1], 0x0
	s_load_b64 s[12:13], s[0:1], 0x10
	s_waitcnt lgkmcnt(0)
	s_cmp_eq_u64 s[6:7], 0
	s_cbranch_scc1 .LBB299_3
; %bb.2:
	v_ashrrev_i32_e32 v2, 31, v8
	v_add_co_u32 v1, vcc_lo, s6, v8
	s_delay_alu instid0(VALU_DEP_2) | instskip(SKIP_3) | instid1(VALU_DEP_1)
	v_add_co_ci_u32_e32 v2, vcc_lo, s7, v2, vcc_lo
	global_load_u8 v1, v[1:2], off
	s_waitcnt vmcnt(0)
	v_and_b32_e32 v1, 1, v1
	v_cmp_eq_u32_e32 vcc_lo, 1, v1
	s_xor_b32 s2, vcc_lo, -1
	s_delay_alu instid0(SALU_CYCLE_1)
	s_or_not1_b32 s17, s2, exec_lo
	s_branch .LBB299_4
.LBB299_3:
	s_mov_b32 s17, -1
.LBB299_4:
	s_clause 0x1
	s_load_b64 s[14:15], s[0:1], 0x40
	s_load_b128 s[8:11], s[0:1], 0x30
	v_and_b32_e32 v9, 15, v0
	s_waitcnt lgkmcnt(0)
	v_mul_lo_u32 v1, v8, s15
	s_delay_alu instid0(VALU_DEP_1) | instskip(NEXT) | instid1(VALU_DEP_1)
	v_ashrrev_i32_e32 v2, 31, v1
	v_lshlrev_b64 v[0:1], 1, v[1:2]
	v_lshlrev_b32_e32 v2, 6, v9
	s_delay_alu instid0(VALU_DEP_2) | instskip(NEXT) | instid1(VALU_DEP_3)
	v_add_co_u32 v0, vcc_lo, s4, v0
	v_add_co_ci_u32_e32 v1, vcc_lo, s5, v1, vcc_lo
	s_delay_alu instid0(VALU_DEP_2) | instskip(NEXT) | instid1(VALU_DEP_2)
	v_add_co_u32 v10, vcc_lo, v0, v2
	v_add_co_ci_u32_e32 v11, vcc_lo, 0, v1, vcc_lo
	s_clause 0x3
	global_load_b128 v[0:3], v[10:11], off
	global_load_b128 v[4:7], v[10:11], off offset:16
	global_load_b128 v[30:33], v[10:11], off offset:32
	;; [unrolled: 1-line block ×3, first 2 shown]
	s_waitcnt vmcnt(3)
	v_lshrrev_b32_e32 v10, 16, v0
	v_and_b32_e32 v0, 0xffff, v0
	s_delay_alu instid0(VALU_DEP_2) | instskip(NEXT) | instid1(VALU_DEP_2)
	v_cvt_f32_u32_e32 v48, v10
	v_cvt_f32_u32_e32 v47, v0
	v_and_b32_e32 v0, 0xffff, v1
	v_lshrrev_b32_e32 v1, 16, v1
	s_delay_alu instid0(VALU_DEP_3) | instskip(SKIP_1) | instid1(VALU_DEP_4)
	v_cmp_lt_f32_e32 vcc_lo, v47, v48
	v_lshlrev_b32_e32 v11, 5, v9
	v_cvt_f32_u32_e32 v49, v0
	s_delay_alu instid0(VALU_DEP_4) | instskip(SKIP_1) | instid1(VALU_DEP_4)
	v_cvt_f32_u32_e32 v50, v1
	v_cndmask_b32_e32 v10, v47, v48, vcc_lo
	v_or_b32_e32 v12, 1, v11
	v_or_b32_e32 v13, 2, v11
	v_or_b32_e32 v14, 3, v11
	v_or_b32_e32 v15, 4, v11
	v_or_b32_e32 v16, 5, v11
	v_cndmask_b32_e32 v0, v11, v12, vcc_lo
	v_cmp_lt_f32_e32 vcc_lo, v10, v49
	v_or_b32_e32 v17, 6, v11
	v_or_b32_e32 v18, 7, v11
	;; [unrolled: 1-line block ×4, first 2 shown]
	v_dual_cndmask_b32 v1, v10, v49 :: v_dual_and_b32 v10, 0xffff, v2
	v_lshrrev_b32_e32 v2, 16, v2
	v_cndmask_b32_e32 v0, v0, v13, vcc_lo
	v_or_b32_e32 v21, 10, v11
	s_delay_alu instid0(VALU_DEP_4)
	v_cmp_lt_f32_e32 vcc_lo, v1, v50
	v_cvt_f32_u32_e32 v51, v10
	v_cvt_f32_u32_e32 v52, v2
	v_and_b32_e32 v2, 0xffff, v3
	v_or_b32_e32 v22, 11, v11
	v_cndmask_b32_e32 v1, v1, v50, vcc_lo
	v_or_b32_e32 v23, 12, v11
	v_or_b32_e32 v24, 13, v11
	v_cvt_f32_u32_e32 v53, v2
	v_lshrrev_b32_e32 v2, 16, v3
	v_or_b32_e32 v25, 14, v11
	v_or_b32_e32 v26, 15, v11
	v_or_b32_e32 v27, 16, v11
	v_or_b32_e32 v28, 17, v11
	v_cvt_f32_u32_e32 v54, v2
	s_waitcnt vmcnt(2)
	v_and_b32_e32 v2, 0xffff, v4
	v_or_b32_e32 v29, 18, v11
	v_or_b32_e32 v34, 23, v11
	;; [unrolled: 1-line block ×4, first 2 shown]
	v_cvt_f32_u32_e32 v55, v2
	v_cndmask_b32_e32 v0, v0, v14, vcc_lo
	v_cmp_lt_f32_e32 vcc_lo, v1, v51
	v_lshrrev_b32_e32 v2, 16, v4
	v_or_b32_e32 v37, 26, v11
	v_cndmask_b32_e32 v1, v1, v51, vcc_lo
	v_cndmask_b32_e32 v0, v0, v15, vcc_lo
	s_delay_alu instid0(VALU_DEP_4) | instskip(SKIP_1) | instid1(VALU_DEP_4)
	v_cvt_f32_u32_e32 v56, v2
	v_and_b32_e32 v2, 0xffff, v5
	v_cmp_lt_f32_e32 vcc_lo, v1, v52
	s_delay_alu instid0(VALU_DEP_2) | instskip(SKIP_3) | instid1(VALU_DEP_3)
	v_cvt_f32_u32_e32 v57, v2
	v_lshrrev_b32_e32 v2, 16, v5
	v_cndmask_b32_e32 v1, v1, v52, vcc_lo
	v_cndmask_b32_e32 v0, v0, v16, vcc_lo
	v_cvt_f32_u32_e32 v58, v2
	s_delay_alu instid0(VALU_DEP_3) | instskip(SKIP_1) | instid1(VALU_DEP_4)
	v_cmp_lt_f32_e32 vcc_lo, v1, v53
	v_dual_cndmask_b32 v1, v1, v53 :: v_dual_and_b32 v2, 0xffff, v6
	v_cndmask_b32_e32 v0, v0, v17, vcc_lo
	s_delay_alu instid0(VALU_DEP_2) | instskip(SKIP_1) | instid1(VALU_DEP_4)
	v_cvt_f32_u32_e32 v59, v2
	v_lshrrev_b32_e32 v2, 16, v6
	v_cmp_lt_f32_e32 vcc_lo, v1, v54
	s_delay_alu instid0(VALU_DEP_2) | instskip(SKIP_2) | instid1(VALU_DEP_2)
	v_cvt_f32_u32_e32 v60, v2
	v_dual_cndmask_b32 v1, v1, v54 :: v_dual_and_b32 v2, 0xffff, v7
	v_cndmask_b32_e32 v0, v0, v18, vcc_lo
	v_cvt_f32_u32_e32 v61, v2
	s_delay_alu instid0(VALU_DEP_3) | instskip(SKIP_3) | instid1(VALU_DEP_3)
	v_cmp_lt_f32_e32 vcc_lo, v1, v55
	v_lshrrev_b32_e32 v2, 16, v7
	v_cndmask_b32_e32 v1, v1, v55, vcc_lo
	v_cndmask_b32_e32 v0, v0, v19, vcc_lo
	v_cvt_f32_u32_e32 v62, v2
	s_waitcnt vmcnt(1)
	v_and_b32_e32 v2, 0xffff, v30
	v_cmp_lt_f32_e32 vcc_lo, v1, v56
	s_delay_alu instid0(VALU_DEP_2) | instskip(SKIP_4) | instid1(VALU_DEP_4)
	v_cvt_f32_u32_e32 v63, v2
	v_lshrrev_b32_e32 v2, 16, v30
	v_cndmask_b32_e32 v1, v1, v56, vcc_lo
	v_cndmask_b32_e32 v0, v0, v20, vcc_lo
	v_or_b32_e32 v30, 19, v11
	v_cvt_f32_u32_e32 v64, v2
	s_delay_alu instid0(VALU_DEP_4) | instskip(SKIP_2) | instid1(VALU_DEP_2)
	v_cmp_lt_f32_e32 vcc_lo, v1, v57
	v_dual_cndmask_b32 v1, v1, v57 :: v_dual_and_b32 v2, 0xffff, v31
	v_cndmask_b32_e32 v0, v0, v21, vcc_lo
	v_cvt_f32_u32_e32 v65, v2
	v_lshrrev_b32_e32 v2, 16, v31
	v_or_b32_e32 v31, 20, v11
	v_cmp_lt_f32_e32 vcc_lo, v1, v58
	s_delay_alu instid0(VALU_DEP_3) | instskip(SKIP_2) | instid1(VALU_DEP_2)
	v_cvt_f32_u32_e32 v66, v2
	v_cndmask_b32_e32 v1, v1, v58, vcc_lo
	v_cndmask_b32_e32 v0, v0, v22, vcc_lo
	v_cmp_lt_f32_e32 vcc_lo, v1, v59
	v_cndmask_b32_e32 v1, v1, v59, vcc_lo
	s_delay_alu instid0(VALU_DEP_3) | instskip(NEXT) | instid1(VALU_DEP_2)
	v_cndmask_b32_e32 v0, v0, v23, vcc_lo
	v_cmp_lt_f32_e32 vcc_lo, v1, v60
	v_cndmask_b32_e32 v1, v1, v60, vcc_lo
	s_delay_alu instid0(VALU_DEP_3) | instskip(NEXT) | instid1(VALU_DEP_2)
	;; [unrolled: 4-line block ×6, first 2 shown]
	v_cndmask_b32_e32 v0, v0, v28, vcc_lo
	v_cmp_lt_f32_e32 vcc_lo, v1, v65
	v_cndmask_b32_e32 v1, v1, v65, vcc_lo
	s_delay_alu instid0(VALU_DEP_3) | instskip(SKIP_1) | instid1(VALU_DEP_3)
	v_cndmask_b32_e32 v2, v0, v29, vcc_lo
	v_and_b32_e32 v0, 0xffff, v32
	v_cmp_lt_f32_e32 vcc_lo, v1, v66
	s_delay_alu instid0(VALU_DEP_2) | instskip(SKIP_4) | instid1(VALU_DEP_4)
	v_cvt_f32_u32_e32 v0, v0
	v_cndmask_b32_e32 v3, v1, v66, vcc_lo
	v_cndmask_b32_e32 v2, v2, v30, vcc_lo
	v_lshrrev_b32_e32 v1, 16, v32
	v_or_b32_e32 v32, 21, v11
	v_cmp_lt_f32_e32 vcc_lo, v3, v0
	s_delay_alu instid0(VALU_DEP_3) | instskip(SKIP_2) | instid1(VALU_DEP_2)
	v_cvt_f32_u32_e32 v1, v1
	v_dual_cndmask_b32 v3, v3, v0 :: v_dual_cndmask_b32 v4, v2, v31
	v_and_b32_e32 v2, 0xffff, v33
	v_cmp_lt_f32_e32 vcc_lo, v3, v1
	s_delay_alu instid0(VALU_DEP_2) | instskip(NEXT) | instid1(VALU_DEP_4)
	v_cvt_f32_u32_e32 v2, v2
	v_dual_cndmask_b32 v5, v3, v1 :: v_dual_cndmask_b32 v4, v4, v32
	v_lshrrev_b32_e32 v3, 16, v33
	v_or_b32_e32 v33, 22, v11
	s_delay_alu instid0(VALU_DEP_3) | instskip(NEXT) | instid1(VALU_DEP_3)
	v_cmp_lt_f32_e32 vcc_lo, v5, v2
	v_cvt_f32_u32_e32 v3, v3
	s_delay_alu instid0(VALU_DEP_3) | instskip(SKIP_2) | instid1(VALU_DEP_2)
	v_dual_cndmask_b32 v5, v5, v2 :: v_dual_cndmask_b32 v6, v4, v33
	s_waitcnt vmcnt(0)
	v_and_b32_e32 v4, 0xffff, v42
	v_cmp_lt_f32_e32 vcc_lo, v5, v3
	s_delay_alu instid0(VALU_DEP_2) | instskip(SKIP_3) | instid1(VALU_DEP_3)
	v_cvt_f32_u32_e32 v4, v4
	v_dual_cndmask_b32 v7, v5, v3 :: v_dual_cndmask_b32 v6, v6, v34
	v_lshrrev_b32_e32 v5, 16, v42
	v_and_b32_e32 v42, 0xffff, v44
	v_cmp_lt_f32_e32 vcc_lo, v7, v4
	s_delay_alu instid0(VALU_DEP_3) | instskip(NEXT) | instid1(VALU_DEP_3)
	v_cvt_f32_u32_e32 v5, v5
	v_cvt_f32_u32_e32 v67, v42
	v_dual_cndmask_b32 v7, v7, v4 :: v_dual_cndmask_b32 v10, v6, v35
	v_and_b32_e32 v6, 0xffff, v43
	s_delay_alu instid0(VALU_DEP_2) | instskip(NEXT) | instid1(VALU_DEP_2)
	v_cmp_lt_f32_e32 vcc_lo, v7, v5
	v_cvt_f32_u32_e32 v6, v6
	v_cndmask_b32_e32 v38, v7, v5, vcc_lo
	v_cndmask_b32_e32 v10, v10, v36, vcc_lo
	v_lshrrev_b32_e32 v7, 16, v43
	v_lshrrev_b32_e32 v43, 16, v44
	v_and_b32_e32 v44, 0xffff, v45
	v_cmp_lt_f32_e32 vcc_lo, v38, v6
	v_lshrrev_b32_e32 v45, 16, v45
	v_cvt_f32_u32_e32 v7, v7
	v_cvt_f32_u32_e32 v68, v43
	;; [unrolled: 1-line block ×3, first 2 shown]
	v_cndmask_b32_e32 v39, v38, v6, vcc_lo
	v_cndmask_b32_e32 v10, v10, v37, vcc_lo
	v_or_b32_e32 v38, 27, v11
	v_cvt_f32_u32_e32 v70, v45
	s_clause 0x1
	scratch_store_b128 off, v[67:70], off offset:112
	scratch_store_b128 off, v[4:7], off offset:96
	v_cmp_lt_f32_e32 vcc_lo, v39, v7
	s_clause 0x5
	scratch_store_b128 off, v[0:3], off offset:80
	scratch_store_b128 off, v[63:66], off offset:64
	;; [unrolled: 1-line block ×5, first 2 shown]
	scratch_store_b128 off, v[47:50], off
	v_cndmask_b32_e32 v42, v39, v7, vcc_lo
	v_cndmask_b32_e32 v10, v10, v38, vcc_lo
	v_or_b32_e32 v39, 28, v11
	s_delay_alu instid0(VALU_DEP_3) | instskip(SKIP_1) | instid1(VALU_DEP_3)
	v_cmp_lt_f32_e32 vcc_lo, v42, v67
	v_cndmask_b32_e32 v43, v42, v67, vcc_lo
	v_cndmask_b32_e32 v10, v10, v39, vcc_lo
	v_or_b32_e32 v42, 29, v11
	s_delay_alu instid0(VALU_DEP_3) | instskip(SKIP_1) | instid1(VALU_DEP_3)
	v_cmp_lt_f32_e32 vcc_lo, v43, v68
	v_cndmask_b32_e32 v44, v43, v68, vcc_lo
	v_cndmask_b32_e32 v10, v10, v42, vcc_lo
	v_or_b32_e32 v43, 30, v11
	s_delay_alu instid0(VALU_DEP_3) | instskip(NEXT) | instid1(VALU_DEP_2)
	v_cmp_lt_f32_e32 vcc_lo, v44, v69
	v_dual_cndmask_b32 v45, v44, v69 :: v_dual_cndmask_b32 v10, v10, v43
	v_or_b32_e32 v44, 31, v11
	s_delay_alu instid0(VALU_DEP_2) | instskip(NEXT) | instid1(VALU_DEP_2)
	v_cmp_lt_f32_e32 vcc_lo, v45, v70
	v_dual_cndmask_b32 v10, v10, v44 :: v_dual_cndmask_b32 v45, v45, v70
	s_delay_alu instid0(VALU_DEP_1) | instskip(NEXT) | instid1(VALU_DEP_2)
	v_mov_b32_dpp v46, v10 quad_perm:[1,0,3,2] row_mask:0xf bank_mask:0xf
	v_mov_b32_dpp v71, v45 quad_perm:[1,0,3,2] row_mask:0xf bank_mask:0xf
	s_delay_alu instid0(VALU_DEP_2) | instskip(NEXT) | instid1(VALU_DEP_2)
	v_cmp_lt_i32_e32 vcc_lo, v46, v10
	v_cmp_eq_f32_e64 s2, v45, v71
	v_cmp_lt_f32_e64 s3, v45, v71
	s_delay_alu instid0(VALU_DEP_2)
	s_and_b32 s2, s2, vcc_lo
	s_delay_alu instid0(VALU_DEP_1) | instid1(SALU_CYCLE_1)
	s_or_b32 vcc_lo, s3, s2
	v_dual_cndmask_b32 v45, v45, v71 :: v_dual_cndmask_b32 v10, v10, v46
	s_delay_alu instid0(VALU_DEP_1) | instskip(NEXT) | instid1(VALU_DEP_2)
	v_mov_b32_dpp v46, v45 quad_perm:[2,3,0,1] row_mask:0xf bank_mask:0xf
	v_mov_b32_dpp v71, v10 quad_perm:[2,3,0,1] row_mask:0xf bank_mask:0xf
	s_delay_alu instid0(VALU_DEP_2) | instskip(NEXT) | instid1(VALU_DEP_2)
	v_cmp_eq_f32_e32 vcc_lo, v45, v46
	v_cmp_lt_i32_e64 s2, v71, v10
	v_cmp_lt_f32_e64 s3, v45, v46
	s_delay_alu instid0(VALU_DEP_2)
	s_and_b32 s2, vcc_lo, s2
	s_delay_alu instid0(VALU_DEP_1) | instid1(SALU_CYCLE_1)
	s_or_b32 vcc_lo, s3, s2
	v_dual_cndmask_b32 v45, v45, v46 :: v_dual_cndmask_b32 v10, v10, v71
	s_delay_alu instid0(VALU_DEP_1) | instskip(NEXT) | instid1(VALU_DEP_2)
	v_mov_b32_dpp v46, v45 row_half_mirror row_mask:0xf bank_mask:0xf
	v_mov_b32_dpp v71, v10 row_half_mirror row_mask:0xf bank_mask:0xf
	s_delay_alu instid0(VALU_DEP_2) | instskip(NEXT) | instid1(VALU_DEP_2)
	v_cmp_eq_f32_e32 vcc_lo, v45, v46
	v_cmp_lt_i32_e64 s2, v71, v10
	v_cmp_lt_f32_e64 s3, v45, v46
	s_delay_alu instid0(VALU_DEP_2)
	s_and_b32 s2, vcc_lo, s2
	s_delay_alu instid0(VALU_DEP_1) | instid1(SALU_CYCLE_1)
	s_or_b32 vcc_lo, s3, s2
	v_dual_cndmask_b32 v72, v45, v46 :: v_dual_cndmask_b32 v45, v10, v71
	v_mov_b32_e32 v10, 0
	v_cmp_eq_u32_e32 vcc_lo, 0, v9
	s_delay_alu instid0(VALU_DEP_3) | instskip(NEXT) | instid1(VALU_DEP_4)
	v_mov_b32_dpp v71, v72 row_mirror row_mask:0xf bank_mask:0xf
	v_mov_b32_dpp v46, v45 row_mirror row_mask:0xf bank_mask:0xf
	s_delay_alu instid0(VALU_DEP_2) | instskip(NEXT) | instid1(VALU_DEP_2)
	v_cmp_eq_f32_e64 s2, v72, v71
	v_cmp_lt_i32_e64 s3, v46, v45
	v_cmp_lt_f32_e64 s4, v72, v71
	s_delay_alu instid0(VALU_DEP_2)
	s_and_b32 s2, s2, s3
	s_delay_alu instid0(VALU_DEP_1) | instid1(SALU_CYCLE_1)
	s_or_b32 s2, s4, s2
	s_cmp_gt_i32 s8, 0
	v_cndmask_b32_e64 v7, v72, v71, s2
	s_cselect_b32 s3, -1, 0
	s_cmp_lt_i32 s8, 1
	s_cbranch_scc1 .LBB299_17
; %bb.5:
	s_load_b128 s[4:7], s[0:1], 0x20
	v_mul_lo_u32 v1, v8, s11
	v_mul_lo_u32 v3, v8, s14
	;; [unrolled: 1-line block ×3, first 2 shown]
	v_cndmask_b32_e64 v0, v45, v46, s2
	v_mov_b32_e32 v10, 0
	s_and_saveexec_b32 s2, vcc_lo
	s_cbranch_execz .LBB299_7
; %bb.6:
	v_sub_f32_e32 v10, v7, v7
	v_cmp_le_i32_e64 s0, s9, v0
	v_cmp_gt_i32_e64 s1, s10, v0
	v_subrev_nc_u32_e32 v51, s9, v0
	v_ashrrev_i32_e32 v6, 31, v5
	v_mul_f32_e32 v2, 0x3fb8aa3b, v10
	s_delay_alu instid0(VALU_DEP_4) | instskip(NEXT) | instid1(SALU_CYCLE_1)
	s_and_b32 s0, s0, s1
	s_and_b32 s0, s17, s0
	s_delay_alu instid0(VALU_DEP_1) | instskip(SKIP_2) | instid1(VALU_DEP_3)
	v_rndne_f32_e32 v47, v2
	v_fma_f32 v4, 0x3fb8aa3b, v10, -v2
	v_lshlrev_b64 v[49:50], 2, v[5:6]
	v_sub_f32_e32 v2, v2, v47
	s_delay_alu instid0(VALU_DEP_3) | instskip(NEXT) | instid1(VALU_DEP_1)
	v_fmamk_f32 v4, v10, 0x32a5705f, v4
	v_add_f32_e32 v4, v2, v4
	v_ashrrev_i32_e32 v2, 31, v1
	s_delay_alu instid0(VALU_DEP_2) | instskip(NEXT) | instid1(VALU_DEP_1)
	v_exp_f32_e32 v52, v4
	v_lshlrev_b64 v[45:46], 2, v[1:2]
	v_ashrrev_i32_e32 v4, 31, v3
	v_cvt_i32_f32_e32 v2, v47
	s_delay_alu instid0(VALU_DEP_2) | instskip(SKIP_2) | instid1(VALU_DEP_1)
	v_lshlrev_b64 v[47:48], 2, v[3:4]
	v_cndmask_b32_e64 v4, 0x200, v51, s0
	v_add_co_u32 v45, s0, s12, v45
	v_add_co_ci_u32_e64 v46, s0, s13, v46, s0
	s_delay_alu instid0(TRANS32_DEP_1) | instskip(SKIP_1) | instid1(VALU_DEP_1)
	v_ldexp_f32 v2, v52, v2
	v_cmp_ngt_f32_e64 s0, 0xc2ce8ed0, v10
	v_cndmask_b32_e64 v2, 0, v2, s0
	s_waitcnt lgkmcnt(0)
	v_add_co_u32 v47, s0, s4, v47
	s_delay_alu instid0(VALU_DEP_1) | instskip(SKIP_1) | instid1(VALU_DEP_1)
	v_add_co_ci_u32_e64 v48, s0, s5, v48, s0
	v_cmp_nlt_f32_e64 s0, 0x42b17218, v10
	v_cndmask_b32_e64 v10, 0x7f800000, v2, s0
	v_add_co_u32 v49, s0, s6, v49
	s_delay_alu instid0(VALU_DEP_1)
	v_add_co_ci_u32_e64 v50, s0, s7, v50, s0
	global_store_b32 v[47:48], v4, off
	global_store_b32 v[45:46], v10, off
	;; [unrolled: 1-line block ×3, first 2 shown]
.LBB299_7:
	s_or_b32 exec_lo, exec_lo, s2
	v_ashrrev_i32_e32 v4, 31, v0
	s_mov_b32 s1, exec_lo
	s_delay_alu instid0(VALU_DEP_1) | instskip(NEXT) | instid1(VALU_DEP_1)
	v_lshrrev_b32_e32 v2, 27, v4
	v_add_nc_u32_e32 v2, v0, v2
	s_delay_alu instid0(VALU_DEP_1) | instskip(NEXT) | instid1(VALU_DEP_1)
	v_ashrrev_i32_e32 v2, 5, v2
	v_lshrrev_b32_e32 v6, 28, v2
	s_delay_alu instid0(VALU_DEP_1) | instskip(NEXT) | instid1(VALU_DEP_1)
	v_add_nc_u32_e32 v6, v2, v6
	v_and_b32_e32 v6, -16, v6
	s_delay_alu instid0(VALU_DEP_1) | instskip(NEXT) | instid1(VALU_DEP_1)
	v_sub_nc_u32_e32 v6, v2, v6
	v_cmpx_eq_u32_e64 v9, v6
	s_cbranch_execz .LBB299_9
; %bb.8:
	v_lshrrev_b32_e32 v4, 23, v4
	v_lshlrev_b32_e32 v2, 5, v2
	s_delay_alu instid0(VALU_DEP_2) | instskip(NEXT) | instid1(VALU_DEP_2)
	v_add_nc_u32_e32 v4, v0, v4
	v_sub_nc_u32_e32 v0, v0, v2
	s_delay_alu instid0(VALU_DEP_2) | instskip(NEXT) | instid1(VALU_DEP_1)
	v_ashrrev_i32_e32 v2, 9, v4
	v_lshl_add_u32 v0, v2, 5, v0
	v_mov_b32_e32 v2, 0xff800000
	s_delay_alu instid0(VALU_DEP_2)
	v_lshl_add_u32 v0, v0, 2, 0
	scratch_store_b32 v0, v2, off
.LBB299_9:
	s_or_b32 exec_lo, exec_lo, s1
	s_cmp_eq_u32 s8, 1
	s_cbranch_scc1 .LBB299_16
; %bb.10:
	s_add_i32 s18, s18, s16
	v_add_nc_u32_e32 v0, 1, v5
	v_add3_u32 v6, s18, v41, v40
	v_add_nc_u32_e32 v2, 1, v3
	v_add_nc_u32_e32 v4, 1, v1
	v_mov_b32_e32 v40, 0xff800000
	s_add_i32 s14, s8, -1
	s_branch .LBB299_12
.LBB299_11:                             ;   in Loop: Header=BB299_12 Depth=1
	s_or_b32 exec_lo, exec_lo, s1
	v_add_nc_u32_e32 v6, s16, v6
	v_add_nc_u32_e32 v0, 1, v0
	;; [unrolled: 1-line block ×4, first 2 shown]
	s_add_i32 s14, s14, -1
	s_delay_alu instid0(SALU_CYCLE_1)
	s_cmp_eq_u32 s14, 0
	s_cbranch_scc1 .LBB299_16
.LBB299_12:                             ; =>This Inner Loop Header: Depth=1
	s_clause 0x7
	scratch_load_b128 v[45:48], off, off
	scratch_load_b128 v[49:52], off, off offset:16
	scratch_load_b128 v[53:56], off, off offset:32
	;; [unrolled: 1-line block ×7, first 2 shown]
	s_waitcnt vmcnt(7)
	v_cmp_gt_f32_e64 s0, v46, v45
	s_delay_alu instid0(VALU_DEP_1) | instskip(SKIP_1) | instid1(VALU_DEP_2)
	v_cndmask_b32_e64 v3, v45, v46, s0
	v_cndmask_b32_e64 v1, v11, v12, s0
	v_cmp_gt_f32_e64 s0, v47, v3
	s_delay_alu instid0(VALU_DEP_1) | instskip(NEXT) | instid1(VALU_DEP_3)
	v_cndmask_b32_e64 v3, v3, v47, s0
	v_cndmask_b32_e64 v1, v1, v13, s0
	s_delay_alu instid0(VALU_DEP_2) | instskip(NEXT) | instid1(VALU_DEP_1)
	v_cmp_gt_f32_e64 s0, v48, v3
	v_cndmask_b32_e64 v3, v3, v48, s0
	s_delay_alu instid0(VALU_DEP_3) | instskip(SKIP_1) | instid1(VALU_DEP_2)
	v_cndmask_b32_e64 v1, v1, v14, s0
	s_waitcnt vmcnt(6)
	v_cmp_gt_f32_e64 s0, v49, v3
	s_delay_alu instid0(VALU_DEP_1) | instskip(NEXT) | instid1(VALU_DEP_3)
	v_cndmask_b32_e64 v3, v3, v49, s0
	v_cndmask_b32_e64 v1, v1, v15, s0
	s_delay_alu instid0(VALU_DEP_2) | instskip(NEXT) | instid1(VALU_DEP_1)
	v_cmp_gt_f32_e64 s0, v50, v3
	v_cndmask_b32_e64 v3, v3, v50, s0
	s_delay_alu instid0(VALU_DEP_3) | instskip(NEXT) | instid1(VALU_DEP_2)
	v_cndmask_b32_e64 v1, v1, v16, s0
	v_cmp_gt_f32_e64 s0, v51, v3
	s_delay_alu instid0(VALU_DEP_1) | instskip(NEXT) | instid1(VALU_DEP_3)
	v_cndmask_b32_e64 v3, v3, v51, s0
	v_cndmask_b32_e64 v1, v1, v17, s0
	s_delay_alu instid0(VALU_DEP_2) | instskip(NEXT) | instid1(VALU_DEP_1)
	v_cmp_gt_f32_e64 s0, v52, v3
	v_cndmask_b32_e64 v3, v3, v52, s0
	s_delay_alu instid0(VALU_DEP_3) | instskip(SKIP_1) | instid1(VALU_DEP_2)
	v_cndmask_b32_e64 v1, v1, v18, s0
	s_waitcnt vmcnt(5)
	v_cmp_gt_f32_e64 s0, v53, v3
	s_delay_alu instid0(VALU_DEP_1) | instskip(NEXT) | instid1(VALU_DEP_3)
	v_cndmask_b32_e64 v3, v3, v53, s0
	v_cndmask_b32_e64 v1, v1, v19, s0
	s_delay_alu instid0(VALU_DEP_2) | instskip(NEXT) | instid1(VALU_DEP_1)
	v_cmp_gt_f32_e64 s0, v54, v3
	v_cndmask_b32_e64 v3, v3, v54, s0
	s_delay_alu instid0(VALU_DEP_3) | instskip(NEXT) | instid1(VALU_DEP_2)
	;; [unrolled: 19-line block ×7, first 2 shown]
	v_cndmask_b32_e64 v1, v1, v42, s0
	v_cmp_gt_f32_e64 s0, v75, v3
	s_delay_alu instid0(VALU_DEP_1) | instskip(NEXT) | instid1(VALU_DEP_3)
	v_cndmask_b32_e64 v3, v3, v75, s0
	v_cndmask_b32_e64 v1, v1, v43, s0
	s_delay_alu instid0(VALU_DEP_2) | instskip(NEXT) | instid1(VALU_DEP_1)
	v_cmp_gt_f32_e64 s0, v76, v3
	v_cndmask_b32_e64 v1, v1, v44, s0
	v_cndmask_b32_e64 v3, v3, v76, s0
	s_delay_alu instid0(VALU_DEP_2) | instskip(NEXT) | instid1(VALU_DEP_2)
	v_mov_b32_dpp v5, v1 quad_perm:[1,0,3,2] row_mask:0xf bank_mask:0xf
	v_mov_b32_dpp v41, v3 quad_perm:[1,0,3,2] row_mask:0xf bank_mask:0xf
	s_delay_alu instid0(VALU_DEP_2) | instskip(NEXT) | instid1(VALU_DEP_2)
	v_cmp_lt_i32_e64 s0, v5, v1
	v_cmp_eq_f32_e64 s1, v3, v41
	v_cmp_lt_f32_e64 s2, v3, v41
	s_delay_alu instid0(VALU_DEP_2)
	s_and_b32 s0, s1, s0
	s_delay_alu instid0(VALU_DEP_1) | instid1(SALU_CYCLE_1)
	s_or_b32 s0, s2, s0
	s_delay_alu instid0(SALU_CYCLE_1) | instskip(SKIP_1) | instid1(VALU_DEP_2)
	v_cndmask_b32_e64 v3, v3, v41, s0
	v_cndmask_b32_e64 v1, v1, v5, s0
	v_mov_b32_dpp v5, v3 quad_perm:[2,3,0,1] row_mask:0xf bank_mask:0xf
	s_delay_alu instid0(VALU_DEP_2) | instskip(NEXT) | instid1(VALU_DEP_2)
	v_mov_b32_dpp v41, v1 quad_perm:[2,3,0,1] row_mask:0xf bank_mask:0xf
	v_cmp_eq_f32_e64 s0, v3, v5
	s_delay_alu instid0(VALU_DEP_2) | instskip(SKIP_1) | instid1(VALU_DEP_2)
	v_cmp_lt_i32_e64 s1, v41, v1
	v_cmp_lt_f32_e64 s2, v3, v5
	s_and_b32 s0, s0, s1
	s_delay_alu instid0(VALU_DEP_1) | instid1(SALU_CYCLE_1)
	s_or_b32 s0, s2, s0
	s_delay_alu instid0(SALU_CYCLE_1) | instskip(SKIP_1) | instid1(VALU_DEP_2)
	v_cndmask_b32_e64 v3, v3, v5, s0
	v_cndmask_b32_e64 v5, v1, v41, s0
	v_mov_b32_dpp v1, v3 row_half_mirror row_mask:0xf bank_mask:0xf
	s_delay_alu instid0(VALU_DEP_2) | instskip(NEXT) | instid1(VALU_DEP_2)
	v_mov_b32_dpp v41, v5 row_half_mirror row_mask:0xf bank_mask:0xf
	v_cmp_eq_f32_e64 s0, v3, v1
	s_delay_alu instid0(VALU_DEP_2) | instskip(SKIP_1) | instid1(VALU_DEP_2)
	v_cmp_lt_i32_e64 s1, v41, v5
	v_cmp_lt_f32_e64 s2, v3, v1
	s_and_b32 s0, s0, s1
	s_delay_alu instid0(VALU_DEP_1) | instid1(SALU_CYCLE_1)
	s_or_b32 s0, s2, s0
	s_delay_alu instid0(SALU_CYCLE_1) | instskip(SKIP_1) | instid1(VALU_DEP_2)
	v_cndmask_b32_e64 v1, v3, v1, s0
	v_cndmask_b32_e64 v5, v5, v41, s0
	v_mov_b32_dpp v3, v1 row_mirror row_mask:0xf bank_mask:0xf
	s_delay_alu instid0(VALU_DEP_2) | instskip(NEXT) | instid1(VALU_DEP_2)
	v_mov_b32_dpp v41, v5 row_mirror row_mask:0xf bank_mask:0xf
	v_cmp_eq_f32_e64 s0, v1, v3
	s_delay_alu instid0(VALU_DEP_2) | instskip(SKIP_1) | instid1(VALU_DEP_2)
	v_cmp_lt_i32_e64 s1, v41, v5
	v_cmp_lt_f32_e64 s2, v1, v3
	s_and_b32 s0, s0, s1
	s_delay_alu instid0(VALU_DEP_1) | instid1(SALU_CYCLE_1)
	s_or_b32 s0, s2, s0
	s_delay_alu instid0(SALU_CYCLE_1)
	v_cndmask_b32_e64 v41, v5, v41, s0
	s_and_saveexec_b32 s2, vcc_lo
	s_cbranch_execz .LBB299_14
; %bb.13:                               ;   in Loop: Header=BB299_12 Depth=1
	v_cndmask_b32_e64 v1, v1, v3, s0
	s_delay_alu instid0(VALU_DEP_2) | instskip(SKIP_4) | instid1(VALU_DEP_4)
	v_cmp_le_i32_e64 s0, s9, v41
	v_cmp_gt_i32_e64 s1, s10, v41
	v_ashrrev_i32_e32 v5, 31, v4
	v_subrev_nc_u32_e32 v52, s9, v41
	v_sub_f32_e32 v51, v1, v7
	s_and_b32 s0, s0, s1
	s_delay_alu instid0(SALU_CYCLE_1) | instskip(NEXT) | instid1(VALU_DEP_1)
	s_and_b32 s0, s17, s0
	v_mul_f32_e32 v1, 0x3fb8aa3b, v51
	s_delay_alu instid0(VALU_DEP_1) | instskip(SKIP_1) | instid1(VALU_DEP_2)
	v_fma_f32 v3, 0x3fb8aa3b, v51, -v1
	v_rndne_f32_e32 v45, v1
	v_fmac_f32_e32 v3, 0x32a5705f, v51
	s_delay_alu instid0(VALU_DEP_2) | instskip(SKIP_2) | instid1(VALU_DEP_3)
	v_sub_f32_e32 v1, v1, v45
	v_cvt_i32_f32_e32 v50, v45
	v_lshlrev_b64 v[45:46], 2, v[4:5]
	v_add_f32_e32 v1, v1, v3
	v_ashrrev_i32_e32 v3, 31, v2
	s_delay_alu instid0(VALU_DEP_2) | instskip(SKIP_1) | instid1(VALU_DEP_2)
	v_exp_f32_e32 v49, v1
	v_ashrrev_i32_e32 v1, 31, v0
	v_lshlrev_b64 v[47:48], 2, v[2:3]
	s_waitcnt_depctr 0xfff
	v_ldexp_f32 v3, v49, v50
	v_lshlrev_b64 v[49:50], 2, v[0:1]
	v_cndmask_b32_e64 v1, 0x200, v52, s0
	v_cmp_ngt_f32_e64 s0, 0xc2ce8ed0, v51
	s_delay_alu instid0(VALU_DEP_1) | instskip(SKIP_1) | instid1(VALU_DEP_1)
	v_cndmask_b32_e64 v3, 0, v3, s0
	v_add_co_u32 v45, s0, s12, v45
	v_add_co_ci_u32_e64 v46, s0, s13, v46, s0
	v_cmp_nlt_f32_e64 s0, 0x42b17218, v51
	s_delay_alu instid0(VALU_DEP_1) | instskip(SKIP_2) | instid1(VALU_DEP_1)
	v_cndmask_b32_e64 v3, 0x7f800000, v3, s0
	s_waitcnt lgkmcnt(0)
	v_add_co_u32 v47, s0, s4, v47
	v_add_co_ci_u32_e64 v48, s0, s5, v48, s0
	s_delay_alu instid0(VALU_DEP_3) | instskip(SKIP_1) | instid1(VALU_DEP_1)
	v_add_f32_e32 v10, v10, v3
	v_add_co_u32 v49, s0, s6, v49
	v_add_co_ci_u32_e64 v50, s0, s7, v50, s0
	global_store_b32 v[45:46], v3, off
	global_store_b32 v[47:48], v1, off
	global_store_b32 v[49:50], v6, off
.LBB299_14:                             ;   in Loop: Header=BB299_12 Depth=1
	s_or_b32 exec_lo, exec_lo, s2
	s_delay_alu instid0(VALU_DEP_1) | instskip(SKIP_1) | instid1(VALU_DEP_1)
	v_ashrrev_i32_e32 v3, 31, v41
	s_mov_b32 s1, exec_lo
	v_lshrrev_b32_e32 v1, 27, v3
	s_delay_alu instid0(VALU_DEP_1) | instskip(NEXT) | instid1(VALU_DEP_1)
	v_add_nc_u32_e32 v1, v41, v1
	v_ashrrev_i32_e32 v1, 5, v1
	s_delay_alu instid0(VALU_DEP_1) | instskip(NEXT) | instid1(VALU_DEP_1)
	v_lshrrev_b32_e32 v5, 28, v1
	v_add_nc_u32_e32 v5, v1, v5
	s_delay_alu instid0(VALU_DEP_1) | instskip(NEXT) | instid1(VALU_DEP_1)
	v_and_b32_e32 v5, -16, v5
	v_sub_nc_u32_e32 v5, v1, v5
	s_delay_alu instid0(VALU_DEP_1)
	v_cmpx_eq_u32_e64 v9, v5
	s_cbranch_execz .LBB299_11
; %bb.15:                               ;   in Loop: Header=BB299_12 Depth=1
	v_lshrrev_b32_e32 v3, 23, v3
	v_lshlrev_b32_e32 v1, 5, v1
	s_delay_alu instid0(VALU_DEP_2) | instskip(NEXT) | instid1(VALU_DEP_2)
	v_add_nc_u32_e32 v3, v41, v3
	v_sub_nc_u32_e32 v1, v41, v1
	s_delay_alu instid0(VALU_DEP_2) | instskip(NEXT) | instid1(VALU_DEP_1)
	v_ashrrev_i32_e32 v3, 9, v3
	v_lshl_add_u32 v1, v3, 5, v1
	s_delay_alu instid0(VALU_DEP_1)
	v_lshl_add_u32 v1, v1, 2, 0
	scratch_store_b32 v1, v40, off
	s_branch .LBB299_11
.LBB299_16:
	scratch_load_b64 v[0:1], off, off offset:92
	s_waitcnt vmcnt(0)
	v_dual_mov_b32 v4, v1 :: v_dual_mov_b32 v3, v0
.LBB299_17:
	scratch_load_b128 v[11:14], off, off
	s_waitcnt vmcnt(0)
	v_sub_f32_e32 v0, v11, v7
	s_delay_alu instid0(VALU_DEP_1) | instskip(NEXT) | instid1(VALU_DEP_1)
	v_mul_f32_e32 v1, 0x3fb8aa3b, v0
	v_fma_f32 v2, 0x3fb8aa3b, v0, -v1
	v_rndne_f32_e32 v5, v1
	s_delay_alu instid0(VALU_DEP_1) | instskip(SKIP_1) | instid1(VALU_DEP_4)
	v_sub_f32_e32 v1, v1, v5
	v_cmp_ngt_f32_e32 vcc_lo, 0xc2ce8ed0, v0
	v_fmac_f32_e32 v2, 0x32a5705f, v0
	s_delay_alu instid0(VALU_DEP_1) | instskip(SKIP_1) | instid1(VALU_DEP_2)
	v_add_f32_e32 v1, v1, v2
	v_cvt_i32_f32_e32 v2, v5
	v_exp_f32_e32 v1, v1
	s_waitcnt_depctr 0xfff
	v_ldexp_f32 v1, v1, v2
	s_delay_alu instid0(VALU_DEP_1) | instskip(SKIP_1) | instid1(VALU_DEP_2)
	v_cndmask_b32_e32 v1, 0, v1, vcc_lo
	v_cmp_nlt_f32_e32 vcc_lo, 0x42b17218, v0
	v_dual_cndmask_b32 v0, 0x7f800000, v1 :: v_dual_sub_f32 v1, v12, v7
	s_delay_alu instid0(VALU_DEP_1) | instskip(SKIP_1) | instid1(VALU_DEP_2)
	v_mul_f32_e32 v2, 0x3fb8aa3b, v1
	v_cmp_ngt_f32_e32 vcc_lo, 0xc2ce8ed0, v1
	v_fma_f32 v5, 0x3fb8aa3b, v1, -v2
	v_rndne_f32_e32 v6, v2
	s_delay_alu instid0(VALU_DEP_1) | instskip(NEXT) | instid1(VALU_DEP_1)
	v_dual_fmac_f32 v5, 0x32a5705f, v1 :: v_dual_sub_f32 v2, v2, v6
	v_add_f32_e32 v2, v2, v5
	v_cvt_i32_f32_e32 v5, v6
	s_delay_alu instid0(VALU_DEP_2) | instskip(SKIP_2) | instid1(VALU_DEP_1)
	v_exp_f32_e32 v2, v2
	s_waitcnt_depctr 0xfff
	v_ldexp_f32 v2, v2, v5
	v_cndmask_b32_e32 v2, 0, v2, vcc_lo
	v_cmp_nlt_f32_e32 vcc_lo, 0x42b17218, v1
	s_delay_alu instid0(VALU_DEP_2) | instskip(NEXT) | instid1(VALU_DEP_1)
	v_cndmask_b32_e32 v1, 0x7f800000, v2, vcc_lo
	v_dual_add_f32 v0, v0, v1 :: v_dual_sub_f32 v1, v13, v7
	s_delay_alu instid0(VALU_DEP_1) | instskip(SKIP_1) | instid1(VALU_DEP_2)
	v_mul_f32_e32 v2, 0x3fb8aa3b, v1
	v_cmp_ngt_f32_e32 vcc_lo, 0xc2ce8ed0, v1
	v_fma_f32 v5, 0x3fb8aa3b, v1, -v2
	v_rndne_f32_e32 v6, v2
	s_delay_alu instid0(VALU_DEP_1) | instskip(NEXT) | instid1(VALU_DEP_1)
	v_dual_fmac_f32 v5, 0x32a5705f, v1 :: v_dual_sub_f32 v2, v2, v6
	v_add_f32_e32 v2, v2, v5
	v_cvt_i32_f32_e32 v5, v6
	s_delay_alu instid0(VALU_DEP_2) | instskip(SKIP_2) | instid1(VALU_DEP_1)
	v_exp_f32_e32 v2, v2
	s_waitcnt_depctr 0xfff
	v_ldexp_f32 v2, v2, v5
	v_cndmask_b32_e32 v2, 0, v2, vcc_lo
	v_cmp_nlt_f32_e32 vcc_lo, 0x42b17218, v1
	s_delay_alu instid0(VALU_DEP_2) | instskip(NEXT) | instid1(VALU_DEP_1)
	v_cndmask_b32_e32 v1, 0x7f800000, v2, vcc_lo
	v_dual_add_f32 v0, v0, v1 :: v_dual_sub_f32 v1, v14, v7
	scratch_load_b128 v[11:14], off, off offset:16
	v_mul_f32_e32 v2, 0x3fb8aa3b, v1
	v_cmp_ngt_f32_e32 vcc_lo, 0xc2ce8ed0, v1
	s_delay_alu instid0(VALU_DEP_2) | instskip(SKIP_1) | instid1(VALU_DEP_1)
	v_fma_f32 v5, 0x3fb8aa3b, v1, -v2
	v_rndne_f32_e32 v6, v2
	v_dual_fmac_f32 v5, 0x32a5705f, v1 :: v_dual_sub_f32 v2, v2, v6
	s_delay_alu instid0(VALU_DEP_1) | instskip(SKIP_1) | instid1(VALU_DEP_2)
	v_add_f32_e32 v2, v2, v5
	v_cvt_i32_f32_e32 v5, v6
	v_exp_f32_e32 v2, v2
	s_waitcnt_depctr 0xfff
	v_ldexp_f32 v2, v2, v5
	s_delay_alu instid0(VALU_DEP_1) | instskip(SKIP_1) | instid1(VALU_DEP_2)
	v_cndmask_b32_e32 v2, 0, v2, vcc_lo
	v_cmp_nlt_f32_e32 vcc_lo, 0x42b17218, v1
	v_cndmask_b32_e32 v1, 0x7f800000, v2, vcc_lo
	s_waitcnt vmcnt(0)
	s_delay_alu instid0(VALU_DEP_1) | instskip(NEXT) | instid1(VALU_DEP_1)
	v_dual_add_f32 v0, v0, v1 :: v_dual_sub_f32 v1, v11, v7
	v_mul_f32_e32 v2, 0x3fb8aa3b, v1
	v_cmp_ngt_f32_e32 vcc_lo, 0xc2ce8ed0, v1
	s_delay_alu instid0(VALU_DEP_2) | instskip(SKIP_1) | instid1(VALU_DEP_1)
	v_fma_f32 v5, 0x3fb8aa3b, v1, -v2
	v_rndne_f32_e32 v6, v2
	v_dual_fmac_f32 v5, 0x32a5705f, v1 :: v_dual_sub_f32 v2, v2, v6
	s_delay_alu instid0(VALU_DEP_1) | instskip(SKIP_1) | instid1(VALU_DEP_2)
	v_add_f32_e32 v2, v2, v5
	v_cvt_i32_f32_e32 v5, v6
	v_exp_f32_e32 v2, v2
	s_waitcnt_depctr 0xfff
	v_ldexp_f32 v2, v2, v5
	s_delay_alu instid0(VALU_DEP_1) | instskip(SKIP_1) | instid1(VALU_DEP_2)
	v_cndmask_b32_e32 v2, 0, v2, vcc_lo
	v_cmp_nlt_f32_e32 vcc_lo, 0x42b17218, v1
	v_cndmask_b32_e32 v1, 0x7f800000, v2, vcc_lo
	s_delay_alu instid0(VALU_DEP_1) | instskip(SKIP_1) | instid1(VALU_DEP_1)
	v_add_f32_e32 v0, v0, v1
	v_sub_f32_e32 v1, v12, v7
	v_mul_f32_e32 v2, 0x3fb8aa3b, v1
	v_cmp_ngt_f32_e32 vcc_lo, 0xc2ce8ed0, v1
	s_delay_alu instid0(VALU_DEP_2) | instskip(SKIP_1) | instid1(VALU_DEP_1)
	v_fma_f32 v5, 0x3fb8aa3b, v1, -v2
	v_rndne_f32_e32 v6, v2
	v_dual_fmac_f32 v5, 0x32a5705f, v1 :: v_dual_sub_f32 v2, v2, v6
	s_delay_alu instid0(VALU_DEP_1) | instskip(SKIP_1) | instid1(VALU_DEP_2)
	v_add_f32_e32 v2, v2, v5
	v_cvt_i32_f32_e32 v5, v6
	v_exp_f32_e32 v2, v2
	s_waitcnt_depctr 0xfff
	v_ldexp_f32 v2, v2, v5
	s_delay_alu instid0(VALU_DEP_1) | instskip(SKIP_1) | instid1(VALU_DEP_2)
	v_cndmask_b32_e32 v2, 0, v2, vcc_lo
	v_cmp_nlt_f32_e32 vcc_lo, 0x42b17218, v1
	v_cndmask_b32_e32 v1, 0x7f800000, v2, vcc_lo
	s_delay_alu instid0(VALU_DEP_1) | instskip(NEXT) | instid1(VALU_DEP_1)
	v_dual_add_f32 v0, v0, v1 :: v_dual_sub_f32 v1, v13, v7
	v_mul_f32_e32 v2, 0x3fb8aa3b, v1
	v_cmp_ngt_f32_e32 vcc_lo, 0xc2ce8ed0, v1
	s_delay_alu instid0(VALU_DEP_2) | instskip(SKIP_1) | instid1(VALU_DEP_1)
	v_fma_f32 v5, 0x3fb8aa3b, v1, -v2
	v_rndne_f32_e32 v6, v2
	v_dual_fmac_f32 v5, 0x32a5705f, v1 :: v_dual_sub_f32 v2, v2, v6
	s_delay_alu instid0(VALU_DEP_1) | instskip(SKIP_1) | instid1(VALU_DEP_2)
	v_add_f32_e32 v2, v2, v5
	v_cvt_i32_f32_e32 v5, v6
	v_exp_f32_e32 v2, v2
	s_waitcnt_depctr 0xfff
	v_ldexp_f32 v2, v2, v5
	s_delay_alu instid0(VALU_DEP_1) | instskip(SKIP_1) | instid1(VALU_DEP_2)
	v_cndmask_b32_e32 v2, 0, v2, vcc_lo
	v_cmp_nlt_f32_e32 vcc_lo, 0x42b17218, v1
	v_cndmask_b32_e32 v1, 0x7f800000, v2, vcc_lo
	s_delay_alu instid0(VALU_DEP_1) | instskip(SKIP_3) | instid1(VALU_DEP_2)
	v_dual_add_f32 v0, v0, v1 :: v_dual_sub_f32 v1, v14, v7
	scratch_load_b128 v[11:14], off, off offset:32
	v_mul_f32_e32 v2, 0x3fb8aa3b, v1
	v_cmp_ngt_f32_e32 vcc_lo, 0xc2ce8ed0, v1
	v_fma_f32 v5, 0x3fb8aa3b, v1, -v2
	v_rndne_f32_e32 v6, v2
	s_delay_alu instid0(VALU_DEP_1) | instskip(NEXT) | instid1(VALU_DEP_1)
	v_dual_fmac_f32 v5, 0x32a5705f, v1 :: v_dual_sub_f32 v2, v2, v6
	v_add_f32_e32 v2, v2, v5
	v_cvt_i32_f32_e32 v5, v6
	s_delay_alu instid0(VALU_DEP_2) | instskip(SKIP_2) | instid1(VALU_DEP_1)
	v_exp_f32_e32 v2, v2
	s_waitcnt_depctr 0xfff
	v_ldexp_f32 v2, v2, v5
	v_cndmask_b32_e32 v2, 0, v2, vcc_lo
	v_cmp_nlt_f32_e32 vcc_lo, 0x42b17218, v1
	s_delay_alu instid0(VALU_DEP_2) | instskip(SKIP_1) | instid1(VALU_DEP_1)
	v_cndmask_b32_e32 v1, 0x7f800000, v2, vcc_lo
	s_waitcnt vmcnt(0)
	v_dual_add_f32 v0, v0, v1 :: v_dual_sub_f32 v1, v11, v7
	s_delay_alu instid0(VALU_DEP_1) | instskip(SKIP_1) | instid1(VALU_DEP_2)
	v_mul_f32_e32 v2, 0x3fb8aa3b, v1
	v_cmp_ngt_f32_e32 vcc_lo, 0xc2ce8ed0, v1
	v_fma_f32 v5, 0x3fb8aa3b, v1, -v2
	v_rndne_f32_e32 v6, v2
	s_delay_alu instid0(VALU_DEP_1) | instskip(NEXT) | instid1(VALU_DEP_1)
	v_dual_fmac_f32 v5, 0x32a5705f, v1 :: v_dual_sub_f32 v2, v2, v6
	v_add_f32_e32 v2, v2, v5
	v_cvt_i32_f32_e32 v5, v6
	s_delay_alu instid0(VALU_DEP_2) | instskip(SKIP_2) | instid1(VALU_DEP_1)
	v_exp_f32_e32 v2, v2
	s_waitcnt_depctr 0xfff
	v_ldexp_f32 v2, v2, v5
	v_cndmask_b32_e32 v2, 0, v2, vcc_lo
	v_cmp_nlt_f32_e32 vcc_lo, 0x42b17218, v1
	s_delay_alu instid0(VALU_DEP_2) | instskip(NEXT) | instid1(VALU_DEP_1)
	v_cndmask_b32_e32 v1, 0x7f800000, v2, vcc_lo
	v_add_f32_e32 v0, v0, v1
	v_sub_f32_e32 v1, v12, v7
	s_delay_alu instid0(VALU_DEP_1) | instskip(SKIP_1) | instid1(VALU_DEP_2)
	v_mul_f32_e32 v2, 0x3fb8aa3b, v1
	v_cmp_ngt_f32_e32 vcc_lo, 0xc2ce8ed0, v1
	v_fma_f32 v5, 0x3fb8aa3b, v1, -v2
	v_rndne_f32_e32 v6, v2
	s_delay_alu instid0(VALU_DEP_1) | instskip(NEXT) | instid1(VALU_DEP_1)
	v_dual_fmac_f32 v5, 0x32a5705f, v1 :: v_dual_sub_f32 v2, v2, v6
	v_add_f32_e32 v2, v2, v5
	v_cvt_i32_f32_e32 v5, v6
	s_delay_alu instid0(VALU_DEP_2) | instskip(SKIP_2) | instid1(VALU_DEP_1)
	v_exp_f32_e32 v2, v2
	s_waitcnt_depctr 0xfff
	v_ldexp_f32 v2, v2, v5
	v_cndmask_b32_e32 v2, 0, v2, vcc_lo
	v_cmp_nlt_f32_e32 vcc_lo, 0x42b17218, v1
	s_delay_alu instid0(VALU_DEP_2) | instskip(NEXT) | instid1(VALU_DEP_1)
	v_cndmask_b32_e32 v1, 0x7f800000, v2, vcc_lo
	v_dual_add_f32 v0, v0, v1 :: v_dual_sub_f32 v1, v13, v7
	s_delay_alu instid0(VALU_DEP_1) | instskip(SKIP_1) | instid1(VALU_DEP_2)
	v_mul_f32_e32 v2, 0x3fb8aa3b, v1
	v_cmp_ngt_f32_e32 vcc_lo, 0xc2ce8ed0, v1
	v_fma_f32 v5, 0x3fb8aa3b, v1, -v2
	v_rndne_f32_e32 v6, v2
	s_delay_alu instid0(VALU_DEP_1) | instskip(NEXT) | instid1(VALU_DEP_1)
	v_dual_fmac_f32 v5, 0x32a5705f, v1 :: v_dual_sub_f32 v2, v2, v6
	v_add_f32_e32 v2, v2, v5
	v_cvt_i32_f32_e32 v5, v6
	s_delay_alu instid0(VALU_DEP_2) | instskip(SKIP_2) | instid1(VALU_DEP_1)
	v_exp_f32_e32 v2, v2
	s_waitcnt_depctr 0xfff
	v_ldexp_f32 v2, v2, v5
	v_cndmask_b32_e32 v2, 0, v2, vcc_lo
	v_cmp_nlt_f32_e32 vcc_lo, 0x42b17218, v1
	s_delay_alu instid0(VALU_DEP_2) | instskip(NEXT) | instid1(VALU_DEP_1)
	v_cndmask_b32_e32 v1, 0x7f800000, v2, vcc_lo
	v_dual_add_f32 v0, v0, v1 :: v_dual_sub_f32 v1, v14, v7
	scratch_load_b128 v[11:14], off, off offset:48
	v_mul_f32_e32 v2, 0x3fb8aa3b, v1
	v_cmp_ngt_f32_e32 vcc_lo, 0xc2ce8ed0, v1
	s_delay_alu instid0(VALU_DEP_2) | instskip(SKIP_1) | instid1(VALU_DEP_1)
	v_fma_f32 v5, 0x3fb8aa3b, v1, -v2
	v_rndne_f32_e32 v6, v2
	v_dual_fmac_f32 v5, 0x32a5705f, v1 :: v_dual_sub_f32 v2, v2, v6
	s_delay_alu instid0(VALU_DEP_1) | instskip(SKIP_1) | instid1(VALU_DEP_2)
	v_add_f32_e32 v2, v2, v5
	v_cvt_i32_f32_e32 v5, v6
	v_exp_f32_e32 v2, v2
	s_waitcnt_depctr 0xfff
	v_ldexp_f32 v2, v2, v5
	s_delay_alu instid0(VALU_DEP_1) | instskip(SKIP_1) | instid1(VALU_DEP_2)
	v_cndmask_b32_e32 v2, 0, v2, vcc_lo
	v_cmp_nlt_f32_e32 vcc_lo, 0x42b17218, v1
	v_cndmask_b32_e32 v1, 0x7f800000, v2, vcc_lo
	s_waitcnt vmcnt(0)
	s_delay_alu instid0(VALU_DEP_1) | instskip(NEXT) | instid1(VALU_DEP_1)
	v_dual_add_f32 v0, v0, v1 :: v_dual_sub_f32 v1, v11, v7
	v_mul_f32_e32 v2, 0x3fb8aa3b, v1
	v_cmp_ngt_f32_e32 vcc_lo, 0xc2ce8ed0, v1
	s_delay_alu instid0(VALU_DEP_2) | instskip(SKIP_1) | instid1(VALU_DEP_1)
	v_fma_f32 v5, 0x3fb8aa3b, v1, -v2
	v_rndne_f32_e32 v6, v2
	v_dual_fmac_f32 v5, 0x32a5705f, v1 :: v_dual_sub_f32 v2, v2, v6
	s_delay_alu instid0(VALU_DEP_1) | instskip(SKIP_1) | instid1(VALU_DEP_2)
	v_add_f32_e32 v2, v2, v5
	v_cvt_i32_f32_e32 v5, v6
	v_exp_f32_e32 v2, v2
	s_waitcnt_depctr 0xfff
	v_ldexp_f32 v2, v2, v5
	s_delay_alu instid0(VALU_DEP_1) | instskip(SKIP_1) | instid1(VALU_DEP_2)
	v_cndmask_b32_e32 v2, 0, v2, vcc_lo
	v_cmp_nlt_f32_e32 vcc_lo, 0x42b17218, v1
	v_cndmask_b32_e32 v1, 0x7f800000, v2, vcc_lo
	s_delay_alu instid0(VALU_DEP_1) | instskip(SKIP_1) | instid1(VALU_DEP_1)
	v_add_f32_e32 v0, v0, v1
	v_sub_f32_e32 v1, v12, v7
	v_mul_f32_e32 v2, 0x3fb8aa3b, v1
	v_cmp_ngt_f32_e32 vcc_lo, 0xc2ce8ed0, v1
	s_delay_alu instid0(VALU_DEP_2) | instskip(SKIP_1) | instid1(VALU_DEP_1)
	v_fma_f32 v5, 0x3fb8aa3b, v1, -v2
	v_rndne_f32_e32 v6, v2
	v_dual_fmac_f32 v5, 0x32a5705f, v1 :: v_dual_sub_f32 v2, v2, v6
	s_delay_alu instid0(VALU_DEP_1) | instskip(SKIP_1) | instid1(VALU_DEP_2)
	v_add_f32_e32 v2, v2, v5
	v_cvt_i32_f32_e32 v5, v6
	v_exp_f32_e32 v2, v2
	s_waitcnt_depctr 0xfff
	v_ldexp_f32 v2, v2, v5
	s_delay_alu instid0(VALU_DEP_1) | instskip(SKIP_1) | instid1(VALU_DEP_2)
	v_cndmask_b32_e32 v2, 0, v2, vcc_lo
	v_cmp_nlt_f32_e32 vcc_lo, 0x42b17218, v1
	v_cndmask_b32_e32 v1, 0x7f800000, v2, vcc_lo
	s_delay_alu instid0(VALU_DEP_1) | instskip(NEXT) | instid1(VALU_DEP_1)
	v_dual_add_f32 v0, v0, v1 :: v_dual_sub_f32 v1, v13, v7
	v_mul_f32_e32 v2, 0x3fb8aa3b, v1
	v_cmp_ngt_f32_e32 vcc_lo, 0xc2ce8ed0, v1
	s_delay_alu instid0(VALU_DEP_2) | instskip(SKIP_1) | instid1(VALU_DEP_1)
	v_fma_f32 v5, 0x3fb8aa3b, v1, -v2
	v_rndne_f32_e32 v6, v2
	v_dual_fmac_f32 v5, 0x32a5705f, v1 :: v_dual_sub_f32 v2, v2, v6
	s_delay_alu instid0(VALU_DEP_1) | instskip(SKIP_1) | instid1(VALU_DEP_2)
	v_add_f32_e32 v2, v2, v5
	v_cvt_i32_f32_e32 v5, v6
	v_exp_f32_e32 v2, v2
	s_waitcnt_depctr 0xfff
	v_ldexp_f32 v2, v2, v5
	s_delay_alu instid0(VALU_DEP_1) | instskip(SKIP_1) | instid1(VALU_DEP_2)
	v_cndmask_b32_e32 v2, 0, v2, vcc_lo
	v_cmp_nlt_f32_e32 vcc_lo, 0x42b17218, v1
	v_cndmask_b32_e32 v1, 0x7f800000, v2, vcc_lo
	s_delay_alu instid0(VALU_DEP_1) | instskip(SKIP_3) | instid1(VALU_DEP_2)
	v_dual_add_f32 v0, v0, v1 :: v_dual_sub_f32 v1, v14, v7
	scratch_load_b128 v[11:14], off, off offset:64
	v_mul_f32_e32 v2, 0x3fb8aa3b, v1
	v_cmp_ngt_f32_e32 vcc_lo, 0xc2ce8ed0, v1
	v_fma_f32 v5, 0x3fb8aa3b, v1, -v2
	v_rndne_f32_e32 v6, v2
	s_delay_alu instid0(VALU_DEP_1) | instskip(NEXT) | instid1(VALU_DEP_1)
	v_dual_fmac_f32 v5, 0x32a5705f, v1 :: v_dual_sub_f32 v2, v2, v6
	v_add_f32_e32 v2, v2, v5
	v_cvt_i32_f32_e32 v5, v6
	s_delay_alu instid0(VALU_DEP_2) | instskip(SKIP_2) | instid1(VALU_DEP_1)
	v_exp_f32_e32 v2, v2
	s_waitcnt_depctr 0xfff
	v_ldexp_f32 v2, v2, v5
	v_cndmask_b32_e32 v2, 0, v2, vcc_lo
	v_cmp_nlt_f32_e32 vcc_lo, 0x42b17218, v1
	s_delay_alu instid0(VALU_DEP_2) | instskip(SKIP_1) | instid1(VALU_DEP_1)
	v_cndmask_b32_e32 v1, 0x7f800000, v2, vcc_lo
	s_waitcnt vmcnt(0)
	v_dual_add_f32 v0, v0, v1 :: v_dual_sub_f32 v1, v11, v7
	s_delay_alu instid0(VALU_DEP_1) | instskip(SKIP_1) | instid1(VALU_DEP_2)
	v_mul_f32_e32 v2, 0x3fb8aa3b, v1
	v_cmp_ngt_f32_e32 vcc_lo, 0xc2ce8ed0, v1
	v_fma_f32 v5, 0x3fb8aa3b, v1, -v2
	v_rndne_f32_e32 v6, v2
	s_delay_alu instid0(VALU_DEP_1) | instskip(NEXT) | instid1(VALU_DEP_1)
	v_dual_fmac_f32 v5, 0x32a5705f, v1 :: v_dual_sub_f32 v2, v2, v6
	v_add_f32_e32 v2, v2, v5
	v_cvt_i32_f32_e32 v5, v6
	s_delay_alu instid0(VALU_DEP_2) | instskip(SKIP_2) | instid1(VALU_DEP_1)
	v_exp_f32_e32 v2, v2
	s_waitcnt_depctr 0xfff
	v_ldexp_f32 v2, v2, v5
	v_cndmask_b32_e32 v2, 0, v2, vcc_lo
	v_cmp_nlt_f32_e32 vcc_lo, 0x42b17218, v1
	s_delay_alu instid0(VALU_DEP_2) | instskip(NEXT) | instid1(VALU_DEP_1)
	v_cndmask_b32_e32 v1, 0x7f800000, v2, vcc_lo
	v_add_f32_e32 v0, v0, v1
	v_sub_f32_e32 v1, v12, v7
	s_delay_alu instid0(VALU_DEP_1) | instskip(SKIP_1) | instid1(VALU_DEP_2)
	v_mul_f32_e32 v2, 0x3fb8aa3b, v1
	v_cmp_ngt_f32_e32 vcc_lo, 0xc2ce8ed0, v1
	v_fma_f32 v5, 0x3fb8aa3b, v1, -v2
	v_rndne_f32_e32 v6, v2
	s_delay_alu instid0(VALU_DEP_1) | instskip(NEXT) | instid1(VALU_DEP_1)
	v_dual_fmac_f32 v5, 0x32a5705f, v1 :: v_dual_sub_f32 v2, v2, v6
	v_add_f32_e32 v2, v2, v5
	v_cvt_i32_f32_e32 v5, v6
	s_delay_alu instid0(VALU_DEP_2) | instskip(SKIP_2) | instid1(VALU_DEP_1)
	v_exp_f32_e32 v2, v2
	s_waitcnt_depctr 0xfff
	v_ldexp_f32 v2, v2, v5
	v_cndmask_b32_e32 v2, 0, v2, vcc_lo
	v_cmp_nlt_f32_e32 vcc_lo, 0x42b17218, v1
	s_delay_alu instid0(VALU_DEP_2) | instskip(NEXT) | instid1(VALU_DEP_1)
	v_cndmask_b32_e32 v1, 0x7f800000, v2, vcc_lo
	v_dual_add_f32 v0, v0, v1 :: v_dual_sub_f32 v1, v13, v7
	s_delay_alu instid0(VALU_DEP_1) | instskip(SKIP_1) | instid1(VALU_DEP_2)
	v_mul_f32_e32 v2, 0x3fb8aa3b, v1
	v_cmp_ngt_f32_e32 vcc_lo, 0xc2ce8ed0, v1
	v_fma_f32 v5, 0x3fb8aa3b, v1, -v2
	v_rndne_f32_e32 v6, v2
	s_delay_alu instid0(VALU_DEP_1) | instskip(NEXT) | instid1(VALU_DEP_1)
	v_dual_fmac_f32 v5, 0x32a5705f, v1 :: v_dual_sub_f32 v2, v2, v6
	v_add_f32_e32 v2, v2, v5
	v_cvt_i32_f32_e32 v5, v6
	s_delay_alu instid0(VALU_DEP_2) | instskip(SKIP_2) | instid1(VALU_DEP_1)
	v_exp_f32_e32 v2, v2
	s_waitcnt_depctr 0xfff
	v_ldexp_f32 v2, v2, v5
	v_cndmask_b32_e32 v2, 0, v2, vcc_lo
	v_cmp_nlt_f32_e32 vcc_lo, 0x42b17218, v1
	s_delay_alu instid0(VALU_DEP_2) | instskip(NEXT) | instid1(VALU_DEP_1)
	v_cndmask_b32_e32 v1, 0x7f800000, v2, vcc_lo
	v_dual_add_f32 v0, v0, v1 :: v_dual_sub_f32 v1, v14, v7
	s_delay_alu instid0(VALU_DEP_1) | instskip(SKIP_1) | instid1(VALU_DEP_2)
	v_mul_f32_e32 v2, 0x3fb8aa3b, v1
	v_cmp_ngt_f32_e32 vcc_lo, 0xc2ce8ed0, v1
	v_fma_f32 v5, 0x3fb8aa3b, v1, -v2
	v_rndne_f32_e32 v6, v2
	s_delay_alu instid0(VALU_DEP_1) | instskip(NEXT) | instid1(VALU_DEP_1)
	v_dual_fmac_f32 v5, 0x32a5705f, v1 :: v_dual_sub_f32 v2, v2, v6
	v_add_f32_e32 v2, v2, v5
	v_cvt_i32_f32_e32 v5, v6
	s_delay_alu instid0(VALU_DEP_2) | instskip(SKIP_2) | instid1(VALU_DEP_1)
	v_exp_f32_e32 v2, v2
	s_waitcnt_depctr 0xfff
	v_ldexp_f32 v2, v2, v5
	v_cndmask_b32_e32 v2, 0, v2, vcc_lo
	v_cmp_nlt_f32_e32 vcc_lo, 0x42b17218, v1
	s_delay_alu instid0(VALU_DEP_2) | instskip(NEXT) | instid1(VALU_DEP_1)
	v_cndmask_b32_e32 v1, 0x7f800000, v2, vcc_lo
	v_add_f32_e32 v5, v0, v1
	scratch_load_b96 v[0:2], off, off offset:80
	s_waitcnt vmcnt(0)
	v_sub_f32_e32 v0, v0, v7
	s_delay_alu instid0(VALU_DEP_1) | instskip(SKIP_1) | instid1(VALU_DEP_2)
	v_dual_sub_f32 v1, v1, v7 :: v_dual_mul_f32 v6, 0x3fb8aa3b, v0
	v_cmp_ngt_f32_e32 vcc_lo, 0xc2ce8ed0, v0
	v_fma_f32 v11, 0x3fb8aa3b, v0, -v6
	v_rndne_f32_e32 v12, v6
	s_delay_alu instid0(VALU_DEP_2) | instskip(NEXT) | instid1(VALU_DEP_2)
	v_fmac_f32_e32 v11, 0x32a5705f, v0
	v_sub_f32_e32 v6, v6, v12
	s_delay_alu instid0(VALU_DEP_1) | instskip(SKIP_1) | instid1(VALU_DEP_2)
	v_add_f32_e32 v6, v6, v11
	v_cvt_i32_f32_e32 v11, v12
	v_exp_f32_e32 v6, v6
	s_waitcnt_depctr 0xfff
	v_ldexp_f32 v6, v6, v11
	s_delay_alu instid0(VALU_DEP_1) | instskip(SKIP_1) | instid1(VALU_DEP_2)
	v_cndmask_b32_e32 v6, 0, v6, vcc_lo
	v_cmp_nlt_f32_e32 vcc_lo, 0x42b17218, v0
	v_cndmask_b32_e32 v0, 0x7f800000, v6, vcc_lo
	v_cmp_ngt_f32_e32 vcc_lo, 0xc2ce8ed0, v1
	s_delay_alu instid0(VALU_DEP_2) | instskip(NEXT) | instid1(VALU_DEP_1)
	v_dual_add_f32 v0, v5, v0 :: v_dual_mul_f32 v5, 0x3fb8aa3b, v1
	v_fma_f32 v6, 0x3fb8aa3b, v1, -v5
	v_rndne_f32_e32 v11, v5
	s_delay_alu instid0(VALU_DEP_1) | instskip(NEXT) | instid1(VALU_DEP_1)
	v_dual_fmac_f32 v6, 0x32a5705f, v1 :: v_dual_sub_f32 v5, v5, v11
	v_add_f32_e32 v5, v5, v6
	v_cvt_i32_f32_e32 v6, v11
	s_delay_alu instid0(VALU_DEP_2) | instskip(SKIP_2) | instid1(VALU_DEP_1)
	v_exp_f32_e32 v5, v5
	s_waitcnt_depctr 0xfff
	v_ldexp_f32 v5, v5, v6
	v_cndmask_b32_e32 v5, 0, v5, vcc_lo
	v_cmp_nlt_f32_e32 vcc_lo, 0x42b17218, v1
	s_delay_alu instid0(VALU_DEP_2) | instskip(NEXT) | instid1(VALU_DEP_1)
	v_cndmask_b32_e32 v1, 0x7f800000, v5, vcc_lo
	v_dual_add_f32 v0, v0, v1 :: v_dual_sub_f32 v1, v2, v7
	s_delay_alu instid0(VALU_DEP_1) | instskip(SKIP_1) | instid1(VALU_DEP_2)
	v_mul_f32_e32 v2, 0x3fb8aa3b, v1
	v_cmp_ngt_f32_e32 vcc_lo, 0xc2ce8ed0, v1
	v_fma_f32 v5, 0x3fb8aa3b, v1, -v2
	v_rndne_f32_e32 v6, v2
	s_delay_alu instid0(VALU_DEP_1) | instskip(NEXT) | instid1(VALU_DEP_1)
	v_dual_fmac_f32 v5, 0x32a5705f, v1 :: v_dual_sub_f32 v2, v2, v6
	v_add_f32_e32 v2, v2, v5
	v_cvt_i32_f32_e32 v5, v6
	s_delay_alu instid0(VALU_DEP_2) | instskip(SKIP_2) | instid1(VALU_DEP_1)
	v_exp_f32_e32 v2, v2
	s_waitcnt_depctr 0xfff
	v_ldexp_f32 v2, v2, v5
	v_cndmask_b32_e32 v2, 0, v2, vcc_lo
	v_cmp_nlt_f32_e32 vcc_lo, 0x42b17218, v1
	s_delay_alu instid0(VALU_DEP_2) | instskip(NEXT) | instid1(VALU_DEP_1)
	v_cndmask_b32_e32 v1, 0x7f800000, v2, vcc_lo
	v_dual_add_f32 v0, v0, v1 :: v_dual_sub_f32 v1, v3, v7
	s_delay_alu instid0(VALU_DEP_1) | instskip(SKIP_1) | instid1(VALU_DEP_2)
	v_mul_f32_e32 v2, 0x3fb8aa3b, v1
	v_cmp_ngt_f32_e32 vcc_lo, 0xc2ce8ed0, v1
	v_fma_f32 v3, 0x3fb8aa3b, v1, -v2
	v_rndne_f32_e32 v5, v2
	s_delay_alu instid0(VALU_DEP_2) | instskip(NEXT) | instid1(VALU_DEP_2)
	v_fmac_f32_e32 v3, 0x32a5705f, v1
	v_sub_f32_e32 v2, v2, v5
	s_delay_alu instid0(VALU_DEP_1) | instskip(SKIP_1) | instid1(VALU_DEP_2)
	v_add_f32_e32 v2, v2, v3
	v_cvt_i32_f32_e32 v3, v5
	v_exp_f32_e32 v2, v2
	s_waitcnt_depctr 0xfff
	v_ldexp_f32 v2, v2, v3
	s_delay_alu instid0(VALU_DEP_1) | instskip(SKIP_1) | instid1(VALU_DEP_2)
	v_cndmask_b32_e32 v2, 0, v2, vcc_lo
	v_cmp_nlt_f32_e32 vcc_lo, 0x42b17218, v1
	v_cndmask_b32_e32 v1, 0x7f800000, v2, vcc_lo
	s_delay_alu instid0(VALU_DEP_1) | instskip(SKIP_1) | instid1(VALU_DEP_1)
	v_add_f32_e32 v0, v0, v1
	v_sub_f32_e32 v1, v4, v7
	v_mul_f32_e32 v2, 0x3fb8aa3b, v1
	v_cmp_ngt_f32_e32 vcc_lo, 0xc2ce8ed0, v1
	s_delay_alu instid0(VALU_DEP_2) | instskip(SKIP_1) | instid1(VALU_DEP_1)
	v_fma_f32 v3, 0x3fb8aa3b, v1, -v2
	v_rndne_f32_e32 v4, v2
	v_dual_fmac_f32 v3, 0x32a5705f, v1 :: v_dual_sub_f32 v2, v2, v4
	s_delay_alu instid0(VALU_DEP_1) | instskip(SKIP_1) | instid1(VALU_DEP_2)
	v_add_f32_e32 v2, v2, v3
	v_cvt_i32_f32_e32 v3, v4
	v_exp_f32_e32 v2, v2
	s_waitcnt_depctr 0xfff
	v_ldexp_f32 v2, v2, v3
	s_delay_alu instid0(VALU_DEP_1) | instskip(SKIP_1) | instid1(VALU_DEP_2)
	v_cndmask_b32_e32 v2, 0, v2, vcc_lo
	v_cmp_nlt_f32_e32 vcc_lo, 0x42b17218, v1
	v_cndmask_b32_e32 v1, 0x7f800000, v2, vcc_lo
	s_delay_alu instid0(VALU_DEP_1) | instskip(SKIP_4) | instid1(VALU_DEP_2)
	v_add_f32_e32 v4, v0, v1
	scratch_load_b128 v[0:3], off, off offset:100
	s_waitcnt vmcnt(0)
	v_sub_f32_e32 v0, v0, v7
	v_sub_f32_e32 v1, v1, v7
	v_mul_f32_e32 v5, 0x3fb8aa3b, v0
	v_cmp_ngt_f32_e32 vcc_lo, 0xc2ce8ed0, v0
	s_delay_alu instid0(VALU_DEP_2) | instskip(SKIP_1) | instid1(VALU_DEP_1)
	v_fma_f32 v6, 0x3fb8aa3b, v0, -v5
	v_rndne_f32_e32 v11, v5
	v_dual_fmac_f32 v6, 0x32a5705f, v0 :: v_dual_sub_f32 v5, v5, v11
	s_delay_alu instid0(VALU_DEP_1) | instskip(SKIP_1) | instid1(VALU_DEP_2)
	v_add_f32_e32 v5, v5, v6
	v_cvt_i32_f32_e32 v6, v11
	v_exp_f32_e32 v5, v5
	s_waitcnt_depctr 0xfff
	v_ldexp_f32 v5, v5, v6
	s_delay_alu instid0(VALU_DEP_1) | instskip(SKIP_1) | instid1(VALU_DEP_2)
	v_cndmask_b32_e32 v5, 0, v5, vcc_lo
	v_cmp_nlt_f32_e32 vcc_lo, 0x42b17218, v0
	v_cndmask_b32_e32 v0, 0x7f800000, v5, vcc_lo
	v_cmp_ngt_f32_e32 vcc_lo, 0xc2ce8ed0, v1
	s_delay_alu instid0(VALU_DEP_2) | instskip(SKIP_1) | instid1(VALU_DEP_1)
	v_add_f32_e32 v0, v4, v0
	v_mul_f32_e32 v4, 0x3fb8aa3b, v1
	v_fma_f32 v5, 0x3fb8aa3b, v1, -v4
	v_rndne_f32_e32 v6, v4
	s_delay_alu instid0(VALU_DEP_1) | instskip(NEXT) | instid1(VALU_DEP_1)
	v_dual_fmac_f32 v5, 0x32a5705f, v1 :: v_dual_sub_f32 v4, v4, v6
	v_add_f32_e32 v4, v4, v5
	v_cvt_i32_f32_e32 v5, v6
	s_delay_alu instid0(VALU_DEP_2) | instskip(SKIP_2) | instid1(VALU_DEP_1)
	v_exp_f32_e32 v4, v4
	s_waitcnt_depctr 0xfff
	v_ldexp_f32 v4, v4, v5
	v_cndmask_b32_e32 v4, 0, v4, vcc_lo
	v_cmp_nlt_f32_e32 vcc_lo, 0x42b17218, v1
	s_delay_alu instid0(VALU_DEP_2) | instskip(NEXT) | instid1(VALU_DEP_1)
	v_cndmask_b32_e32 v1, 0x7f800000, v4, vcc_lo
	v_dual_add_f32 v0, v0, v1 :: v_dual_sub_f32 v1, v2, v7
	s_delay_alu instid0(VALU_DEP_1) | instskip(SKIP_1) | instid1(VALU_DEP_2)
	v_mul_f32_e32 v2, 0x3fb8aa3b, v1
	v_cmp_ngt_f32_e32 vcc_lo, 0xc2ce8ed0, v1
	v_fma_f32 v4, 0x3fb8aa3b, v1, -v2
	v_rndne_f32_e32 v5, v2
	s_delay_alu instid0(VALU_DEP_2) | instskip(NEXT) | instid1(VALU_DEP_2)
	v_fmac_f32_e32 v4, 0x32a5705f, v1
	v_sub_f32_e32 v2, v2, v5
	s_delay_alu instid0(VALU_DEP_1) | instskip(SKIP_1) | instid1(VALU_DEP_2)
	v_add_f32_e32 v2, v2, v4
	v_cvt_i32_f32_e32 v4, v5
	v_exp_f32_e32 v2, v2
	s_waitcnt_depctr 0xfff
	v_ldexp_f32 v2, v2, v4
	s_delay_alu instid0(VALU_DEP_1) | instskip(SKIP_1) | instid1(VALU_DEP_2)
	v_cndmask_b32_e32 v2, 0, v2, vcc_lo
	v_cmp_nlt_f32_e32 vcc_lo, 0x42b17218, v1
	v_cndmask_b32_e32 v1, 0x7f800000, v2, vcc_lo
	s_delay_alu instid0(VALU_DEP_1) | instskip(NEXT) | instid1(VALU_DEP_1)
	v_dual_add_f32 v0, v0, v1 :: v_dual_sub_f32 v1, v3, v7
	v_mul_f32_e32 v2, 0x3fb8aa3b, v1
	v_cmp_ngt_f32_e32 vcc_lo, 0xc2ce8ed0, v1
	s_delay_alu instid0(VALU_DEP_2) | instskip(SKIP_1) | instid1(VALU_DEP_1)
	v_fma_f32 v3, 0x3fb8aa3b, v1, -v2
	v_rndne_f32_e32 v4, v2
	v_dual_fmac_f32 v3, 0x32a5705f, v1 :: v_dual_sub_f32 v2, v2, v4
	s_delay_alu instid0(VALU_DEP_1) | instskip(SKIP_1) | instid1(VALU_DEP_2)
	v_add_f32_e32 v2, v2, v3
	v_cvt_i32_f32_e32 v3, v4
	v_exp_f32_e32 v2, v2
	s_waitcnt_depctr 0xfff
	v_ldexp_f32 v2, v2, v3
	s_delay_alu instid0(VALU_DEP_1) | instskip(SKIP_1) | instid1(VALU_DEP_2)
	v_cndmask_b32_e32 v2, 0, v2, vcc_lo
	v_cmp_nlt_f32_e32 vcc_lo, 0x42b17218, v1
	v_cndmask_b32_e32 v1, 0x7f800000, v2, vcc_lo
	s_delay_alu instid0(VALU_DEP_1) | instskip(SKIP_3) | instid1(VALU_DEP_1)
	v_add_f32_e32 v3, v0, v1
	scratch_load_b96 v[0:2], off, off offset:116
	s_waitcnt vmcnt(0)
	v_sub_f32_e32 v0, v0, v7
	v_dual_sub_f32 v1, v1, v7 :: v_dual_mul_f32 v4, 0x3fb8aa3b, v0
	v_cmp_ngt_f32_e32 vcc_lo, 0xc2ce8ed0, v0
	s_delay_alu instid0(VALU_DEP_2) | instskip(SKIP_1) | instid1(VALU_DEP_1)
	v_fma_f32 v5, 0x3fb8aa3b, v0, -v4
	v_rndne_f32_e32 v6, v4
	v_dual_fmac_f32 v5, 0x32a5705f, v0 :: v_dual_sub_f32 v4, v4, v6
	s_delay_alu instid0(VALU_DEP_1) | instskip(SKIP_1) | instid1(VALU_DEP_2)
	v_add_f32_e32 v4, v4, v5
	v_cvt_i32_f32_e32 v5, v6
	v_exp_f32_e32 v4, v4
	s_waitcnt_depctr 0xfff
	v_ldexp_f32 v4, v4, v5
	s_delay_alu instid0(VALU_DEP_1) | instskip(SKIP_1) | instid1(VALU_DEP_2)
	v_cndmask_b32_e32 v4, 0, v4, vcc_lo
	v_cmp_nlt_f32_e32 vcc_lo, 0x42b17218, v0
	v_cndmask_b32_e32 v0, 0x7f800000, v4, vcc_lo
	v_cmp_ngt_f32_e32 vcc_lo, 0xc2ce8ed0, v1
	s_delay_alu instid0(VALU_DEP_2) | instskip(NEXT) | instid1(VALU_DEP_1)
	v_dual_add_f32 v0, v3, v0 :: v_dual_mul_f32 v3, 0x3fb8aa3b, v1
	v_fma_f32 v4, 0x3fb8aa3b, v1, -v3
	v_rndne_f32_e32 v5, v3
	s_delay_alu instid0(VALU_DEP_2) | instskip(NEXT) | instid1(VALU_DEP_2)
	v_fmac_f32_e32 v4, 0x32a5705f, v1
	v_sub_f32_e32 v3, v3, v5
	s_delay_alu instid0(VALU_DEP_1) | instskip(SKIP_1) | instid1(VALU_DEP_2)
	v_add_f32_e32 v3, v3, v4
	v_cvt_i32_f32_e32 v4, v5
	v_exp_f32_e32 v3, v3
	s_waitcnt_depctr 0xfff
	v_ldexp_f32 v3, v3, v4
	s_delay_alu instid0(VALU_DEP_1) | instskip(SKIP_1) | instid1(VALU_DEP_2)
	v_cndmask_b32_e32 v3, 0, v3, vcc_lo
	v_cmp_nlt_f32_e32 vcc_lo, 0x42b17218, v1
	v_cndmask_b32_e32 v1, 0x7f800000, v3, vcc_lo
	s_delay_alu instid0(VALU_DEP_1) | instskip(NEXT) | instid1(VALU_DEP_1)
	v_dual_add_f32 v0, v0, v1 :: v_dual_sub_f32 v1, v2, v7
	v_mul_f32_e32 v2, 0x3fb8aa3b, v1
	v_cmp_ngt_f32_e32 vcc_lo, 0xc2ce8ed0, v1
	s_delay_alu instid0(VALU_DEP_2) | instskip(SKIP_1) | instid1(VALU_DEP_1)
	v_fma_f32 v3, 0x3fb8aa3b, v1, -v2
	v_rndne_f32_e32 v4, v2
	v_dual_fmac_f32 v3, 0x32a5705f, v1 :: v_dual_sub_f32 v2, v2, v4
	s_delay_alu instid0(VALU_DEP_1) | instskip(SKIP_1) | instid1(VALU_DEP_2)
	v_add_f32_e32 v2, v2, v3
	v_cvt_i32_f32_e32 v3, v4
	v_exp_f32_e32 v2, v2
	s_waitcnt_depctr 0xfff
	v_ldexp_f32 v2, v2, v3
	s_delay_alu instid0(VALU_DEP_1) | instskip(SKIP_1) | instid1(VALU_DEP_2)
	v_cndmask_b32_e32 v2, 0, v2, vcc_lo
	v_cmp_nlt_f32_e32 vcc_lo, 0x42b17218, v1
	v_cndmask_b32_e32 v1, 0x7f800000, v2, vcc_lo
	v_cmp_eq_u32_e32 vcc_lo, 0, v9
	s_delay_alu instid0(VALU_DEP_2) | instskip(NEXT) | instid1(VALU_DEP_1)
	v_add_f32_e32 v0, v0, v1
	v_mov_b32_dpp v1, v0 quad_perm:[1,0,3,2] row_mask:0xf bank_mask:0xf
	s_delay_alu instid0(VALU_DEP_1) | instskip(NEXT) | instid1(VALU_DEP_1)
	v_add_f32_e32 v0, v0, v1
	v_mov_b32_dpp v1, v0 quad_perm:[2,3,0,1] row_mask:0xf bank_mask:0xf
	s_delay_alu instid0(VALU_DEP_1) | instskip(NEXT) | instid1(VALU_DEP_1)
	v_add_f32_e32 v0, v0, v1
	v_mov_b32_dpp v1, v0 row_half_mirror row_mask:0xf bank_mask:0xf
	s_delay_alu instid0(VALU_DEP_1) | instskip(NEXT) | instid1(VALU_DEP_1)
	v_add_f32_e32 v0, v0, v1
	v_mov_b32_dpp v1, v0 row_mirror row_mask:0xf bank_mask:0xf
	s_and_b32 exec_lo, exec_lo, vcc_lo
	s_cbranch_execz .LBB299_22
; %bb.18:
	s_delay_alu instid0(VALU_DEP_1) | instskip(NEXT) | instid1(VALU_DEP_1)
	v_add_f32_e32 v0, v0, v1
	v_add_f32_e32 v0, v10, v0
	s_delay_alu instid0(VALU_DEP_1)
	v_cmp_neq_f32_e32 vcc_lo, 0, v0
	s_and_b32 exec_lo, exec_lo, vcc_lo
	s_cbranch_execz .LBB299_22
; %bb.19:
	s_and_not1_b32 vcc_lo, exec_lo, s3
	s_cbranch_vccnz .LBB299_22
; %bb.20:
	v_div_scale_f32 v2, null, v0, v0, 1.0
	v_div_scale_f32 v4, vcc_lo, 1.0, v0, 1.0
	s_delay_alu instid0(VALU_DEP_2) | instskip(SKIP_2) | instid1(VALU_DEP_1)
	v_rcp_f32_e32 v3, v2
	s_waitcnt_depctr 0xfff
	v_fma_f32 v1, -v2, v3, 1.0
	v_fmac_f32_e32 v3, v1, v3
	v_mul_lo_u32 v1, v8, s11
	s_delay_alu instid0(VALU_DEP_2) | instskip(NEXT) | instid1(VALU_DEP_1)
	v_mul_f32_e32 v5, v4, v3
	v_fma_f32 v6, -v2, v5, v4
	s_delay_alu instid0(VALU_DEP_1) | instskip(NEXT) | instid1(VALU_DEP_1)
	v_fmac_f32_e32 v5, v6, v3
	v_fma_f32 v4, -v2, v5, v4
	v_ashrrev_i32_e32 v2, 31, v1
	s_delay_alu instid0(VALU_DEP_2) | instskip(NEXT) | instid1(VALU_DEP_2)
	v_div_fmas_f32 v5, v4, v3, v5
	v_lshlrev_b64 v[3:4], 2, v[1:2]
	s_delay_alu instid0(VALU_DEP_2) | instskip(NEXT) | instid1(VALU_DEP_2)
	v_div_fixup_f32 v2, v5, v0, 1.0
	v_add_co_u32 v0, vcc_lo, s12, v3
	s_delay_alu instid0(VALU_DEP_3)
	v_add_co_ci_u32_e32 v1, vcc_lo, s13, v4, vcc_lo
.LBB299_21:                             ; =>This Inner Loop Header: Depth=1
	global_load_b32 v3, v[0:1], off
	s_add_i32 s8, s8, -1
	s_delay_alu instid0(SALU_CYCLE_1)
	s_cmp_lg_u32 s8, 0
	s_waitcnt vmcnt(0)
	v_mul_f32_e32 v3, v2, v3
	global_store_b32 v[0:1], v3, off
	v_add_co_u32 v0, vcc_lo, v0, 4
	v_add_co_ci_u32_e32 v1, vcc_lo, 0, v1, vcc_lo
	s_cbranch_scc1 .LBB299_21
.LBB299_22:
	s_endpgm
	.section	.rodata,"a",@progbits
	.p2align	6, 0x0
	.amdhsa_kernel _ZN4vllm3moe17topkGatingSoftmaxItLi32ELi512ELi2ELi64ELb0ELi0ELNS0_23SharedExpertScoringFuncE0EEEvPKT_PKbPfiPiS9_iiiiii
		.amdhsa_group_segment_fixed_size 0
		.amdhsa_private_segment_fixed_size 144
		.amdhsa_kernarg_size 72
		.amdhsa_user_sgpr_count 15
		.amdhsa_user_sgpr_dispatch_ptr 0
		.amdhsa_user_sgpr_queue_ptr 0
		.amdhsa_user_sgpr_kernarg_segment_ptr 1
		.amdhsa_user_sgpr_dispatch_id 0
		.amdhsa_user_sgpr_private_segment_size 0
		.amdhsa_wavefront_size32 1
		.amdhsa_uses_dynamic_stack 0
		.amdhsa_enable_private_segment 1
		.amdhsa_system_sgpr_workgroup_id_x 1
		.amdhsa_system_sgpr_workgroup_id_y 0
		.amdhsa_system_sgpr_workgroup_id_z 0
		.amdhsa_system_sgpr_workgroup_info 0
		.amdhsa_system_vgpr_workitem_id 1
		.amdhsa_next_free_vgpr 77
		.amdhsa_next_free_sgpr 19
		.amdhsa_reserve_vcc 1
		.amdhsa_float_round_mode_32 0
		.amdhsa_float_round_mode_16_64 0
		.amdhsa_float_denorm_mode_32 3
		.amdhsa_float_denorm_mode_16_64 3
		.amdhsa_dx10_clamp 1
		.amdhsa_ieee_mode 1
		.amdhsa_fp16_overflow 0
		.amdhsa_workgroup_processor_mode 1
		.amdhsa_memory_ordered 1
		.amdhsa_forward_progress 0
		.amdhsa_shared_vgpr_count 0
		.amdhsa_exception_fp_ieee_invalid_op 0
		.amdhsa_exception_fp_denorm_src 0
		.amdhsa_exception_fp_ieee_div_zero 0
		.amdhsa_exception_fp_ieee_overflow 0
		.amdhsa_exception_fp_ieee_underflow 0
		.amdhsa_exception_fp_ieee_inexact 0
		.amdhsa_exception_int_div_zero 0
	.end_amdhsa_kernel
	.section	.text._ZN4vllm3moe17topkGatingSoftmaxItLi32ELi512ELi2ELi64ELb0ELi0ELNS0_23SharedExpertScoringFuncE0EEEvPKT_PKbPfiPiS9_iiiiii,"axG",@progbits,_ZN4vllm3moe17topkGatingSoftmaxItLi32ELi512ELi2ELi64ELb0ELi0ELNS0_23SharedExpertScoringFuncE0EEEvPKT_PKbPfiPiS9_iiiiii,comdat
.Lfunc_end299:
	.size	_ZN4vllm3moe17topkGatingSoftmaxItLi32ELi512ELi2ELi64ELb0ELi0ELNS0_23SharedExpertScoringFuncE0EEEvPKT_PKbPfiPiS9_iiiiii, .Lfunc_end299-_ZN4vllm3moe17topkGatingSoftmaxItLi32ELi512ELi2ELi64ELb0ELi0ELNS0_23SharedExpertScoringFuncE0EEEvPKT_PKbPfiPiS9_iiiiii
                                        ; -- End function
	.section	.AMDGPU.csdata,"",@progbits
; Kernel info:
; codeLenInByte = 7952
; NumSgprs: 21
; NumVgprs: 77
; ScratchSize: 144
; MemoryBound: 0
; FloatMode: 240
; IeeeMode: 1
; LDSByteSize: 0 bytes/workgroup (compile time only)
; SGPRBlocks: 2
; VGPRBlocks: 9
; NumSGPRsForWavesPerEU: 21
; NumVGPRsForWavesPerEU: 77
; Occupancy: 16
; WaveLimiterHint : 0
; COMPUTE_PGM_RSRC2:SCRATCH_EN: 1
; COMPUTE_PGM_RSRC2:USER_SGPR: 15
; COMPUTE_PGM_RSRC2:TRAP_HANDLER: 0
; COMPUTE_PGM_RSRC2:TGID_X_EN: 1
; COMPUTE_PGM_RSRC2:TGID_Y_EN: 0
; COMPUTE_PGM_RSRC2:TGID_Z_EN: 0
; COMPUTE_PGM_RSRC2:TIDIG_COMP_CNT: 1
	.section	.text._ZN4vllm3moe17topkGatingSoftmaxItLi32ELi512ELi2ELi64ELb1ELi1ELNS0_23SharedExpertScoringFuncE1EEEvPKT_PKbPfiPiS9_iiiiii,"axG",@progbits,_ZN4vllm3moe17topkGatingSoftmaxItLi32ELi512ELi2ELi64ELb1ELi1ELNS0_23SharedExpertScoringFuncE1EEEvPKT_PKbPfiPiS9_iiiiii,comdat
	.protected	_ZN4vllm3moe17topkGatingSoftmaxItLi32ELi512ELi2ELi64ELb1ELi1ELNS0_23SharedExpertScoringFuncE1EEEvPKT_PKbPfiPiS9_iiiiii ; -- Begin function _ZN4vllm3moe17topkGatingSoftmaxItLi32ELi512ELi2ELi64ELb1ELi1ELNS0_23SharedExpertScoringFuncE1EEEvPKT_PKbPfiPiS9_iiiiii
	.globl	_ZN4vllm3moe17topkGatingSoftmaxItLi32ELi512ELi2ELi64ELb1ELi1ELNS0_23SharedExpertScoringFuncE1EEEvPKT_PKbPfiPiS9_iiiiii
	.p2align	8
	.type	_ZN4vllm3moe17topkGatingSoftmaxItLi32ELi512ELi2ELi64ELb1ELi1ELNS0_23SharedExpertScoringFuncE1EEEvPKT_PKbPfiPiS9_iiiiii,@function
_ZN4vllm3moe17topkGatingSoftmaxItLi32ELi512ELi2ELi64ELb1ELi1ELNS0_23SharedExpertScoringFuncE1EEEvPKT_PKbPfiPiS9_iiiiii: ; @_ZN4vllm3moe17topkGatingSoftmaxItLi32ELi512ELi2ELi64ELb1ELi1ELNS0_23SharedExpertScoringFuncE1EEEvPKT_PKbPfiPiS9_iiiiii
; %bb.0:
	s_load_b32 s16, s[0:1], 0x18
	v_bfe_u32 v1, v0, 10, 10
	v_and_b32_e32 v0, 0x3ff, v0
	s_lshl_b32 s18, s15, 2
	s_mov_b32 s2, exec_lo
	s_delay_alu instid0(VALU_DEP_2) | instskip(NEXT) | instid1(VALU_DEP_2)
	v_lshlrev_b32_e32 v30, 1, v1
	v_lshrrev_b32_e32 v31, 4, v0
	s_delay_alu instid0(VALU_DEP_1) | instskip(SKIP_1) | instid1(VALU_DEP_1)
	v_add3_u32 v26, s18, v30, v31
	s_waitcnt lgkmcnt(0)
	v_cmpx_gt_i32_e64 s16, v26
	s_cbranch_execz .LBB300_22
; %bb.1:
	s_clause 0x1
	s_load_b128 s[4:7], s[0:1], 0x0
	s_load_b64 s[12:13], s[0:1], 0x10
	s_waitcnt lgkmcnt(0)
	s_cmp_eq_u64 s[6:7], 0
	s_cbranch_scc1 .LBB300_3
; %bb.2:
	v_ashrrev_i32_e32 v2, 31, v26
	v_add_co_u32 v1, vcc_lo, s6, v26
	s_delay_alu instid0(VALU_DEP_2) | instskip(SKIP_3) | instid1(VALU_DEP_1)
	v_add_co_ci_u32_e32 v2, vcc_lo, s7, v2, vcc_lo
	global_load_u8 v1, v[1:2], off
	s_waitcnt vmcnt(0)
	v_and_b32_e32 v1, 1, v1
	v_cmp_eq_u32_e32 vcc_lo, 1, v1
	s_xor_b32 s2, vcc_lo, -1
	s_delay_alu instid0(SALU_CYCLE_1)
	s_or_not1_b32 s17, s2, exec_lo
	s_branch .LBB300_4
.LBB300_3:
	s_mov_b32 s17, -1
.LBB300_4:
	s_clause 0x1
	s_load_b64 s[14:15], s[0:1], 0x40
	s_load_b128 s[8:11], s[0:1], 0x30
	v_and_b32_e32 v27, 15, v0
	s_delay_alu instid0(VALU_DEP_1) | instskip(SKIP_3) | instid1(VALU_DEP_1)
	v_dual_mov_b32 v29, 0 :: v_dual_lshlrev_b32 v28, 5, v27
	v_cmp_eq_u32_e64 s2, 0, v27
	s_waitcnt lgkmcnt(0)
	v_mul_lo_u32 v1, v26, s15
	v_ashrrev_i32_e32 v2, 31, v1
	s_delay_alu instid0(VALU_DEP_1) | instskip(SKIP_1) | instid1(VALU_DEP_2)
	v_lshlrev_b64 v[0:1], 1, v[1:2]
	v_lshlrev_b32_e32 v2, 6, v27
	v_add_co_u32 v24, vcc_lo, s4, v0
	s_delay_alu instid0(VALU_DEP_3) | instskip(NEXT) | instid1(VALU_DEP_2)
	v_add_co_ci_u32_e32 v25, vcc_lo, s5, v1, vcc_lo
	v_add_co_u32 v12, vcc_lo, v24, v2
	s_delay_alu instid0(VALU_DEP_2)
	v_add_co_ci_u32_e32 v13, vcc_lo, 0, v25, vcc_lo
	s_clause 0x3
	global_load_b128 v[0:3], v[12:13], off
	global_load_b128 v[4:7], v[12:13], off offset:16
	global_load_b128 v[8:11], v[12:13], off offset:32
	;; [unrolled: 1-line block ×3, first 2 shown]
	s_waitcnt vmcnt(3)
	v_and_b32_e32 v16, 0xffff, v0
	v_lshrrev_b32_e32 v0, 16, v0
	v_and_b32_e32 v17, 0xffff, v1
	v_lshrrev_b32_e32 v1, 16, v1
	v_and_b32_e32 v18, 0xffff, v2
	v_lshrrev_b32_e32 v2, 16, v2
	v_and_b32_e32 v19, 0xffff, v3
	v_lshrrev_b32_e32 v3, 16, v3
	s_waitcnt vmcnt(2)
	v_and_b32_e32 v32, 0xffff, v4
	v_lshrrev_b32_e32 v4, 16, v4
	v_and_b32_e32 v33, 0xffff, v5
	v_lshrrev_b32_e32 v5, 16, v5
	v_and_b32_e32 v34, 0xffff, v6
	v_lshrrev_b32_e32 v6, 16, v6
	v_and_b32_e32 v35, 0xffff, v7
	v_lshrrev_b32_e32 v40, 16, v7
	;; [unrolled: 9-line block ×4, first 2 shown]
	v_cvt_f32_u32_e32 v20, v16
	v_cvt_f32_u32_e32 v21, v0
	;; [unrolled: 1-line block ×32, first 2 shown]
	s_clause 0x7
	scratch_store_b128 off, v[36:39], off offset:112
	scratch_store_b128 off, v[32:35], off offset:96
	;; [unrolled: 1-line block ×7, first 2 shown]
	scratch_store_b128 off, v[20:23], off
	s_and_saveexec_b32 s3, s2
	s_cbranch_execz .LBB300_6
; %bb.5:
	global_load_u16 v1, v[24:25], off offset:1024
	s_waitcnt vmcnt(0)
	v_cvt_f32_u32_e32 v1, v1
	s_delay_alu instid0(VALU_DEP_1) | instskip(SKIP_1) | instid1(VALU_DEP_2)
	v_mul_f32_e32 v2, 0xbfb8aa3b, v1
	v_cmp_nlt_f32_e32 vcc_lo, 0x42ce8ed0, v1
	v_rndne_f32_e32 v3, v2
	v_fma_f32 v24, 0xbfb8aa3b, v1, -v2
	s_delay_alu instid0(VALU_DEP_2) | instskip(NEXT) | instid1(VALU_DEP_2)
	v_sub_f32_e32 v2, v2, v3
	v_fmamk_f32 v24, v1, 0xb2a5705f, v24
	v_cvt_i32_f32_e32 v3, v3
	s_delay_alu instid0(VALU_DEP_2) | instskip(NEXT) | instid1(VALU_DEP_1)
	v_add_f32_e32 v2, v2, v24
	v_exp_f32_e32 v2, v2
	s_waitcnt_depctr 0xfff
	v_ldexp_f32 v2, v2, v3
	s_delay_alu instid0(VALU_DEP_1) | instskip(SKIP_1) | instid1(VALU_DEP_2)
	v_cndmask_b32_e32 v2, 0, v2, vcc_lo
	v_cmp_ngt_f32_e32 vcc_lo, 0xc2b17218, v1
	v_cndmask_b32_e32 v1, 0x7f800000, v2, vcc_lo
	s_delay_alu instid0(VALU_DEP_1) | instskip(NEXT) | instid1(VALU_DEP_1)
	v_add_f32_e32 v3, 1.0, v1
	v_div_scale_f32 v24, null, v3, v3, 1.0
	v_div_scale_f32 v32, vcc_lo, 1.0, v3, 1.0
	s_delay_alu instid0(VALU_DEP_2) | instskip(SKIP_2) | instid1(VALU_DEP_1)
	v_rcp_f32_e32 v25, v24
	s_waitcnt_depctr 0xfff
	v_fma_f32 v1, -v24, v25, 1.0
	v_fmac_f32_e32 v25, v1, v25
	v_mad_u64_u32 v[1:2], null, v26, s11, s[8:9]
	s_delay_alu instid0(VALU_DEP_2) | instskip(NEXT) | instid1(VALU_DEP_2)
	v_mul_f32_e32 v33, v32, v25
	v_ashrrev_i32_e32 v2, 31, v1
	s_delay_alu instid0(VALU_DEP_2) | instskip(NEXT) | instid1(VALU_DEP_2)
	v_fma_f32 v34, -v24, v33, v32
	v_lshlrev_b64 v[1:2], 2, v[1:2]
	s_delay_alu instid0(VALU_DEP_2) | instskip(NEXT) | instid1(VALU_DEP_1)
	v_fmac_f32_e32 v33, v34, v25
	v_fma_f32 v24, -v24, v33, v32
	s_delay_alu instid0(VALU_DEP_1) | instskip(NEXT) | instid1(VALU_DEP_4)
	v_div_fmas_f32 v24, v24, v25, v33
	v_add_co_u32 v1, vcc_lo, s12, v1
	v_add_co_ci_u32_e32 v2, vcc_lo, s13, v2, vcc_lo
	s_delay_alu instid0(VALU_DEP_3)
	v_div_fixup_f32 v3, v24, v3, 1.0
	global_store_b32 v[1:2], v3, off
.LBB300_6:
	s_or_b32 exec_lo, exec_lo, s3
	s_clause 0x2
	scratch_load_b128 v[34:37], off, off offset:84
	scratch_load_b128 v[38:41], off, off offset:100
	scratch_load_b96 v[1:3], off, off offset:116
	v_cmp_lt_f32_e32 vcc_lo, v20, v21
	v_or_b32_e32 v24, 1, v28
	v_or_b32_e32 v33, 21, v28
	;; [unrolled: 1-line block ×4, first 2 shown]
	v_cndmask_b32_e32 v21, v20, v21, vcc_lo
	v_cndmask_b32_e32 v25, v28, v24, vcc_lo
	v_or_b32_e32 v20, 2, v28
	s_delay_alu instid0(VALU_DEP_3) | instskip(SKIP_1) | instid1(VALU_DEP_3)
	v_cmp_lt_f32_e32 vcc_lo, v21, v22
	v_cndmask_b32_e32 v22, v21, v22, vcc_lo
	v_cndmask_b32_e32 v25, v25, v20, vcc_lo
	v_or_b32_e32 v21, 3, v28
	s_delay_alu instid0(VALU_DEP_3) | instskip(SKIP_1) | instid1(VALU_DEP_3)
	v_cmp_lt_f32_e32 vcc_lo, v22, v23
	;; [unrolled: 5-line block ×14, first 2 shown]
	v_cndmask_b32_e32 v23, v23, v11, vcc_lo
	v_cndmask_b32_e32 v25, v25, v10, vcc_lo
	v_or_b32_e32 v11, 16, v28
	s_delay_alu instid0(VALU_DEP_3) | instskip(NEXT) | instid1(VALU_DEP_2)
	v_cmp_lt_f32_e32 vcc_lo, v23, v4
	v_dual_cndmask_b32 v4, v23, v4 :: v_dual_cndmask_b32 v25, v25, v11
	v_or_b32_e32 v23, 17, v28
	s_delay_alu instid0(VALU_DEP_2) | instskip(SKIP_1) | instid1(VALU_DEP_3)
	v_cmp_lt_f32_e32 vcc_lo, v4, v5
	v_cndmask_b32_e32 v4, v4, v5, vcc_lo
	v_cndmask_b32_e32 v32, v25, v23, vcc_lo
	v_or_b32_e32 v25, 18, v28
	s_delay_alu instid0(VALU_DEP_3) | instskip(SKIP_1) | instid1(VALU_DEP_3)
	v_cmp_lt_f32_e32 vcc_lo, v4, v6
	v_cndmask_b32_e32 v4, v4, v6, vcc_lo
	v_cndmask_b32_e32 v5, v32, v25, vcc_lo
	v_or_b32_e32 v32, 19, v28
	s_delay_alu instid0(VALU_DEP_3) | instskip(NEXT) | instid1(VALU_DEP_2)
	v_cmp_lt_f32_e32 vcc_lo, v4, v7
	v_dual_cndmask_b32 v4, v4, v7 :: v_dual_cndmask_b32 v5, v5, v32
	v_or_b32_e32 v7, 20, v28
	s_delay_alu instid0(VALU_DEP_2) | instskip(NEXT) | instid1(VALU_DEP_2)
	v_cmp_lt_f32_e32 vcc_lo, v4, v0
	v_dual_cndmask_b32 v0, v4, v0 :: v_dual_cndmask_b32 v5, v5, v7
	s_waitcnt vmcnt(2)
	s_delay_alu instid0(VALU_DEP_1) | instskip(SKIP_1) | instid1(VALU_DEP_3)
	v_cmp_lt_f32_e32 vcc_lo, v0, v34
	v_cndmask_b32_e32 v0, v0, v34, vcc_lo
	v_cndmask_b32_e32 v4, v5, v33, vcc_lo
	v_or_b32_e32 v34, 22, v28
	s_delay_alu instid0(VALU_DEP_3) | instskip(SKIP_1) | instid1(VALU_DEP_3)
	v_cmp_lt_f32_e32 vcc_lo, v0, v35
	v_cndmask_b32_e32 v0, v0, v35, vcc_lo
	v_cndmask_b32_e32 v4, v4, v34, vcc_lo
	v_or_b32_e32 v35, 23, v28
	s_delay_alu instid0(VALU_DEP_3) | instskip(SKIP_1) | instid1(VALU_DEP_3)
	;; [unrolled: 5-line block ×3, first 2 shown]
	v_cmp_lt_f32_e32 vcc_lo, v0, v37
	v_cndmask_b32_e32 v0, v0, v37, vcc_lo
	v_cndmask_b32_e32 v4, v4, v36, vcc_lo
	v_or_b32_e32 v37, 25, v28
	s_waitcnt vmcnt(1)
	s_delay_alu instid0(VALU_DEP_3) | instskip(SKIP_1) | instid1(VALU_DEP_3)
	v_cmp_lt_f32_e32 vcc_lo, v0, v38
	v_cndmask_b32_e32 v0, v0, v38, vcc_lo
	v_cndmask_b32_e32 v4, v4, v37, vcc_lo
	v_or_b32_e32 v38, 26, v28
	s_delay_alu instid0(VALU_DEP_3) | instskip(SKIP_1) | instid1(VALU_DEP_3)
	v_cmp_lt_f32_e32 vcc_lo, v0, v39
	v_cndmask_b32_e32 v0, v0, v39, vcc_lo
	v_cndmask_b32_e32 v4, v4, v38, vcc_lo
	v_or_b32_e32 v39, 27, v28
	;; [unrolled: 5-line block ×4, first 2 shown]
	s_waitcnt vmcnt(0)
	s_delay_alu instid0(VALU_DEP_3) | instskip(SKIP_1) | instid1(VALU_DEP_3)
	v_cmp_lt_f32_e32 vcc_lo, v0, v1
	v_cndmask_b32_e32 v0, v0, v1, vcc_lo
	v_cndmask_b32_e32 v4, v4, v41, vcc_lo
	s_delay_alu instid0(VALU_DEP_2) | instskip(SKIP_1) | instid1(VALU_DEP_3)
	v_cmp_lt_f32_e32 vcc_lo, v0, v2
	v_cndmask_b32_e32 v0, v0, v2, vcc_lo
	v_cndmask_b32_e32 v1, v4, v42, vcc_lo
	s_delay_alu instid0(VALU_DEP_2) | instskip(NEXT) | instid1(VALU_DEP_2)
	v_cmp_lt_f32_e32 vcc_lo, v0, v3
	v_cndmask_b32_e32 v1, v1, v43, vcc_lo
	v_cndmask_b32_e32 v0, v0, v3, vcc_lo
	s_delay_alu instid0(VALU_DEP_2) | instskip(NEXT) | instid1(VALU_DEP_2)
	v_mov_b32_dpp v2, v1 quad_perm:[1,0,3,2] row_mask:0xf bank_mask:0xf
	v_mov_b32_dpp v3, v0 quad_perm:[1,0,3,2] row_mask:0xf bank_mask:0xf
	s_delay_alu instid0(VALU_DEP_2) | instskip(NEXT) | instid1(VALU_DEP_2)
	v_cmp_lt_i32_e32 vcc_lo, v2, v1
	v_cmp_eq_f32_e64 s3, v0, v3
	v_cmp_lt_f32_e64 s4, v0, v3
	s_delay_alu instid0(VALU_DEP_2)
	s_and_b32 s3, s3, vcc_lo
	s_delay_alu instid0(VALU_DEP_1) | instid1(SALU_CYCLE_1)
	s_or_b32 vcc_lo, s4, s3
	v_dual_cndmask_b32 v0, v0, v3 :: v_dual_cndmask_b32 v1, v1, v2
	s_delay_alu instid0(VALU_DEP_1) | instskip(NEXT) | instid1(VALU_DEP_2)
	v_mov_b32_dpp v2, v0 quad_perm:[2,3,0,1] row_mask:0xf bank_mask:0xf
	v_mov_b32_dpp v3, v1 quad_perm:[2,3,0,1] row_mask:0xf bank_mask:0xf
	s_delay_alu instid0(VALU_DEP_2) | instskip(NEXT) | instid1(VALU_DEP_2)
	v_cmp_eq_f32_e32 vcc_lo, v0, v2
	v_cmp_lt_i32_e64 s3, v3, v1
	v_cmp_lt_f32_e64 s4, v0, v2
	s_delay_alu instid0(VALU_DEP_2)
	s_and_b32 s3, vcc_lo, s3
	s_delay_alu instid0(VALU_DEP_1) | instid1(SALU_CYCLE_1)
	s_or_b32 vcc_lo, s4, s3
	v_dual_cndmask_b32 v0, v0, v2 :: v_dual_cndmask_b32 v1, v1, v3
	s_delay_alu instid0(VALU_DEP_1) | instskip(NEXT) | instid1(VALU_DEP_2)
	v_mov_b32_dpp v2, v0 row_half_mirror row_mask:0xf bank_mask:0xf
	v_mov_b32_dpp v3, v1 row_half_mirror row_mask:0xf bank_mask:0xf
	s_delay_alu instid0(VALU_DEP_2) | instskip(NEXT) | instid1(VALU_DEP_2)
	v_cmp_eq_f32_e32 vcc_lo, v0, v2
	v_cmp_lt_i32_e64 s3, v3, v1
	v_cmp_lt_f32_e64 s4, v0, v2
	s_delay_alu instid0(VALU_DEP_2)
	s_and_b32 s3, vcc_lo, s3
	s_delay_alu instid0(VALU_DEP_1) | instid1(SALU_CYCLE_1)
	s_or_b32 vcc_lo, s4, s3
	s_cmp_gt_i32 s8, 0
	v_cndmask_b32_e32 v2, v0, v2, vcc_lo
	v_cndmask_b32_e32 v0, v1, v3, vcc_lo
	s_cselect_b32 s3, -1, 0
	s_delay_alu instid0(SALU_CYCLE_1) | instskip(NEXT) | instid1(VALU_DEP_2)
	s_and_b32 vcc_lo, exec_lo, s3
	v_mov_b32_dpp v4, v2 row_mirror row_mask:0xf bank_mask:0xf
	s_delay_alu instid0(VALU_DEP_2)
	v_mov_b32_dpp v6, v0 row_mirror row_mask:0xf bank_mask:0xf
	s_cbranch_vccz .LBB300_18
; %bb.7:
	s_load_b128 s[4:7], s[0:1], 0x20
	s_delay_alu instid0(VALU_DEP_2) | instskip(NEXT) | instid1(VALU_DEP_2)
	v_cmp_eq_f32_e32 vcc_lo, v2, v4
	v_cmp_lt_i32_e64 s0, v6, v0
	v_cmp_lt_f32_e64 s1, v2, v4
	v_mul_lo_u32 v1, v26, s11
	v_mul_lo_u32 v3, v26, s14
	;; [unrolled: 1-line block ×3, first 2 shown]
	s_and_b32 s0, vcc_lo, s0
	v_mov_b32_e32 v29, 0
	s_or_b32 vcc_lo, s1, s0
	v_cndmask_b32_e32 v0, v0, v6, vcc_lo
	v_cndmask_b32_e32 v44, v2, v4, vcc_lo
	s_and_saveexec_b32 s1, s2
	s_cbranch_execz .LBB300_9
; %bb.8:
	s_delay_alu instid0(VALU_DEP_1)
	v_sub_f32_e32 v29, v44, v44
	v_cmp_le_i32_e32 vcc_lo, s9, v0
	v_cmp_gt_i32_e64 s0, s10, v0
	v_subrev_nc_u32_e32 v51, s9, v0
	v_ashrrev_i32_e32 v6, 31, v5
	v_mul_f32_e32 v2, 0x3fb8aa3b, v29
	s_delay_alu instid0(VALU_DEP_4) | instskip(NEXT) | instid1(SALU_CYCLE_1)
	s_and_b32 s0, vcc_lo, s0
	s_and_b32 vcc_lo, s17, s0
	s_delay_alu instid0(VALU_DEP_1) | instskip(SKIP_2) | instid1(VALU_DEP_3)
	v_rndne_f32_e32 v47, v2
	v_fma_f32 v4, 0x3fb8aa3b, v29, -v2
	v_lshlrev_b64 v[49:50], 2, v[5:6]
	v_sub_f32_e32 v2, v2, v47
	s_delay_alu instid0(VALU_DEP_3) | instskip(NEXT) | instid1(VALU_DEP_1)
	v_fmamk_f32 v4, v29, 0x32a5705f, v4
	v_add_f32_e32 v4, v2, v4
	v_ashrrev_i32_e32 v2, 31, v1
	s_delay_alu instid0(VALU_DEP_2) | instskip(NEXT) | instid1(VALU_DEP_1)
	v_exp_f32_e32 v52, v4
	v_lshlrev_b64 v[45:46], 2, v[1:2]
	v_ashrrev_i32_e32 v4, 31, v3
	v_cvt_i32_f32_e32 v2, v47
	s_delay_alu instid0(VALU_DEP_2) | instskip(SKIP_3) | instid1(TRANS32_DEP_1)
	v_lshlrev_b64 v[47:48], 2, v[3:4]
	v_cndmask_b32_e32 v4, 0x200, v51, vcc_lo
	v_add_co_u32 v45, vcc_lo, s12, v45
	v_add_co_ci_u32_e32 v46, vcc_lo, s13, v46, vcc_lo
	v_ldexp_f32 v2, v52, v2
	v_cmp_ngt_f32_e32 vcc_lo, 0xc2ce8ed0, v29
	s_delay_alu instid0(VALU_DEP_2)
	v_cndmask_b32_e32 v2, 0, v2, vcc_lo
	s_waitcnt lgkmcnt(0)
	v_add_co_u32 v47, vcc_lo, s4, v47
	v_add_co_ci_u32_e32 v48, vcc_lo, s5, v48, vcc_lo
	v_cmp_nlt_f32_e32 vcc_lo, 0x42b17218, v29
	v_cndmask_b32_e32 v29, 0x7f800000, v2, vcc_lo
	v_add_co_u32 v49, vcc_lo, s6, v49
	v_add_co_ci_u32_e32 v50, vcc_lo, s7, v50, vcc_lo
	global_store_b32 v[47:48], v4, off
	global_store_b32 v[45:46], v29, off
	;; [unrolled: 1-line block ×3, first 2 shown]
.LBB300_9:
	s_or_b32 exec_lo, exec_lo, s1
	v_ashrrev_i32_e32 v4, 31, v0
	s_mov_b32 s0, exec_lo
	s_delay_alu instid0(VALU_DEP_1) | instskip(NEXT) | instid1(VALU_DEP_1)
	v_lshrrev_b32_e32 v2, 27, v4
	v_add_nc_u32_e32 v2, v0, v2
	s_delay_alu instid0(VALU_DEP_1) | instskip(NEXT) | instid1(VALU_DEP_1)
	v_ashrrev_i32_e32 v2, 5, v2
	v_lshrrev_b32_e32 v6, 28, v2
	s_delay_alu instid0(VALU_DEP_1) | instskip(NEXT) | instid1(VALU_DEP_1)
	v_add_nc_u32_e32 v6, v2, v6
	v_and_b32_e32 v6, -16, v6
	s_delay_alu instid0(VALU_DEP_1) | instskip(NEXT) | instid1(VALU_DEP_1)
	v_sub_nc_u32_e32 v6, v2, v6
	v_cmpx_eq_u32_e64 v27, v6
	s_cbranch_execz .LBB300_11
; %bb.10:
	v_lshrrev_b32_e32 v4, 23, v4
	v_lshlrev_b32_e32 v2, 5, v2
	s_delay_alu instid0(VALU_DEP_2) | instskip(NEXT) | instid1(VALU_DEP_2)
	v_add_nc_u32_e32 v4, v0, v4
	v_sub_nc_u32_e32 v0, v0, v2
	s_delay_alu instid0(VALU_DEP_2) | instskip(NEXT) | instid1(VALU_DEP_1)
	v_ashrrev_i32_e32 v2, 9, v4
	v_lshl_add_u32 v0, v2, 5, v0
	v_mov_b32_e32 v2, 0xff800000
	s_delay_alu instid0(VALU_DEP_2)
	v_lshl_add_u32 v0, v0, 2, 0
	scratch_store_b32 v0, v2, off
.LBB300_11:
	s_or_b32 exec_lo, exec_lo, s0
	s_cmp_eq_u32 s8, 1
	s_cbranch_scc1 .LBB300_18
; %bb.12:
	s_add_i32 s18, s18, s16
	v_add_nc_u32_e32 v0, 1, v5
	v_add3_u32 v6, s18, v31, v30
	v_add_nc_u32_e32 v2, 1, v3
	v_add_nc_u32_e32 v4, 1, v1
	v_mov_b32_e32 v30, 0xff800000
	s_add_i32 s14, s8, -1
	s_branch .LBB300_14
.LBB300_13:                             ;   in Loop: Header=BB300_14 Depth=1
	s_or_b32 exec_lo, exec_lo, s0
	v_add_nc_u32_e32 v6, s16, v6
	v_add_nc_u32_e32 v0, 1, v0
	;; [unrolled: 1-line block ×4, first 2 shown]
	s_add_i32 s14, s14, -1
	s_delay_alu instid0(SALU_CYCLE_1)
	s_cmp_eq_u32 s14, 0
	s_cbranch_scc1 .LBB300_18
.LBB300_14:                             ; =>This Inner Loop Header: Depth=1
	s_clause 0x7
	scratch_load_b128 v[45:48], off, off
	scratch_load_b128 v[49:52], off, off offset:16
	scratch_load_b128 v[53:56], off, off offset:32
	;; [unrolled: 1-line block ×7, first 2 shown]
	s_waitcnt vmcnt(7)
	v_cmp_gt_f32_e32 vcc_lo, v46, v45
	v_cndmask_b32_e32 v3, v45, v46, vcc_lo
	v_cndmask_b32_e32 v1, v28, v24, vcc_lo
	s_delay_alu instid0(VALU_DEP_2) | instskip(SKIP_1) | instid1(VALU_DEP_3)
	v_cmp_gt_f32_e32 vcc_lo, v47, v3
	v_cndmask_b32_e32 v3, v3, v47, vcc_lo
	v_cndmask_b32_e32 v1, v1, v20, vcc_lo
	s_delay_alu instid0(VALU_DEP_2) | instskip(SKIP_1) | instid1(VALU_DEP_3)
	v_cmp_gt_f32_e32 vcc_lo, v48, v3
	v_cndmask_b32_e32 v3, v3, v48, vcc_lo
	v_cndmask_b32_e32 v1, v1, v21, vcc_lo
	s_waitcnt vmcnt(6)
	s_delay_alu instid0(VALU_DEP_2) | instskip(SKIP_1) | instid1(VALU_DEP_3)
	v_cmp_gt_f32_e32 vcc_lo, v49, v3
	v_cndmask_b32_e32 v3, v3, v49, vcc_lo
	v_cndmask_b32_e32 v1, v1, v22, vcc_lo
	s_delay_alu instid0(VALU_DEP_2) | instskip(SKIP_1) | instid1(VALU_DEP_3)
	v_cmp_gt_f32_e32 vcc_lo, v50, v3
	v_cndmask_b32_e32 v3, v3, v50, vcc_lo
	v_cndmask_b32_e32 v1, v1, v16, vcc_lo
	s_delay_alu instid0(VALU_DEP_2) | instskip(SKIP_1) | instid1(VALU_DEP_3)
	v_cmp_gt_f32_e32 vcc_lo, v51, v3
	v_cndmask_b32_e32 v3, v3, v51, vcc_lo
	v_cndmask_b32_e32 v1, v1, v17, vcc_lo
	s_delay_alu instid0(VALU_DEP_2) | instskip(SKIP_1) | instid1(VALU_DEP_3)
	v_cmp_gt_f32_e32 vcc_lo, v52, v3
	v_cndmask_b32_e32 v3, v3, v52, vcc_lo
	v_cndmask_b32_e32 v1, v1, v18, vcc_lo
	s_waitcnt vmcnt(5)
	s_delay_alu instid0(VALU_DEP_2) | instskip(SKIP_1) | instid1(VALU_DEP_3)
	v_cmp_gt_f32_e32 vcc_lo, v53, v3
	v_cndmask_b32_e32 v3, v3, v53, vcc_lo
	v_cndmask_b32_e32 v1, v1, v19, vcc_lo
	s_delay_alu instid0(VALU_DEP_2) | instskip(SKIP_1) | instid1(VALU_DEP_3)
	;; [unrolled: 17-line block ×7, first 2 shown]
	v_cmp_gt_f32_e32 vcc_lo, v74, v3
	v_cndmask_b32_e32 v3, v3, v74, vcc_lo
	v_cndmask_b32_e32 v1, v1, v41, vcc_lo
	s_delay_alu instid0(VALU_DEP_2) | instskip(SKIP_1) | instid1(VALU_DEP_3)
	v_cmp_gt_f32_e32 vcc_lo, v75, v3
	v_cndmask_b32_e32 v3, v3, v75, vcc_lo
	v_cndmask_b32_e32 v1, v1, v42, vcc_lo
	s_delay_alu instid0(VALU_DEP_2) | instskip(NEXT) | instid1(VALU_DEP_2)
	v_cmp_gt_f32_e32 vcc_lo, v76, v3
	v_cndmask_b32_e32 v1, v1, v43, vcc_lo
	v_cndmask_b32_e32 v3, v3, v76, vcc_lo
	s_delay_alu instid0(VALU_DEP_2) | instskip(NEXT) | instid1(VALU_DEP_2)
	v_mov_b32_dpp v5, v1 quad_perm:[1,0,3,2] row_mask:0xf bank_mask:0xf
	v_mov_b32_dpp v31, v3 quad_perm:[1,0,3,2] row_mask:0xf bank_mask:0xf
	s_delay_alu instid0(VALU_DEP_2) | instskip(NEXT) | instid1(VALU_DEP_2)
	v_cmp_lt_i32_e32 vcc_lo, v5, v1
	v_cmp_eq_f32_e64 s0, v3, v31
	v_cmp_lt_f32_e64 s1, v3, v31
	s_delay_alu instid0(VALU_DEP_2)
	s_and_b32 s0, s0, vcc_lo
	s_delay_alu instid0(VALU_DEP_1) | instid1(SALU_CYCLE_1)
	s_or_b32 vcc_lo, s1, s0
	v_cndmask_b32_e32 v3, v3, v31, vcc_lo
	v_cndmask_b32_e32 v1, v1, v5, vcc_lo
	s_delay_alu instid0(VALU_DEP_2) | instskip(NEXT) | instid1(VALU_DEP_2)
	v_mov_b32_dpp v5, v3 quad_perm:[2,3,0,1] row_mask:0xf bank_mask:0xf
	v_mov_b32_dpp v31, v1 quad_perm:[2,3,0,1] row_mask:0xf bank_mask:0xf
	s_delay_alu instid0(VALU_DEP_2) | instskip(NEXT) | instid1(VALU_DEP_2)
	v_cmp_eq_f32_e32 vcc_lo, v3, v5
	v_cmp_lt_i32_e64 s0, v31, v1
	v_cmp_lt_f32_e64 s1, v3, v5
	s_delay_alu instid0(VALU_DEP_2)
	s_and_b32 s0, vcc_lo, s0
	s_delay_alu instid0(VALU_DEP_1) | instid1(SALU_CYCLE_1)
	s_or_b32 vcc_lo, s1, s0
	v_cndmask_b32_e32 v3, v3, v5, vcc_lo
	v_cndmask_b32_e32 v5, v1, v31, vcc_lo
	s_delay_alu instid0(VALU_DEP_2) | instskip(NEXT) | instid1(VALU_DEP_2)
	v_mov_b32_dpp v1, v3 row_half_mirror row_mask:0xf bank_mask:0xf
	v_mov_b32_dpp v31, v5 row_half_mirror row_mask:0xf bank_mask:0xf
	s_delay_alu instid0(VALU_DEP_2) | instskip(NEXT) | instid1(VALU_DEP_2)
	v_cmp_eq_f32_e32 vcc_lo, v3, v1
	v_cmp_lt_i32_e64 s0, v31, v5
	v_cmp_lt_f32_e64 s1, v3, v1
	s_delay_alu instid0(VALU_DEP_2)
	s_and_b32 s0, vcc_lo, s0
	s_delay_alu instid0(VALU_DEP_1) | instid1(SALU_CYCLE_1)
	s_or_b32 vcc_lo, s1, s0
	v_cndmask_b32_e32 v1, v3, v1, vcc_lo
	v_cndmask_b32_e32 v5, v5, v31, vcc_lo
	s_delay_alu instid0(VALU_DEP_2) | instskip(NEXT) | instid1(VALU_DEP_2)
	v_mov_b32_dpp v3, v1 row_mirror row_mask:0xf bank_mask:0xf
	v_mov_b32_dpp v31, v5 row_mirror row_mask:0xf bank_mask:0xf
	s_delay_alu instid0(VALU_DEP_2) | instskip(NEXT) | instid1(VALU_DEP_2)
	v_cmp_eq_f32_e32 vcc_lo, v1, v3
	v_cmp_lt_i32_e64 s0, v31, v5
	v_cmp_lt_f32_e64 s1, v1, v3
	s_delay_alu instid0(VALU_DEP_2)
	s_and_b32 s0, vcc_lo, s0
	s_delay_alu instid0(VALU_DEP_1) | instid1(SALU_CYCLE_1)
	s_or_b32 vcc_lo, s1, s0
	v_cndmask_b32_e32 v31, v5, v31, vcc_lo
	s_and_saveexec_b32 s1, s2
	s_cbranch_execz .LBB300_16
; %bb.15:                               ;   in Loop: Header=BB300_14 Depth=1
	v_cndmask_b32_e32 v1, v1, v3, vcc_lo
	s_delay_alu instid0(VALU_DEP_2) | instskip(SKIP_4) | instid1(VALU_DEP_4)
	v_cmp_le_i32_e32 vcc_lo, s9, v31
	v_cmp_gt_i32_e64 s0, s10, v31
	v_ashrrev_i32_e32 v5, 31, v4
	v_subrev_nc_u32_e32 v52, s9, v31
	v_sub_f32_e32 v51, v1, v44
	s_and_b32 s0, vcc_lo, s0
	s_delay_alu instid0(SALU_CYCLE_1) | instskip(NEXT) | instid1(VALU_DEP_1)
	s_and_b32 vcc_lo, s17, s0
	v_mul_f32_e32 v1, 0x3fb8aa3b, v51
	s_delay_alu instid0(VALU_DEP_1) | instskip(SKIP_1) | instid1(VALU_DEP_2)
	v_fma_f32 v3, 0x3fb8aa3b, v51, -v1
	v_rndne_f32_e32 v45, v1
	v_fmac_f32_e32 v3, 0x32a5705f, v51
	s_delay_alu instid0(VALU_DEP_2) | instskip(SKIP_2) | instid1(VALU_DEP_3)
	v_sub_f32_e32 v1, v1, v45
	v_cvt_i32_f32_e32 v50, v45
	v_lshlrev_b64 v[45:46], 2, v[4:5]
	v_add_f32_e32 v1, v1, v3
	v_ashrrev_i32_e32 v3, 31, v2
	s_delay_alu instid0(VALU_DEP_2) | instskip(SKIP_1) | instid1(VALU_DEP_2)
	v_exp_f32_e32 v49, v1
	v_ashrrev_i32_e32 v1, 31, v0
	v_lshlrev_b64 v[47:48], 2, v[2:3]
	s_waitcnt_depctr 0xfff
	v_ldexp_f32 v3, v49, v50
	v_lshlrev_b64 v[49:50], 2, v[0:1]
	v_cndmask_b32_e32 v1, 0x200, v52, vcc_lo
	v_cmp_ngt_f32_e32 vcc_lo, 0xc2ce8ed0, v51
	s_delay_alu instid0(VALU_DEP_4) | instskip(SKIP_3) | instid1(VALU_DEP_4)
	v_cndmask_b32_e32 v3, 0, v3, vcc_lo
	v_add_co_u32 v45, vcc_lo, s12, v45
	v_add_co_ci_u32_e32 v46, vcc_lo, s13, v46, vcc_lo
	v_cmp_nlt_f32_e32 vcc_lo, 0x42b17218, v51
	v_cndmask_b32_e32 v3, 0x7f800000, v3, vcc_lo
	s_waitcnt lgkmcnt(0)
	v_add_co_u32 v47, vcc_lo, s4, v47
	v_add_co_ci_u32_e32 v48, vcc_lo, s5, v48, vcc_lo
	v_add_co_u32 v49, vcc_lo, s6, v49
	v_add_f32_e32 v29, v29, v3
	v_add_co_ci_u32_e32 v50, vcc_lo, s7, v50, vcc_lo
	global_store_b32 v[45:46], v3, off
	global_store_b32 v[47:48], v1, off
	;; [unrolled: 1-line block ×3, first 2 shown]
.LBB300_16:                             ;   in Loop: Header=BB300_14 Depth=1
	s_or_b32 exec_lo, exec_lo, s1
	s_delay_alu instid0(VALU_DEP_1) | instskip(SKIP_1) | instid1(VALU_DEP_1)
	v_ashrrev_i32_e32 v3, 31, v31
	s_mov_b32 s0, exec_lo
	v_lshrrev_b32_e32 v1, 27, v3
	s_delay_alu instid0(VALU_DEP_1) | instskip(NEXT) | instid1(VALU_DEP_1)
	v_add_nc_u32_e32 v1, v31, v1
	v_ashrrev_i32_e32 v1, 5, v1
	s_delay_alu instid0(VALU_DEP_1) | instskip(NEXT) | instid1(VALU_DEP_1)
	v_lshrrev_b32_e32 v5, 28, v1
	v_add_nc_u32_e32 v5, v1, v5
	s_delay_alu instid0(VALU_DEP_1) | instskip(NEXT) | instid1(VALU_DEP_1)
	v_and_b32_e32 v5, -16, v5
	v_sub_nc_u32_e32 v5, v1, v5
	s_delay_alu instid0(VALU_DEP_1)
	v_cmpx_eq_u32_e64 v27, v5
	s_cbranch_execz .LBB300_13
; %bb.17:                               ;   in Loop: Header=BB300_14 Depth=1
	v_lshrrev_b32_e32 v3, 23, v3
	v_lshlrev_b32_e32 v1, 5, v1
	s_delay_alu instid0(VALU_DEP_2) | instskip(NEXT) | instid1(VALU_DEP_2)
	v_add_nc_u32_e32 v3, v31, v3
	v_sub_nc_u32_e32 v1, v31, v1
	s_delay_alu instid0(VALU_DEP_2) | instskip(NEXT) | instid1(VALU_DEP_1)
	v_ashrrev_i32_e32 v3, 9, v3
	v_lshl_add_u32 v1, v3, 5, v1
	s_delay_alu instid0(VALU_DEP_1)
	v_lshl_add_u32 v1, v1, 2, 0
	scratch_store_b32 v1, v30, off
	s_branch .LBB300_13
.LBB300_18:
	v_cmp_neq_f32_e32 vcc_lo, 0, v29
	s_and_b32 s0, s2, vcc_lo
	s_delay_alu instid0(SALU_CYCLE_1)
	s_and_b32 exec_lo, exec_lo, s0
	s_cbranch_execz .LBB300_22
; %bb.19:
	s_and_not1_b32 vcc_lo, exec_lo, s3
	s_cbranch_vccnz .LBB300_22
; %bb.20:
	v_div_scale_f32 v1, null, v29, v29, 1.0
	v_div_scale_f32 v3, vcc_lo, 1.0, v29, 1.0
	s_delay_alu instid0(VALU_DEP_2) | instskip(SKIP_2) | instid1(VALU_DEP_1)
	v_rcp_f32_e32 v2, v1
	s_waitcnt_depctr 0xfff
	v_fma_f32 v0, -v1, v2, 1.0
	v_fmac_f32_e32 v2, v0, v2
	v_mul_lo_u32 v0, v26, s11
	s_delay_alu instid0(VALU_DEP_2) | instskip(NEXT) | instid1(VALU_DEP_1)
	v_mul_f32_e32 v4, v3, v2
	v_fma_f32 v5, -v1, v4, v3
	s_delay_alu instid0(VALU_DEP_1) | instskip(NEXT) | instid1(VALU_DEP_1)
	v_fmac_f32_e32 v4, v5, v2
	v_fma_f32 v3, -v1, v4, v3
	v_ashrrev_i32_e32 v1, 31, v0
	s_delay_alu instid0(VALU_DEP_2) | instskip(NEXT) | instid1(VALU_DEP_2)
	v_div_fmas_f32 v2, v3, v2, v4
	v_lshlrev_b64 v[0:1], 2, v[0:1]
	s_delay_alu instid0(VALU_DEP_2) | instskip(NEXT) | instid1(VALU_DEP_2)
	v_div_fixup_f32 v2, v2, v29, 1.0
	v_add_co_u32 v0, vcc_lo, s12, v0
	s_delay_alu instid0(VALU_DEP_3)
	v_add_co_ci_u32_e32 v1, vcc_lo, s13, v1, vcc_lo
.LBB300_21:                             ; =>This Inner Loop Header: Depth=1
	global_load_b32 v3, v[0:1], off
	s_add_i32 s8, s8, -1
	s_delay_alu instid0(SALU_CYCLE_1)
	s_cmp_lg_u32 s8, 0
	s_waitcnt vmcnt(0)
	v_mul_f32_e32 v3, v2, v3
	global_store_b32 v[0:1], v3, off
	v_add_co_u32 v0, vcc_lo, v0, 4
	v_add_co_ci_u32_e32 v1, vcc_lo, 0, v1, vcc_lo
	s_cbranch_scc1 .LBB300_21
.LBB300_22:
	s_endpgm
	.section	.rodata,"a",@progbits
	.p2align	6, 0x0
	.amdhsa_kernel _ZN4vllm3moe17topkGatingSoftmaxItLi32ELi512ELi2ELi64ELb1ELi1ELNS0_23SharedExpertScoringFuncE1EEEvPKT_PKbPfiPiS9_iiiiii
		.amdhsa_group_segment_fixed_size 0
		.amdhsa_private_segment_fixed_size 144
		.amdhsa_kernarg_size 72
		.amdhsa_user_sgpr_count 15
		.amdhsa_user_sgpr_dispatch_ptr 0
		.amdhsa_user_sgpr_queue_ptr 0
		.amdhsa_user_sgpr_kernarg_segment_ptr 1
		.amdhsa_user_sgpr_dispatch_id 0
		.amdhsa_user_sgpr_private_segment_size 0
		.amdhsa_wavefront_size32 1
		.amdhsa_uses_dynamic_stack 0
		.amdhsa_enable_private_segment 1
		.amdhsa_system_sgpr_workgroup_id_x 1
		.amdhsa_system_sgpr_workgroup_id_y 0
		.amdhsa_system_sgpr_workgroup_id_z 0
		.amdhsa_system_sgpr_workgroup_info 0
		.amdhsa_system_vgpr_workitem_id 1
		.amdhsa_next_free_vgpr 77
		.amdhsa_next_free_sgpr 19
		.amdhsa_reserve_vcc 1
		.amdhsa_float_round_mode_32 0
		.amdhsa_float_round_mode_16_64 0
		.amdhsa_float_denorm_mode_32 3
		.amdhsa_float_denorm_mode_16_64 3
		.amdhsa_dx10_clamp 1
		.amdhsa_ieee_mode 1
		.amdhsa_fp16_overflow 0
		.amdhsa_workgroup_processor_mode 1
		.amdhsa_memory_ordered 1
		.amdhsa_forward_progress 0
		.amdhsa_shared_vgpr_count 0
		.amdhsa_exception_fp_ieee_invalid_op 0
		.amdhsa_exception_fp_denorm_src 0
		.amdhsa_exception_fp_ieee_div_zero 0
		.amdhsa_exception_fp_ieee_overflow 0
		.amdhsa_exception_fp_ieee_underflow 0
		.amdhsa_exception_fp_ieee_inexact 0
		.amdhsa_exception_int_div_zero 0
	.end_amdhsa_kernel
	.section	.text._ZN4vllm3moe17topkGatingSoftmaxItLi32ELi512ELi2ELi64ELb1ELi1ELNS0_23SharedExpertScoringFuncE1EEEvPKT_PKbPfiPiS9_iiiiii,"axG",@progbits,_ZN4vllm3moe17topkGatingSoftmaxItLi32ELi512ELi2ELi64ELb1ELi1ELNS0_23SharedExpertScoringFuncE1EEEvPKT_PKbPfiPiS9_iiiiii,comdat
.Lfunc_end300:
	.size	_ZN4vllm3moe17topkGatingSoftmaxItLi32ELi512ELi2ELi64ELb1ELi1ELNS0_23SharedExpertScoringFuncE1EEEvPKT_PKbPfiPiS9_iiiiii, .Lfunc_end300-_ZN4vllm3moe17topkGatingSoftmaxItLi32ELi512ELi2ELi64ELb1ELi1ELNS0_23SharedExpertScoringFuncE1EEEvPKT_PKbPfiPiS9_iiiiii
                                        ; -- End function
	.section	.AMDGPU.csdata,"",@progbits
; Kernel info:
; codeLenInByte = 3916
; NumSgprs: 21
; NumVgprs: 77
; ScratchSize: 144
; MemoryBound: 0
; FloatMode: 240
; IeeeMode: 1
; LDSByteSize: 0 bytes/workgroup (compile time only)
; SGPRBlocks: 2
; VGPRBlocks: 9
; NumSGPRsForWavesPerEU: 21
; NumVGPRsForWavesPerEU: 77
; Occupancy: 16
; WaveLimiterHint : 0
; COMPUTE_PGM_RSRC2:SCRATCH_EN: 1
; COMPUTE_PGM_RSRC2:USER_SGPR: 15
; COMPUTE_PGM_RSRC2:TRAP_HANDLER: 0
; COMPUTE_PGM_RSRC2:TGID_X_EN: 1
; COMPUTE_PGM_RSRC2:TGID_Y_EN: 0
; COMPUTE_PGM_RSRC2:TGID_Z_EN: 0
; COMPUTE_PGM_RSRC2:TIDIG_COMP_CNT: 1
	.section	.text._ZN4vllm3moe17topkGatingSoftmaxItLi32ELi512ELi2ELi64ELb0ELi1ELNS0_23SharedExpertScoringFuncE1EEEvPKT_PKbPfiPiS9_iiiiii,"axG",@progbits,_ZN4vllm3moe17topkGatingSoftmaxItLi32ELi512ELi2ELi64ELb0ELi1ELNS0_23SharedExpertScoringFuncE1EEEvPKT_PKbPfiPiS9_iiiiii,comdat
	.protected	_ZN4vllm3moe17topkGatingSoftmaxItLi32ELi512ELi2ELi64ELb0ELi1ELNS0_23SharedExpertScoringFuncE1EEEvPKT_PKbPfiPiS9_iiiiii ; -- Begin function _ZN4vllm3moe17topkGatingSoftmaxItLi32ELi512ELi2ELi64ELb0ELi1ELNS0_23SharedExpertScoringFuncE1EEEvPKT_PKbPfiPiS9_iiiiii
	.globl	_ZN4vllm3moe17topkGatingSoftmaxItLi32ELi512ELi2ELi64ELb0ELi1ELNS0_23SharedExpertScoringFuncE1EEEvPKT_PKbPfiPiS9_iiiiii
	.p2align	8
	.type	_ZN4vllm3moe17topkGatingSoftmaxItLi32ELi512ELi2ELi64ELb0ELi1ELNS0_23SharedExpertScoringFuncE1EEEvPKT_PKbPfiPiS9_iiiiii,@function
_ZN4vllm3moe17topkGatingSoftmaxItLi32ELi512ELi2ELi64ELb0ELi1ELNS0_23SharedExpertScoringFuncE1EEEvPKT_PKbPfiPiS9_iiiiii: ; @_ZN4vllm3moe17topkGatingSoftmaxItLi32ELi512ELi2ELi64ELb0ELi1ELNS0_23SharedExpertScoringFuncE1EEEvPKT_PKbPfiPiS9_iiiiii
; %bb.0:
	s_load_b32 s16, s[0:1], 0x18
	v_bfe_u32 v1, v0, 10, 10
	v_and_b32_e32 v0, 0x3ff, v0
	s_lshl_b32 s18, s15, 2
	s_mov_b32 s2, exec_lo
	s_delay_alu instid0(VALU_DEP_2) | instskip(NEXT) | instid1(VALU_DEP_2)
	v_lshlrev_b32_e32 v32, 1, v1
	v_lshrrev_b32_e32 v33, 4, v0
	s_delay_alu instid0(VALU_DEP_1) | instskip(SKIP_1) | instid1(VALU_DEP_1)
	v_add3_u32 v28, s18, v32, v33
	s_waitcnt lgkmcnt(0)
	v_cmpx_gt_i32_e64 s16, v28
	s_cbranch_execz .LBB301_24
; %bb.1:
	s_clause 0x1
	s_load_b128 s[4:7], s[0:1], 0x0
	s_load_b64 s[12:13], s[0:1], 0x10
	s_waitcnt lgkmcnt(0)
	s_cmp_eq_u64 s[6:7], 0
	s_cbranch_scc1 .LBB301_3
; %bb.2:
	v_ashrrev_i32_e32 v2, 31, v28
	v_add_co_u32 v1, vcc_lo, s6, v28
	s_delay_alu instid0(VALU_DEP_2) | instskip(SKIP_3) | instid1(VALU_DEP_1)
	v_add_co_ci_u32_e32 v2, vcc_lo, s7, v2, vcc_lo
	global_load_u8 v1, v[1:2], off
	s_waitcnt vmcnt(0)
	v_and_b32_e32 v1, 1, v1
	v_cmp_eq_u32_e32 vcc_lo, 1, v1
	s_xor_b32 s2, vcc_lo, -1
	s_delay_alu instid0(SALU_CYCLE_1)
	s_or_not1_b32 s17, s2, exec_lo
	s_branch .LBB301_4
.LBB301_3:
	s_mov_b32 s17, -1
.LBB301_4:
	s_clause 0x1
	s_load_b64 s[14:15], s[0:1], 0x40
	s_load_b128 s[8:11], s[0:1], 0x30
	v_dual_mov_b32 v29, 0 :: v_dual_and_b32 v30, 15, v0
	s_delay_alu instid0(VALU_DEP_1) | instskip(SKIP_3) | instid1(VALU_DEP_1)
	v_lshlrev_b32_e32 v31, 5, v30
	v_cmp_eq_u32_e64 s2, 0, v30
	s_waitcnt lgkmcnt(0)
	v_mul_lo_u32 v1, v28, s15
	v_ashrrev_i32_e32 v2, 31, v1
	s_delay_alu instid0(VALU_DEP_1) | instskip(SKIP_1) | instid1(VALU_DEP_2)
	v_lshlrev_b64 v[0:1], 1, v[1:2]
	v_lshlrev_b32_e32 v2, 6, v30
	v_add_co_u32 v0, vcc_lo, s4, v0
	s_delay_alu instid0(VALU_DEP_3) | instskip(NEXT) | instid1(VALU_DEP_2)
	v_add_co_ci_u32_e32 v1, vcc_lo, s5, v1, vcc_lo
	v_add_co_u32 v14, vcc_lo, v0, v2
	s_delay_alu instid0(VALU_DEP_2)
	v_add_co_ci_u32_e32 v15, vcc_lo, 0, v1, vcc_lo
	s_clause 0x3
	global_load_b128 v[2:5], v[14:15], off
	global_load_b128 v[6:9], v[14:15], off offset:16
	global_load_b128 v[10:13], v[14:15], off offset:32
	global_load_b128 v[14:17], v[14:15], off offset:48
	s_waitcnt vmcnt(3)
	v_and_b32_e32 v18, 0xffff, v2
	v_lshrrev_b32_e32 v2, 16, v2
	v_and_b32_e32 v19, 0xffff, v3
	v_lshrrev_b32_e32 v3, 16, v3
	;; [unrolled: 2-line block ×4, first 2 shown]
	s_waitcnt vmcnt(2)
	v_and_b32_e32 v34, 0xffff, v6
	v_lshrrev_b32_e32 v6, 16, v6
	v_and_b32_e32 v35, 0xffff, v7
	v_lshrrev_b32_e32 v7, 16, v7
	;; [unrolled: 2-line block ×4, first 2 shown]
	s_waitcnt vmcnt(1)
	v_and_b32_e32 v9, 0xffff, v10
	v_lshrrev_b32_e32 v10, 16, v10
	v_and_b32_e32 v38, 0xffff, v11
	v_lshrrev_b32_e32 v11, 16, v11
	;; [unrolled: 2-line block ×3, first 2 shown]
	v_and_b32_e32 v41, 0xffff, v13
	s_waitcnt vmcnt(0)
	v_and_b32_e32 v46, 0xffff, v15
	v_lshrrev_b32_e32 v15, 16, v15
	v_and_b32_e32 v47, 0xffff, v16
	v_lshrrev_b32_e32 v48, 16, v16
	;; [unrolled: 2-line block ×4, first 2 shown]
	v_lshrrev_b32_e32 v43, 16, v13
	v_cvt_f32_u32_e32 v24, v18
	v_cvt_f32_u32_e32 v25, v2
	;; [unrolled: 1-line block ×32, first 2 shown]
	s_clause 0x7
	scratch_store_b128 off, v[38:41], off offset:112
	scratch_store_b128 off, v[34:37], off offset:96
	;; [unrolled: 1-line block ×7, first 2 shown]
	scratch_store_b128 off, v[24:27], off
	s_and_saveexec_b32 s3, s2
	s_cbranch_execz .LBB301_6
; %bb.5:
	global_load_u16 v0, v[0:1], off offset:1024
	s_waitcnt vmcnt(0)
	v_cvt_f32_u32_e32 v0, v0
	s_delay_alu instid0(VALU_DEP_1) | instskip(SKIP_1) | instid1(VALU_DEP_2)
	v_mul_f32_e32 v1, 0xbfb8aa3b, v0
	v_cmp_nlt_f32_e32 vcc_lo, 0x42ce8ed0, v0
	v_rndne_f32_e32 v2, v1
	v_fma_f32 v3, 0xbfb8aa3b, v0, -v1
	s_delay_alu instid0(VALU_DEP_2) | instskip(NEXT) | instid1(VALU_DEP_2)
	v_sub_f32_e32 v1, v1, v2
	v_fmamk_f32 v3, v0, 0xb2a5705f, v3
	v_cvt_i32_f32_e32 v2, v2
	s_delay_alu instid0(VALU_DEP_2) | instskip(NEXT) | instid1(VALU_DEP_1)
	v_add_f32_e32 v1, v1, v3
	v_exp_f32_e32 v1, v1
	s_waitcnt_depctr 0xfff
	v_ldexp_f32 v1, v1, v2
	s_delay_alu instid0(VALU_DEP_1) | instskip(SKIP_1) | instid1(VALU_DEP_2)
	v_cndmask_b32_e32 v1, 0, v1, vcc_lo
	v_cmp_ngt_f32_e32 vcc_lo, 0xc2b17218, v0
	v_cndmask_b32_e32 v0, 0x7f800000, v1, vcc_lo
	s_delay_alu instid0(VALU_DEP_1) | instskip(NEXT) | instid1(VALU_DEP_1)
	v_add_f32_e32 v2, 1.0, v0
	v_div_scale_f32 v3, null, v2, v2, 1.0
	v_div_scale_f32 v6, vcc_lo, 1.0, v2, 1.0
	s_delay_alu instid0(VALU_DEP_2) | instskip(SKIP_2) | instid1(VALU_DEP_1)
	v_rcp_f32_e32 v5, v3
	s_waitcnt_depctr 0xfff
	v_fma_f32 v0, -v3, v5, 1.0
	v_fmac_f32_e32 v5, v0, v5
	v_mad_u64_u32 v[0:1], null, v28, s11, s[8:9]
	s_delay_alu instid0(VALU_DEP_2) | instskip(NEXT) | instid1(VALU_DEP_2)
	v_mul_f32_e32 v7, v6, v5
	v_ashrrev_i32_e32 v1, 31, v0
	s_delay_alu instid0(VALU_DEP_2) | instskip(NEXT) | instid1(VALU_DEP_2)
	v_fma_f32 v34, -v3, v7, v6
	v_lshlrev_b64 v[0:1], 2, v[0:1]
	s_delay_alu instid0(VALU_DEP_2) | instskip(NEXT) | instid1(VALU_DEP_1)
	v_fmac_f32_e32 v7, v34, v5
	v_fma_f32 v3, -v3, v7, v6
	s_delay_alu instid0(VALU_DEP_1) | instskip(NEXT) | instid1(VALU_DEP_4)
	v_div_fmas_f32 v3, v3, v5, v7
	v_add_co_u32 v0, vcc_lo, s12, v0
	v_add_co_ci_u32_e32 v1, vcc_lo, s13, v1, vcc_lo
	s_delay_alu instid0(VALU_DEP_3)
	v_div_fixup_f32 v2, v3, v2, 1.0
	global_store_b32 v[0:1], v2, off
.LBB301_6:
	s_or_b32 exec_lo, exec_lo, s3
	s_clause 0x2
	scratch_load_b128 v[0:3], off, off offset:84
	scratch_load_b128 v[39:42], off, off offset:100
	scratch_load_b96 v[5:7], off, off offset:116
	v_cmp_lt_f32_e32 vcc_lo, v24, v25
	v_or_b32_e32 v34, 1, v31
	v_or_b32_e32 v37, 24, v31
	;; [unrolled: 1-line block ×4, first 2 shown]
	v_cndmask_b32_e32 v25, v24, v25, vcc_lo
	v_cndmask_b32_e32 v35, v31, v34, vcc_lo
	v_or_b32_e32 v24, 2, v31
	v_or_b32_e32 v44, 31, v31
	s_delay_alu instid0(VALU_DEP_4) | instskip(NEXT) | instid1(VALU_DEP_3)
	v_cmp_lt_f32_e32 vcc_lo, v25, v26
	v_dual_cndmask_b32 v35, v35, v24 :: v_dual_cndmask_b32 v26, v25, v26
	v_or_b32_e32 v25, 3, v31
	s_delay_alu instid0(VALU_DEP_2) | instskip(SKIP_1) | instid1(VALU_DEP_3)
	v_cmp_lt_f32_e32 vcc_lo, v26, v27
	v_cndmask_b32_e32 v27, v26, v27, vcc_lo
	v_cndmask_b32_e32 v35, v35, v25, vcc_lo
	v_or_b32_e32 v26, 4, v31
	s_delay_alu instid0(VALU_DEP_3) | instskip(SKIP_1) | instid1(VALU_DEP_3)
	v_cmp_lt_f32_e32 vcc_lo, v27, v20
	v_cndmask_b32_e32 v27, v27, v20, vcc_lo
	v_cndmask_b32_e32 v35, v35, v26, vcc_lo
	v_or_b32_e32 v20, 5, v31
	s_delay_alu instid0(VALU_DEP_3) | instskip(SKIP_1) | instid1(VALU_DEP_3)
	;; [unrolled: 5-line block ×17, first 2 shown]
	v_cmp_lt_f32_e32 vcc_lo, v27, v4
	v_cndmask_b32_e32 v4, v27, v4, vcc_lo
	v_cndmask_b32_e32 v35, v35, v11, vcc_lo
	v_or_b32_e32 v27, 21, v31
	s_waitcnt vmcnt(2)
	s_delay_alu instid0(VALU_DEP_3) | instskip(SKIP_1) | instid1(VALU_DEP_3)
	v_cmp_lt_f32_e32 vcc_lo, v4, v0
	v_cndmask_b32_e32 v0, v4, v0, vcc_lo
	v_cndmask_b32_e32 v36, v35, v27, vcc_lo
	v_or_b32_e32 v35, 22, v31
	s_delay_alu instid0(VALU_DEP_3) | instskip(SKIP_1) | instid1(VALU_DEP_3)
	v_cmp_lt_f32_e32 vcc_lo, v0, v1
	v_cndmask_b32_e32 v0, v0, v1, vcc_lo
	v_cndmask_b32_e32 v4, v36, v35, vcc_lo
	v_or_b32_e32 v36, 23, v31
	s_delay_alu instid0(VALU_DEP_3) | instskip(SKIP_1) | instid1(VALU_DEP_3)
	v_cmp_lt_f32_e32 vcc_lo, v0, v2
	v_cndmask_b32_e32 v0, v0, v2, vcc_lo
	v_cndmask_b32_e32 v1, v4, v36, vcc_lo
	s_delay_alu instid0(VALU_DEP_2) | instskip(NEXT) | instid1(VALU_DEP_2)
	v_cmp_lt_f32_e32 vcc_lo, v0, v3
	v_dual_cndmask_b32 v1, v1, v37 :: v_dual_cndmask_b32 v0, v0, v3
	s_waitcnt vmcnt(1)
	s_delay_alu instid0(VALU_DEP_1) | instskip(NEXT) | instid1(VALU_DEP_2)
	v_cmp_lt_f32_e32 vcc_lo, v0, v39
	v_dual_cndmask_b32 v0, v0, v39 :: v_dual_cndmask_b32 v1, v1, v38
	v_or_b32_e32 v39, 26, v31
	s_delay_alu instid0(VALU_DEP_2) | instskip(NEXT) | instid1(VALU_DEP_2)
	v_cmp_lt_f32_e32 vcc_lo, v0, v40
	v_dual_cndmask_b32 v0, v0, v40 :: v_dual_cndmask_b32 v1, v1, v39
	v_or_b32_e32 v40, 27, v31
	s_delay_alu instid0(VALU_DEP_2) | instskip(NEXT) | instid1(VALU_DEP_2)
	;; [unrolled: 4-line block ×3, first 2 shown]
	v_cmp_lt_f32_e32 vcc_lo, v0, v42
	v_dual_cndmask_b32 v0, v0, v42 :: v_dual_cndmask_b32 v1, v1, v41
	v_or_b32_e32 v42, 29, v31
	s_waitcnt vmcnt(0)
	s_delay_alu instid0(VALU_DEP_2) | instskip(NEXT) | instid1(VALU_DEP_2)
	v_cmp_lt_f32_e32 vcc_lo, v0, v5
	v_dual_cndmask_b32 v0, v0, v5 :: v_dual_cndmask_b32 v1, v1, v42
	s_delay_alu instid0(VALU_DEP_1) | instskip(NEXT) | instid1(VALU_DEP_2)
	v_cmp_lt_f32_e32 vcc_lo, v0, v6
	v_dual_cndmask_b32 v0, v0, v6 :: v_dual_cndmask_b32 v1, v1, v43
	s_delay_alu instid0(VALU_DEP_1) | instskip(NEXT) | instid1(VALU_DEP_2)
	;; [unrolled: 3-line block ×3, first 2 shown]
	v_mov_b32_dpp v5, v1 quad_perm:[1,0,3,2] row_mask:0xf bank_mask:0xf
	v_mov_b32_dpp v4, v0 quad_perm:[1,0,3,2] row_mask:0xf bank_mask:0xf
	s_delay_alu instid0(VALU_DEP_2) | instskip(NEXT) | instid1(VALU_DEP_2)
	v_cmp_lt_i32_e64 s3, v5, v1
	v_cmp_eq_f32_e32 vcc_lo, v0, v4
	v_cmp_lt_f32_e64 s4, v0, v4
	s_delay_alu instid0(VALU_DEP_3)
	s_and_b32 s3, vcc_lo, s3
	s_delay_alu instid0(VALU_DEP_1) | instid1(SALU_CYCLE_1)
	s_or_b32 vcc_lo, s4, s3
	v_dual_cndmask_b32 v0, v0, v4 :: v_dual_cndmask_b32 v1, v1, v5
	s_delay_alu instid0(VALU_DEP_1) | instskip(NEXT) | instid1(VALU_DEP_2)
	v_mov_b32_dpp v4, v0 quad_perm:[2,3,0,1] row_mask:0xf bank_mask:0xf
	v_mov_b32_dpp v5, v1 quad_perm:[2,3,0,1] row_mask:0xf bank_mask:0xf
	s_delay_alu instid0(VALU_DEP_2) | instskip(NEXT) | instid1(VALU_DEP_2)
	v_cmp_eq_f32_e32 vcc_lo, v0, v4
	v_cmp_lt_i32_e64 s3, v5, v1
	v_cmp_lt_f32_e64 s4, v0, v4
	s_delay_alu instid0(VALU_DEP_2)
	s_and_b32 s3, vcc_lo, s3
	s_delay_alu instid0(VALU_DEP_1) | instid1(SALU_CYCLE_1)
	s_or_b32 vcc_lo, s4, s3
	v_dual_cndmask_b32 v0, v0, v4 :: v_dual_cndmask_b32 v1, v1, v5
	s_delay_alu instid0(VALU_DEP_1) | instskip(NEXT) | instid1(VALU_DEP_2)
	v_mov_b32_dpp v4, v0 row_half_mirror row_mask:0xf bank_mask:0xf
	v_mov_b32_dpp v5, v1 row_half_mirror row_mask:0xf bank_mask:0xf
	s_delay_alu instid0(VALU_DEP_2) | instskip(NEXT) | instid1(VALU_DEP_2)
	v_cmp_eq_f32_e32 vcc_lo, v0, v4
	v_cmp_lt_i32_e64 s3, v5, v1
	v_cmp_lt_f32_e64 s4, v0, v4
	s_delay_alu instid0(VALU_DEP_2)
	s_and_b32 s3, vcc_lo, s3
	s_delay_alu instid0(VALU_DEP_1) | instid1(SALU_CYCLE_1)
	s_or_b32 vcc_lo, s4, s3
	v_cndmask_b32_e32 v6, v0, v4, vcc_lo
	v_cndmask_b32_e32 v0, v1, v5, vcc_lo
	s_delay_alu instid0(VALU_DEP_2) | instskip(NEXT) | instid1(VALU_DEP_2)
	v_mov_b32_dpp v1, v6 row_mirror row_mask:0xf bank_mask:0xf
	v_mov_b32_dpp v4, v0 row_mirror row_mask:0xf bank_mask:0xf
	s_delay_alu instid0(VALU_DEP_2) | instskip(NEXT) | instid1(VALU_DEP_2)
	v_cmp_eq_f32_e32 vcc_lo, v6, v1
	v_cmp_lt_i32_e64 s3, v4, v0
	v_cmp_lt_f32_e64 s4, v6, v1
	s_delay_alu instid0(VALU_DEP_2)
	s_and_b32 s3, vcc_lo, s3
	s_delay_alu instid0(VALU_DEP_1) | instid1(SALU_CYCLE_1)
	s_or_b32 s3, s4, s3
	s_cmp_gt_i32 s8, 0
	v_cndmask_b32_e64 v7, v6, v1, s3
	s_cselect_b32 s15, -1, 0
	s_delay_alu instid0(SALU_CYCLE_1)
	s_and_b32 vcc_lo, exec_lo, s15
	s_cbranch_vccz .LBB301_19
; %bb.7:
	s_load_b128 s[4:7], s[0:1], 0x20
	v_mul_lo_u32 v1, v28, s11
	v_mul_lo_u32 v3, v28, s14
	;; [unrolled: 1-line block ×3, first 2 shown]
	v_cndmask_b32_e64 v0, v0, v4, s3
	v_mov_b32_e32 v29, 0
	s_and_saveexec_b32 s1, s2
	s_cbranch_execz .LBB301_9
; %bb.8:
	v_sub_f32_e32 v29, v7, v7
	v_cmp_le_i32_e32 vcc_lo, s9, v0
	v_cmp_gt_i32_e64 s0, s10, v0
	v_subrev_nc_u32_e32 v51, s9, v0
	v_ashrrev_i32_e32 v6, 31, v5
	v_mul_f32_e32 v2, 0x3fb8aa3b, v29
	s_delay_alu instid0(VALU_DEP_4) | instskip(NEXT) | instid1(SALU_CYCLE_1)
	s_and_b32 s0, vcc_lo, s0
	s_and_b32 vcc_lo, s17, s0
	s_delay_alu instid0(VALU_DEP_1) | instskip(SKIP_2) | instid1(VALU_DEP_3)
	v_rndne_f32_e32 v47, v2
	v_fma_f32 v4, 0x3fb8aa3b, v29, -v2
	v_lshlrev_b64 v[49:50], 2, v[5:6]
	v_sub_f32_e32 v2, v2, v47
	s_delay_alu instid0(VALU_DEP_3) | instskip(NEXT) | instid1(VALU_DEP_1)
	v_fmamk_f32 v4, v29, 0x32a5705f, v4
	v_add_f32_e32 v4, v2, v4
	v_ashrrev_i32_e32 v2, 31, v1
	s_delay_alu instid0(VALU_DEP_2) | instskip(NEXT) | instid1(VALU_DEP_1)
	v_exp_f32_e32 v52, v4
	v_lshlrev_b64 v[45:46], 2, v[1:2]
	v_ashrrev_i32_e32 v4, 31, v3
	v_cvt_i32_f32_e32 v2, v47
	s_delay_alu instid0(VALU_DEP_2) | instskip(SKIP_3) | instid1(TRANS32_DEP_1)
	v_lshlrev_b64 v[47:48], 2, v[3:4]
	v_cndmask_b32_e32 v4, 0x200, v51, vcc_lo
	v_add_co_u32 v45, vcc_lo, s12, v45
	v_add_co_ci_u32_e32 v46, vcc_lo, s13, v46, vcc_lo
	v_ldexp_f32 v2, v52, v2
	v_cmp_ngt_f32_e32 vcc_lo, 0xc2ce8ed0, v29
	s_delay_alu instid0(VALU_DEP_2)
	v_cndmask_b32_e32 v2, 0, v2, vcc_lo
	s_waitcnt lgkmcnt(0)
	v_add_co_u32 v47, vcc_lo, s4, v47
	v_add_co_ci_u32_e32 v48, vcc_lo, s5, v48, vcc_lo
	v_cmp_nlt_f32_e32 vcc_lo, 0x42b17218, v29
	v_cndmask_b32_e32 v29, 0x7f800000, v2, vcc_lo
	v_add_co_u32 v49, vcc_lo, s6, v49
	v_add_co_ci_u32_e32 v50, vcc_lo, s7, v50, vcc_lo
	global_store_b32 v[47:48], v4, off
	global_store_b32 v[45:46], v29, off
	;; [unrolled: 1-line block ×3, first 2 shown]
.LBB301_9:
	s_or_b32 exec_lo, exec_lo, s1
	v_ashrrev_i32_e32 v4, 31, v0
	s_mov_b32 s0, exec_lo
	s_delay_alu instid0(VALU_DEP_1) | instskip(NEXT) | instid1(VALU_DEP_1)
	v_lshrrev_b32_e32 v2, 27, v4
	v_add_nc_u32_e32 v2, v0, v2
	s_delay_alu instid0(VALU_DEP_1) | instskip(NEXT) | instid1(VALU_DEP_1)
	v_ashrrev_i32_e32 v2, 5, v2
	v_lshrrev_b32_e32 v6, 28, v2
	s_delay_alu instid0(VALU_DEP_1) | instskip(NEXT) | instid1(VALU_DEP_1)
	v_add_nc_u32_e32 v6, v2, v6
	v_and_b32_e32 v6, -16, v6
	s_delay_alu instid0(VALU_DEP_1) | instskip(NEXT) | instid1(VALU_DEP_1)
	v_sub_nc_u32_e32 v6, v2, v6
	v_cmpx_eq_u32_e64 v30, v6
	s_cbranch_execz .LBB301_11
; %bb.10:
	v_lshrrev_b32_e32 v4, 23, v4
	v_lshlrev_b32_e32 v2, 5, v2
	s_delay_alu instid0(VALU_DEP_2) | instskip(NEXT) | instid1(VALU_DEP_2)
	v_add_nc_u32_e32 v4, v0, v4
	v_sub_nc_u32_e32 v0, v0, v2
	s_delay_alu instid0(VALU_DEP_2) | instskip(NEXT) | instid1(VALU_DEP_1)
	v_ashrrev_i32_e32 v2, 9, v4
	v_lshl_add_u32 v0, v2, 5, v0
	v_mov_b32_e32 v2, 0xff800000
	s_delay_alu instid0(VALU_DEP_2)
	v_lshl_add_u32 v0, v0, 2, 0
	scratch_store_b32 v0, v2, off
.LBB301_11:
	s_or_b32 exec_lo, exec_lo, s0
	s_cmp_eq_u32 s8, 1
	s_cbranch_scc1 .LBB301_18
; %bb.12:
	s_add_i32 s18, s18, s16
	v_add_nc_u32_e32 v0, 1, v5
	v_add3_u32 v6, s18, v33, v32
	v_add_nc_u32_e32 v2, 1, v3
	v_add_nc_u32_e32 v4, 1, v1
	v_mov_b32_e32 v32, 0xff800000
	s_add_i32 s3, s8, -1
	s_branch .LBB301_14
.LBB301_13:                             ;   in Loop: Header=BB301_14 Depth=1
	s_or_b32 exec_lo, exec_lo, s0
	v_add_nc_u32_e32 v6, s16, v6
	v_add_nc_u32_e32 v0, 1, v0
	;; [unrolled: 1-line block ×4, first 2 shown]
	s_add_i32 s3, s3, -1
	s_delay_alu instid0(SALU_CYCLE_1)
	s_cmp_eq_u32 s3, 0
	s_cbranch_scc1 .LBB301_18
.LBB301_14:                             ; =>This Inner Loop Header: Depth=1
	s_clause 0x7
	scratch_load_b128 v[45:48], off, off
	scratch_load_b128 v[49:52], off, off offset:16
	scratch_load_b128 v[53:56], off, off offset:32
	;; [unrolled: 1-line block ×7, first 2 shown]
	s_waitcnt vmcnt(7)
	v_cmp_gt_f32_e32 vcc_lo, v46, v45
	v_cndmask_b32_e32 v3, v45, v46, vcc_lo
	v_cndmask_b32_e32 v1, v31, v34, vcc_lo
	s_delay_alu instid0(VALU_DEP_2) | instskip(SKIP_1) | instid1(VALU_DEP_3)
	v_cmp_gt_f32_e32 vcc_lo, v47, v3
	v_cndmask_b32_e32 v3, v3, v47, vcc_lo
	v_cndmask_b32_e32 v1, v1, v24, vcc_lo
	s_delay_alu instid0(VALU_DEP_2) | instskip(SKIP_1) | instid1(VALU_DEP_3)
	v_cmp_gt_f32_e32 vcc_lo, v48, v3
	v_cndmask_b32_e32 v3, v3, v48, vcc_lo
	v_cndmask_b32_e32 v1, v1, v25, vcc_lo
	s_waitcnt vmcnt(6)
	s_delay_alu instid0(VALU_DEP_2) | instskip(SKIP_1) | instid1(VALU_DEP_3)
	v_cmp_gt_f32_e32 vcc_lo, v49, v3
	v_cndmask_b32_e32 v3, v3, v49, vcc_lo
	v_cndmask_b32_e32 v1, v1, v26, vcc_lo
	s_delay_alu instid0(VALU_DEP_2) | instskip(SKIP_1) | instid1(VALU_DEP_3)
	v_cmp_gt_f32_e32 vcc_lo, v50, v3
	v_cndmask_b32_e32 v3, v3, v50, vcc_lo
	v_cndmask_b32_e32 v1, v1, v20, vcc_lo
	s_delay_alu instid0(VALU_DEP_2) | instskip(SKIP_1) | instid1(VALU_DEP_3)
	v_cmp_gt_f32_e32 vcc_lo, v51, v3
	v_cndmask_b32_e32 v3, v3, v51, vcc_lo
	v_cndmask_b32_e32 v1, v1, v21, vcc_lo
	s_delay_alu instid0(VALU_DEP_2) | instskip(SKIP_1) | instid1(VALU_DEP_3)
	v_cmp_gt_f32_e32 vcc_lo, v52, v3
	v_cndmask_b32_e32 v3, v3, v52, vcc_lo
	v_cndmask_b32_e32 v1, v1, v22, vcc_lo
	s_waitcnt vmcnt(5)
	s_delay_alu instid0(VALU_DEP_2) | instskip(SKIP_1) | instid1(VALU_DEP_3)
	v_cmp_gt_f32_e32 vcc_lo, v53, v3
	v_cndmask_b32_e32 v3, v3, v53, vcc_lo
	v_cndmask_b32_e32 v1, v1, v23, vcc_lo
	s_delay_alu instid0(VALU_DEP_2) | instskip(SKIP_1) | instid1(VALU_DEP_3)
	;; [unrolled: 17-line block ×7, first 2 shown]
	v_cmp_gt_f32_e32 vcc_lo, v74, v3
	v_cndmask_b32_e32 v3, v3, v74, vcc_lo
	v_cndmask_b32_e32 v1, v1, v42, vcc_lo
	s_delay_alu instid0(VALU_DEP_2) | instskip(SKIP_1) | instid1(VALU_DEP_3)
	v_cmp_gt_f32_e32 vcc_lo, v75, v3
	v_cndmask_b32_e32 v3, v3, v75, vcc_lo
	v_cndmask_b32_e32 v1, v1, v43, vcc_lo
	s_delay_alu instid0(VALU_DEP_2) | instskip(NEXT) | instid1(VALU_DEP_2)
	v_cmp_gt_f32_e32 vcc_lo, v76, v3
	v_cndmask_b32_e32 v1, v1, v44, vcc_lo
	v_cndmask_b32_e32 v3, v3, v76, vcc_lo
	s_delay_alu instid0(VALU_DEP_2) | instskip(NEXT) | instid1(VALU_DEP_2)
	v_mov_b32_dpp v5, v1 quad_perm:[1,0,3,2] row_mask:0xf bank_mask:0xf
	v_mov_b32_dpp v33, v3 quad_perm:[1,0,3,2] row_mask:0xf bank_mask:0xf
	s_delay_alu instid0(VALU_DEP_2) | instskip(NEXT) | instid1(VALU_DEP_2)
	v_cmp_lt_i32_e32 vcc_lo, v5, v1
	v_cmp_eq_f32_e64 s0, v3, v33
	v_cmp_lt_f32_e64 s1, v3, v33
	s_delay_alu instid0(VALU_DEP_2)
	s_and_b32 s0, s0, vcc_lo
	s_delay_alu instid0(VALU_DEP_1) | instid1(SALU_CYCLE_1)
	s_or_b32 vcc_lo, s1, s0
	v_cndmask_b32_e32 v3, v3, v33, vcc_lo
	v_cndmask_b32_e32 v1, v1, v5, vcc_lo
	s_delay_alu instid0(VALU_DEP_2) | instskip(NEXT) | instid1(VALU_DEP_2)
	v_mov_b32_dpp v5, v3 quad_perm:[2,3,0,1] row_mask:0xf bank_mask:0xf
	v_mov_b32_dpp v33, v1 quad_perm:[2,3,0,1] row_mask:0xf bank_mask:0xf
	s_delay_alu instid0(VALU_DEP_2) | instskip(NEXT) | instid1(VALU_DEP_2)
	v_cmp_eq_f32_e32 vcc_lo, v3, v5
	v_cmp_lt_i32_e64 s0, v33, v1
	v_cmp_lt_f32_e64 s1, v3, v5
	s_delay_alu instid0(VALU_DEP_2)
	s_and_b32 s0, vcc_lo, s0
	s_delay_alu instid0(VALU_DEP_1) | instid1(SALU_CYCLE_1)
	s_or_b32 vcc_lo, s1, s0
	v_cndmask_b32_e32 v3, v3, v5, vcc_lo
	v_cndmask_b32_e32 v5, v1, v33, vcc_lo
	s_delay_alu instid0(VALU_DEP_2) | instskip(NEXT) | instid1(VALU_DEP_2)
	v_mov_b32_dpp v1, v3 row_half_mirror row_mask:0xf bank_mask:0xf
	v_mov_b32_dpp v33, v5 row_half_mirror row_mask:0xf bank_mask:0xf
	s_delay_alu instid0(VALU_DEP_2) | instskip(NEXT) | instid1(VALU_DEP_2)
	v_cmp_eq_f32_e32 vcc_lo, v3, v1
	v_cmp_lt_i32_e64 s0, v33, v5
	v_cmp_lt_f32_e64 s1, v3, v1
	s_delay_alu instid0(VALU_DEP_2)
	s_and_b32 s0, vcc_lo, s0
	s_delay_alu instid0(VALU_DEP_1) | instid1(SALU_CYCLE_1)
	s_or_b32 vcc_lo, s1, s0
	v_cndmask_b32_e32 v1, v3, v1, vcc_lo
	v_cndmask_b32_e32 v5, v5, v33, vcc_lo
	s_delay_alu instid0(VALU_DEP_2) | instskip(NEXT) | instid1(VALU_DEP_2)
	v_mov_b32_dpp v3, v1 row_mirror row_mask:0xf bank_mask:0xf
	v_mov_b32_dpp v33, v5 row_mirror row_mask:0xf bank_mask:0xf
	s_delay_alu instid0(VALU_DEP_2) | instskip(NEXT) | instid1(VALU_DEP_2)
	v_cmp_eq_f32_e32 vcc_lo, v1, v3
	v_cmp_lt_i32_e64 s0, v33, v5
	v_cmp_lt_f32_e64 s1, v1, v3
	s_delay_alu instid0(VALU_DEP_2)
	s_and_b32 s0, vcc_lo, s0
	s_delay_alu instid0(VALU_DEP_1) | instid1(SALU_CYCLE_1)
	s_or_b32 vcc_lo, s1, s0
	v_cndmask_b32_e32 v33, v5, v33, vcc_lo
	s_and_saveexec_b32 s1, s2
	s_cbranch_execz .LBB301_16
; %bb.15:                               ;   in Loop: Header=BB301_14 Depth=1
	v_cndmask_b32_e32 v1, v1, v3, vcc_lo
	s_delay_alu instid0(VALU_DEP_2) | instskip(SKIP_4) | instid1(VALU_DEP_4)
	v_cmp_le_i32_e32 vcc_lo, s9, v33
	v_cmp_gt_i32_e64 s0, s10, v33
	v_ashrrev_i32_e32 v5, 31, v4
	v_subrev_nc_u32_e32 v52, s9, v33
	v_sub_f32_e32 v51, v1, v7
	s_and_b32 s0, vcc_lo, s0
	s_delay_alu instid0(SALU_CYCLE_1) | instskip(NEXT) | instid1(VALU_DEP_1)
	s_and_b32 vcc_lo, s17, s0
	v_mul_f32_e32 v1, 0x3fb8aa3b, v51
	s_delay_alu instid0(VALU_DEP_1) | instskip(SKIP_1) | instid1(VALU_DEP_2)
	v_fma_f32 v3, 0x3fb8aa3b, v51, -v1
	v_rndne_f32_e32 v45, v1
	v_fmac_f32_e32 v3, 0x32a5705f, v51
	s_delay_alu instid0(VALU_DEP_2) | instskip(SKIP_2) | instid1(VALU_DEP_3)
	v_sub_f32_e32 v1, v1, v45
	v_cvt_i32_f32_e32 v50, v45
	v_lshlrev_b64 v[45:46], 2, v[4:5]
	v_add_f32_e32 v1, v1, v3
	v_ashrrev_i32_e32 v3, 31, v2
	s_delay_alu instid0(VALU_DEP_2) | instskip(SKIP_1) | instid1(VALU_DEP_2)
	v_exp_f32_e32 v49, v1
	v_ashrrev_i32_e32 v1, 31, v0
	v_lshlrev_b64 v[47:48], 2, v[2:3]
	s_waitcnt_depctr 0xfff
	v_ldexp_f32 v3, v49, v50
	v_lshlrev_b64 v[49:50], 2, v[0:1]
	v_cndmask_b32_e32 v1, 0x200, v52, vcc_lo
	v_cmp_ngt_f32_e32 vcc_lo, 0xc2ce8ed0, v51
	s_delay_alu instid0(VALU_DEP_4) | instskip(SKIP_3) | instid1(VALU_DEP_4)
	v_cndmask_b32_e32 v3, 0, v3, vcc_lo
	v_add_co_u32 v45, vcc_lo, s12, v45
	v_add_co_ci_u32_e32 v46, vcc_lo, s13, v46, vcc_lo
	v_cmp_nlt_f32_e32 vcc_lo, 0x42b17218, v51
	v_cndmask_b32_e32 v3, 0x7f800000, v3, vcc_lo
	s_waitcnt lgkmcnt(0)
	v_add_co_u32 v47, vcc_lo, s4, v47
	v_add_co_ci_u32_e32 v48, vcc_lo, s5, v48, vcc_lo
	v_add_co_u32 v49, vcc_lo, s6, v49
	v_add_f32_e32 v29, v29, v3
	v_add_co_ci_u32_e32 v50, vcc_lo, s7, v50, vcc_lo
	global_store_b32 v[45:46], v3, off
	global_store_b32 v[47:48], v1, off
	;; [unrolled: 1-line block ×3, first 2 shown]
.LBB301_16:                             ;   in Loop: Header=BB301_14 Depth=1
	s_or_b32 exec_lo, exec_lo, s1
	s_delay_alu instid0(VALU_DEP_1) | instskip(SKIP_1) | instid1(VALU_DEP_1)
	v_ashrrev_i32_e32 v3, 31, v33
	s_mov_b32 s0, exec_lo
	v_lshrrev_b32_e32 v1, 27, v3
	s_delay_alu instid0(VALU_DEP_1) | instskip(NEXT) | instid1(VALU_DEP_1)
	v_add_nc_u32_e32 v1, v33, v1
	v_ashrrev_i32_e32 v1, 5, v1
	s_delay_alu instid0(VALU_DEP_1) | instskip(NEXT) | instid1(VALU_DEP_1)
	v_lshrrev_b32_e32 v5, 28, v1
	v_add_nc_u32_e32 v5, v1, v5
	s_delay_alu instid0(VALU_DEP_1) | instskip(NEXT) | instid1(VALU_DEP_1)
	v_and_b32_e32 v5, -16, v5
	v_sub_nc_u32_e32 v5, v1, v5
	s_delay_alu instid0(VALU_DEP_1)
	v_cmpx_eq_u32_e64 v30, v5
	s_cbranch_execz .LBB301_13
; %bb.17:                               ;   in Loop: Header=BB301_14 Depth=1
	v_lshrrev_b32_e32 v3, 23, v3
	v_lshlrev_b32_e32 v1, 5, v1
	s_delay_alu instid0(VALU_DEP_2) | instskip(NEXT) | instid1(VALU_DEP_2)
	v_add_nc_u32_e32 v3, v33, v3
	v_sub_nc_u32_e32 v1, v33, v1
	s_delay_alu instid0(VALU_DEP_2) | instskip(NEXT) | instid1(VALU_DEP_1)
	v_ashrrev_i32_e32 v3, 9, v3
	v_lshl_add_u32 v1, v3, 5, v1
	s_delay_alu instid0(VALU_DEP_1)
	v_lshl_add_u32 v1, v1, 2, 0
	scratch_store_b32 v1, v32, off
	s_branch .LBB301_13
.LBB301_18:
	scratch_load_b64 v[2:3], off, off offset:92
.LBB301_19:
	scratch_load_b128 v[8:11], off, off
	s_waitcnt vmcnt(0)
	v_sub_f32_e32 v0, v8, v7
	s_delay_alu instid0(VALU_DEP_1) | instskip(NEXT) | instid1(VALU_DEP_1)
	v_mul_f32_e32 v1, 0x3fb8aa3b, v0
	v_fma_f32 v4, 0x3fb8aa3b, v0, -v1
	v_rndne_f32_e32 v5, v1
	s_delay_alu instid0(VALU_DEP_1) | instskip(SKIP_1) | instid1(VALU_DEP_4)
	v_sub_f32_e32 v1, v1, v5
	v_cmp_ngt_f32_e32 vcc_lo, 0xc2ce8ed0, v0
	v_fmac_f32_e32 v4, 0x32a5705f, v0
	s_delay_alu instid0(VALU_DEP_1) | instskip(SKIP_1) | instid1(VALU_DEP_2)
	v_add_f32_e32 v1, v1, v4
	v_cvt_i32_f32_e32 v4, v5
	v_exp_f32_e32 v1, v1
	s_waitcnt_depctr 0xfff
	v_ldexp_f32 v1, v1, v4
	s_delay_alu instid0(VALU_DEP_1) | instskip(SKIP_1) | instid1(VALU_DEP_2)
	v_cndmask_b32_e32 v1, 0, v1, vcc_lo
	v_cmp_nlt_f32_e32 vcc_lo, 0x42b17218, v0
	v_dual_cndmask_b32 v0, 0x7f800000, v1 :: v_dual_sub_f32 v1, v9, v7
	s_delay_alu instid0(VALU_DEP_1) | instskip(SKIP_1) | instid1(VALU_DEP_2)
	v_mul_f32_e32 v4, 0x3fb8aa3b, v1
	v_cmp_ngt_f32_e32 vcc_lo, 0xc2ce8ed0, v1
	v_fma_f32 v5, 0x3fb8aa3b, v1, -v4
	v_rndne_f32_e32 v6, v4
	s_delay_alu instid0(VALU_DEP_1) | instskip(NEXT) | instid1(VALU_DEP_1)
	v_dual_fmac_f32 v5, 0x32a5705f, v1 :: v_dual_sub_f32 v4, v4, v6
	v_add_f32_e32 v4, v4, v5
	v_cvt_i32_f32_e32 v5, v6
	s_delay_alu instid0(VALU_DEP_2) | instskip(SKIP_2) | instid1(VALU_DEP_1)
	v_exp_f32_e32 v4, v4
	s_waitcnt_depctr 0xfff
	v_ldexp_f32 v4, v4, v5
	v_cndmask_b32_e32 v4, 0, v4, vcc_lo
	v_cmp_nlt_f32_e32 vcc_lo, 0x42b17218, v1
	s_delay_alu instid0(VALU_DEP_2) | instskip(NEXT) | instid1(VALU_DEP_1)
	v_cndmask_b32_e32 v1, 0x7f800000, v4, vcc_lo
	v_dual_add_f32 v0, v0, v1 :: v_dual_sub_f32 v1, v10, v7
	s_delay_alu instid0(VALU_DEP_1) | instskip(SKIP_1) | instid1(VALU_DEP_2)
	v_mul_f32_e32 v4, 0x3fb8aa3b, v1
	v_cmp_ngt_f32_e32 vcc_lo, 0xc2ce8ed0, v1
	v_fma_f32 v5, 0x3fb8aa3b, v1, -v4
	v_rndne_f32_e32 v6, v4
	s_delay_alu instid0(VALU_DEP_1) | instskip(NEXT) | instid1(VALU_DEP_1)
	v_dual_fmac_f32 v5, 0x32a5705f, v1 :: v_dual_sub_f32 v4, v4, v6
	v_add_f32_e32 v4, v4, v5
	v_cvt_i32_f32_e32 v5, v6
	s_delay_alu instid0(VALU_DEP_2) | instskip(SKIP_2) | instid1(VALU_DEP_1)
	v_exp_f32_e32 v4, v4
	s_waitcnt_depctr 0xfff
	v_ldexp_f32 v4, v4, v5
	v_cndmask_b32_e32 v4, 0, v4, vcc_lo
	v_cmp_nlt_f32_e32 vcc_lo, 0x42b17218, v1
	s_delay_alu instid0(VALU_DEP_2) | instskip(NEXT) | instid1(VALU_DEP_1)
	v_cndmask_b32_e32 v1, 0x7f800000, v4, vcc_lo
	v_dual_add_f32 v0, v0, v1 :: v_dual_sub_f32 v1, v11, v7
	scratch_load_b128 v[8:11], off, off offset:16
	v_mul_f32_e32 v4, 0x3fb8aa3b, v1
	v_cmp_ngt_f32_e32 vcc_lo, 0xc2ce8ed0, v1
	s_delay_alu instid0(VALU_DEP_2) | instskip(SKIP_1) | instid1(VALU_DEP_1)
	v_fma_f32 v5, 0x3fb8aa3b, v1, -v4
	v_rndne_f32_e32 v6, v4
	v_dual_fmac_f32 v5, 0x32a5705f, v1 :: v_dual_sub_f32 v4, v4, v6
	s_delay_alu instid0(VALU_DEP_1) | instskip(SKIP_1) | instid1(VALU_DEP_2)
	v_add_f32_e32 v4, v4, v5
	v_cvt_i32_f32_e32 v5, v6
	v_exp_f32_e32 v4, v4
	s_waitcnt_depctr 0xfff
	v_ldexp_f32 v4, v4, v5
	s_delay_alu instid0(VALU_DEP_1) | instskip(SKIP_1) | instid1(VALU_DEP_2)
	v_cndmask_b32_e32 v4, 0, v4, vcc_lo
	v_cmp_nlt_f32_e32 vcc_lo, 0x42b17218, v1
	v_cndmask_b32_e32 v1, 0x7f800000, v4, vcc_lo
	s_delay_alu instid0(VALU_DEP_1) | instskip(SKIP_2) | instid1(VALU_DEP_1)
	v_add_f32_e32 v0, v0, v1
	s_waitcnt vmcnt(0)
	v_sub_f32_e32 v1, v8, v7
	v_mul_f32_e32 v4, 0x3fb8aa3b, v1
	v_cmp_ngt_f32_e32 vcc_lo, 0xc2ce8ed0, v1
	s_delay_alu instid0(VALU_DEP_2) | instskip(SKIP_1) | instid1(VALU_DEP_1)
	v_fma_f32 v5, 0x3fb8aa3b, v1, -v4
	v_rndne_f32_e32 v6, v4
	v_dual_fmac_f32 v5, 0x32a5705f, v1 :: v_dual_sub_f32 v4, v4, v6
	s_delay_alu instid0(VALU_DEP_1) | instskip(SKIP_1) | instid1(VALU_DEP_2)
	v_add_f32_e32 v4, v4, v5
	v_cvt_i32_f32_e32 v5, v6
	v_exp_f32_e32 v4, v4
	s_waitcnt_depctr 0xfff
	v_ldexp_f32 v4, v4, v5
	s_delay_alu instid0(VALU_DEP_1) | instskip(SKIP_1) | instid1(VALU_DEP_2)
	v_cndmask_b32_e32 v4, 0, v4, vcc_lo
	v_cmp_nlt_f32_e32 vcc_lo, 0x42b17218, v1
	v_cndmask_b32_e32 v1, 0x7f800000, v4, vcc_lo
	s_delay_alu instid0(VALU_DEP_1) | instskip(NEXT) | instid1(VALU_DEP_1)
	v_dual_add_f32 v0, v0, v1 :: v_dual_sub_f32 v1, v9, v7
	v_mul_f32_e32 v4, 0x3fb8aa3b, v1
	v_cmp_ngt_f32_e32 vcc_lo, 0xc2ce8ed0, v1
	s_delay_alu instid0(VALU_DEP_2) | instskip(SKIP_1) | instid1(VALU_DEP_1)
	v_fma_f32 v5, 0x3fb8aa3b, v1, -v4
	v_rndne_f32_e32 v6, v4
	v_dual_fmac_f32 v5, 0x32a5705f, v1 :: v_dual_sub_f32 v4, v4, v6
	s_delay_alu instid0(VALU_DEP_1) | instskip(SKIP_1) | instid1(VALU_DEP_2)
	v_add_f32_e32 v4, v4, v5
	v_cvt_i32_f32_e32 v5, v6
	v_exp_f32_e32 v4, v4
	s_waitcnt_depctr 0xfff
	v_ldexp_f32 v4, v4, v5
	s_delay_alu instid0(VALU_DEP_1) | instskip(SKIP_1) | instid1(VALU_DEP_2)
	v_cndmask_b32_e32 v4, 0, v4, vcc_lo
	v_cmp_nlt_f32_e32 vcc_lo, 0x42b17218, v1
	v_cndmask_b32_e32 v1, 0x7f800000, v4, vcc_lo
	s_delay_alu instid0(VALU_DEP_1) | instskip(NEXT) | instid1(VALU_DEP_1)
	v_dual_add_f32 v0, v0, v1 :: v_dual_sub_f32 v1, v10, v7
	v_mul_f32_e32 v4, 0x3fb8aa3b, v1
	v_cmp_ngt_f32_e32 vcc_lo, 0xc2ce8ed0, v1
	s_delay_alu instid0(VALU_DEP_2) | instskip(SKIP_1) | instid1(VALU_DEP_1)
	v_fma_f32 v5, 0x3fb8aa3b, v1, -v4
	v_rndne_f32_e32 v6, v4
	v_dual_fmac_f32 v5, 0x32a5705f, v1 :: v_dual_sub_f32 v4, v4, v6
	s_delay_alu instid0(VALU_DEP_1) | instskip(SKIP_1) | instid1(VALU_DEP_2)
	v_add_f32_e32 v4, v4, v5
	v_cvt_i32_f32_e32 v5, v6
	v_exp_f32_e32 v4, v4
	s_waitcnt_depctr 0xfff
	v_ldexp_f32 v4, v4, v5
	s_delay_alu instid0(VALU_DEP_1) | instskip(SKIP_1) | instid1(VALU_DEP_2)
	v_cndmask_b32_e32 v4, 0, v4, vcc_lo
	v_cmp_nlt_f32_e32 vcc_lo, 0x42b17218, v1
	v_cndmask_b32_e32 v1, 0x7f800000, v4, vcc_lo
	s_delay_alu instid0(VALU_DEP_1) | instskip(SKIP_3) | instid1(VALU_DEP_2)
	v_dual_add_f32 v0, v0, v1 :: v_dual_sub_f32 v1, v11, v7
	scratch_load_b128 v[8:11], off, off offset:32
	v_mul_f32_e32 v4, 0x3fb8aa3b, v1
	v_cmp_ngt_f32_e32 vcc_lo, 0xc2ce8ed0, v1
	v_fma_f32 v5, 0x3fb8aa3b, v1, -v4
	v_rndne_f32_e32 v6, v4
	s_delay_alu instid0(VALU_DEP_1) | instskip(NEXT) | instid1(VALU_DEP_1)
	v_dual_fmac_f32 v5, 0x32a5705f, v1 :: v_dual_sub_f32 v4, v4, v6
	v_add_f32_e32 v4, v4, v5
	v_cvt_i32_f32_e32 v5, v6
	s_delay_alu instid0(VALU_DEP_2) | instskip(SKIP_2) | instid1(VALU_DEP_1)
	v_exp_f32_e32 v4, v4
	s_waitcnt_depctr 0xfff
	v_ldexp_f32 v4, v4, v5
	v_cndmask_b32_e32 v4, 0, v4, vcc_lo
	v_cmp_nlt_f32_e32 vcc_lo, 0x42b17218, v1
	s_delay_alu instid0(VALU_DEP_2) | instskip(NEXT) | instid1(VALU_DEP_1)
	v_cndmask_b32_e32 v1, 0x7f800000, v4, vcc_lo
	v_add_f32_e32 v0, v0, v1
	s_waitcnt vmcnt(0)
	v_sub_f32_e32 v1, v8, v7
	s_delay_alu instid0(VALU_DEP_1) | instskip(SKIP_1) | instid1(VALU_DEP_2)
	v_mul_f32_e32 v4, 0x3fb8aa3b, v1
	v_cmp_ngt_f32_e32 vcc_lo, 0xc2ce8ed0, v1
	v_fma_f32 v5, 0x3fb8aa3b, v1, -v4
	v_rndne_f32_e32 v6, v4
	s_delay_alu instid0(VALU_DEP_1) | instskip(NEXT) | instid1(VALU_DEP_1)
	v_dual_fmac_f32 v5, 0x32a5705f, v1 :: v_dual_sub_f32 v4, v4, v6
	v_add_f32_e32 v4, v4, v5
	v_cvt_i32_f32_e32 v5, v6
	s_delay_alu instid0(VALU_DEP_2) | instskip(SKIP_2) | instid1(VALU_DEP_1)
	v_exp_f32_e32 v4, v4
	s_waitcnt_depctr 0xfff
	v_ldexp_f32 v4, v4, v5
	v_cndmask_b32_e32 v4, 0, v4, vcc_lo
	v_cmp_nlt_f32_e32 vcc_lo, 0x42b17218, v1
	s_delay_alu instid0(VALU_DEP_2) | instskip(NEXT) | instid1(VALU_DEP_1)
	v_cndmask_b32_e32 v1, 0x7f800000, v4, vcc_lo
	v_dual_add_f32 v0, v0, v1 :: v_dual_sub_f32 v1, v9, v7
	s_delay_alu instid0(VALU_DEP_1) | instskip(SKIP_1) | instid1(VALU_DEP_2)
	v_mul_f32_e32 v4, 0x3fb8aa3b, v1
	v_cmp_ngt_f32_e32 vcc_lo, 0xc2ce8ed0, v1
	v_fma_f32 v5, 0x3fb8aa3b, v1, -v4
	v_rndne_f32_e32 v6, v4
	s_delay_alu instid0(VALU_DEP_1) | instskip(NEXT) | instid1(VALU_DEP_1)
	v_dual_fmac_f32 v5, 0x32a5705f, v1 :: v_dual_sub_f32 v4, v4, v6
	v_add_f32_e32 v4, v4, v5
	v_cvt_i32_f32_e32 v5, v6
	s_delay_alu instid0(VALU_DEP_2) | instskip(SKIP_2) | instid1(VALU_DEP_1)
	v_exp_f32_e32 v4, v4
	s_waitcnt_depctr 0xfff
	v_ldexp_f32 v4, v4, v5
	v_cndmask_b32_e32 v4, 0, v4, vcc_lo
	v_cmp_nlt_f32_e32 vcc_lo, 0x42b17218, v1
	s_delay_alu instid0(VALU_DEP_2) | instskip(NEXT) | instid1(VALU_DEP_1)
	v_cndmask_b32_e32 v1, 0x7f800000, v4, vcc_lo
	v_dual_add_f32 v0, v0, v1 :: v_dual_sub_f32 v1, v10, v7
	;; [unrolled: 18-line block ×3, first 2 shown]
	scratch_load_b128 v[8:11], off, off offset:48
	v_mul_f32_e32 v4, 0x3fb8aa3b, v1
	v_cmp_ngt_f32_e32 vcc_lo, 0xc2ce8ed0, v1
	s_delay_alu instid0(VALU_DEP_2) | instskip(SKIP_1) | instid1(VALU_DEP_1)
	v_fma_f32 v5, 0x3fb8aa3b, v1, -v4
	v_rndne_f32_e32 v6, v4
	v_dual_fmac_f32 v5, 0x32a5705f, v1 :: v_dual_sub_f32 v4, v4, v6
	s_delay_alu instid0(VALU_DEP_1) | instskip(SKIP_1) | instid1(VALU_DEP_2)
	v_add_f32_e32 v4, v4, v5
	v_cvt_i32_f32_e32 v5, v6
	v_exp_f32_e32 v4, v4
	s_waitcnt_depctr 0xfff
	v_ldexp_f32 v4, v4, v5
	s_delay_alu instid0(VALU_DEP_1) | instskip(SKIP_1) | instid1(VALU_DEP_2)
	v_cndmask_b32_e32 v4, 0, v4, vcc_lo
	v_cmp_nlt_f32_e32 vcc_lo, 0x42b17218, v1
	v_cndmask_b32_e32 v1, 0x7f800000, v4, vcc_lo
	s_delay_alu instid0(VALU_DEP_1) | instskip(SKIP_2) | instid1(VALU_DEP_1)
	v_add_f32_e32 v0, v0, v1
	s_waitcnt vmcnt(0)
	v_sub_f32_e32 v1, v8, v7
	v_mul_f32_e32 v4, 0x3fb8aa3b, v1
	v_cmp_ngt_f32_e32 vcc_lo, 0xc2ce8ed0, v1
	s_delay_alu instid0(VALU_DEP_2) | instskip(SKIP_1) | instid1(VALU_DEP_1)
	v_fma_f32 v5, 0x3fb8aa3b, v1, -v4
	v_rndne_f32_e32 v6, v4
	v_dual_fmac_f32 v5, 0x32a5705f, v1 :: v_dual_sub_f32 v4, v4, v6
	s_delay_alu instid0(VALU_DEP_1) | instskip(SKIP_1) | instid1(VALU_DEP_2)
	v_add_f32_e32 v4, v4, v5
	v_cvt_i32_f32_e32 v5, v6
	v_exp_f32_e32 v4, v4
	s_waitcnt_depctr 0xfff
	v_ldexp_f32 v4, v4, v5
	s_delay_alu instid0(VALU_DEP_1) | instskip(SKIP_1) | instid1(VALU_DEP_2)
	v_cndmask_b32_e32 v4, 0, v4, vcc_lo
	v_cmp_nlt_f32_e32 vcc_lo, 0x42b17218, v1
	v_cndmask_b32_e32 v1, 0x7f800000, v4, vcc_lo
	s_delay_alu instid0(VALU_DEP_1) | instskip(NEXT) | instid1(VALU_DEP_1)
	v_dual_add_f32 v0, v0, v1 :: v_dual_sub_f32 v1, v9, v7
	v_mul_f32_e32 v4, 0x3fb8aa3b, v1
	v_cmp_ngt_f32_e32 vcc_lo, 0xc2ce8ed0, v1
	s_delay_alu instid0(VALU_DEP_2) | instskip(SKIP_1) | instid1(VALU_DEP_1)
	v_fma_f32 v5, 0x3fb8aa3b, v1, -v4
	v_rndne_f32_e32 v6, v4
	v_dual_fmac_f32 v5, 0x32a5705f, v1 :: v_dual_sub_f32 v4, v4, v6
	s_delay_alu instid0(VALU_DEP_1) | instskip(SKIP_1) | instid1(VALU_DEP_2)
	v_add_f32_e32 v4, v4, v5
	v_cvt_i32_f32_e32 v5, v6
	v_exp_f32_e32 v4, v4
	s_waitcnt_depctr 0xfff
	v_ldexp_f32 v4, v4, v5
	s_delay_alu instid0(VALU_DEP_1) | instskip(SKIP_1) | instid1(VALU_DEP_2)
	v_cndmask_b32_e32 v4, 0, v4, vcc_lo
	v_cmp_nlt_f32_e32 vcc_lo, 0x42b17218, v1
	v_cndmask_b32_e32 v1, 0x7f800000, v4, vcc_lo
	s_delay_alu instid0(VALU_DEP_1) | instskip(NEXT) | instid1(VALU_DEP_1)
	v_dual_add_f32 v0, v0, v1 :: v_dual_sub_f32 v1, v10, v7
	v_mul_f32_e32 v4, 0x3fb8aa3b, v1
	v_cmp_ngt_f32_e32 vcc_lo, 0xc2ce8ed0, v1
	s_delay_alu instid0(VALU_DEP_2) | instskip(SKIP_1) | instid1(VALU_DEP_1)
	v_fma_f32 v5, 0x3fb8aa3b, v1, -v4
	v_rndne_f32_e32 v6, v4
	v_dual_fmac_f32 v5, 0x32a5705f, v1 :: v_dual_sub_f32 v4, v4, v6
	s_delay_alu instid0(VALU_DEP_1) | instskip(SKIP_1) | instid1(VALU_DEP_2)
	v_add_f32_e32 v4, v4, v5
	v_cvt_i32_f32_e32 v5, v6
	v_exp_f32_e32 v4, v4
	s_waitcnt_depctr 0xfff
	v_ldexp_f32 v4, v4, v5
	s_delay_alu instid0(VALU_DEP_1) | instskip(SKIP_1) | instid1(VALU_DEP_2)
	v_cndmask_b32_e32 v4, 0, v4, vcc_lo
	v_cmp_nlt_f32_e32 vcc_lo, 0x42b17218, v1
	v_cndmask_b32_e32 v1, 0x7f800000, v4, vcc_lo
	s_delay_alu instid0(VALU_DEP_1) | instskip(SKIP_3) | instid1(VALU_DEP_2)
	v_dual_add_f32 v0, v0, v1 :: v_dual_sub_f32 v1, v11, v7
	scratch_load_b128 v[8:11], off, off offset:64
	v_mul_f32_e32 v4, 0x3fb8aa3b, v1
	v_cmp_ngt_f32_e32 vcc_lo, 0xc2ce8ed0, v1
	v_fma_f32 v5, 0x3fb8aa3b, v1, -v4
	v_rndne_f32_e32 v6, v4
	s_delay_alu instid0(VALU_DEP_1) | instskip(NEXT) | instid1(VALU_DEP_1)
	v_dual_fmac_f32 v5, 0x32a5705f, v1 :: v_dual_sub_f32 v4, v4, v6
	v_add_f32_e32 v4, v4, v5
	v_cvt_i32_f32_e32 v5, v6
	s_delay_alu instid0(VALU_DEP_2) | instskip(SKIP_2) | instid1(VALU_DEP_1)
	v_exp_f32_e32 v4, v4
	s_waitcnt_depctr 0xfff
	v_ldexp_f32 v4, v4, v5
	v_cndmask_b32_e32 v4, 0, v4, vcc_lo
	v_cmp_nlt_f32_e32 vcc_lo, 0x42b17218, v1
	s_delay_alu instid0(VALU_DEP_2) | instskip(NEXT) | instid1(VALU_DEP_1)
	v_cndmask_b32_e32 v1, 0x7f800000, v4, vcc_lo
	v_add_f32_e32 v0, v0, v1
	s_waitcnt vmcnt(0)
	v_sub_f32_e32 v1, v8, v7
	s_delay_alu instid0(VALU_DEP_1) | instskip(SKIP_1) | instid1(VALU_DEP_2)
	v_mul_f32_e32 v4, 0x3fb8aa3b, v1
	v_cmp_ngt_f32_e32 vcc_lo, 0xc2ce8ed0, v1
	v_fma_f32 v5, 0x3fb8aa3b, v1, -v4
	v_rndne_f32_e32 v6, v4
	s_delay_alu instid0(VALU_DEP_1) | instskip(NEXT) | instid1(VALU_DEP_1)
	v_dual_fmac_f32 v5, 0x32a5705f, v1 :: v_dual_sub_f32 v4, v4, v6
	v_add_f32_e32 v4, v4, v5
	v_cvt_i32_f32_e32 v5, v6
	s_delay_alu instid0(VALU_DEP_2) | instskip(SKIP_2) | instid1(VALU_DEP_1)
	v_exp_f32_e32 v4, v4
	s_waitcnt_depctr 0xfff
	v_ldexp_f32 v4, v4, v5
	v_cndmask_b32_e32 v4, 0, v4, vcc_lo
	v_cmp_nlt_f32_e32 vcc_lo, 0x42b17218, v1
	s_delay_alu instid0(VALU_DEP_2) | instskip(NEXT) | instid1(VALU_DEP_1)
	v_cndmask_b32_e32 v1, 0x7f800000, v4, vcc_lo
	v_dual_add_f32 v0, v0, v1 :: v_dual_sub_f32 v1, v9, v7
	s_delay_alu instid0(VALU_DEP_1) | instskip(SKIP_1) | instid1(VALU_DEP_2)
	v_mul_f32_e32 v4, 0x3fb8aa3b, v1
	v_cmp_ngt_f32_e32 vcc_lo, 0xc2ce8ed0, v1
	v_fma_f32 v5, 0x3fb8aa3b, v1, -v4
	v_rndne_f32_e32 v6, v4
	s_delay_alu instid0(VALU_DEP_1) | instskip(NEXT) | instid1(VALU_DEP_1)
	v_dual_fmac_f32 v5, 0x32a5705f, v1 :: v_dual_sub_f32 v4, v4, v6
	v_add_f32_e32 v4, v4, v5
	v_cvt_i32_f32_e32 v5, v6
	s_delay_alu instid0(VALU_DEP_2) | instskip(SKIP_2) | instid1(VALU_DEP_1)
	v_exp_f32_e32 v4, v4
	s_waitcnt_depctr 0xfff
	v_ldexp_f32 v4, v4, v5
	v_cndmask_b32_e32 v4, 0, v4, vcc_lo
	v_cmp_nlt_f32_e32 vcc_lo, 0x42b17218, v1
	s_delay_alu instid0(VALU_DEP_2) | instskip(NEXT) | instid1(VALU_DEP_1)
	v_cndmask_b32_e32 v1, 0x7f800000, v4, vcc_lo
	v_dual_add_f32 v0, v0, v1 :: v_dual_sub_f32 v1, v10, v7
	;; [unrolled: 18-line block ×3, first 2 shown]
	s_delay_alu instid0(VALU_DEP_1) | instskip(SKIP_1) | instid1(VALU_DEP_2)
	v_mul_f32_e32 v4, 0x3fb8aa3b, v1
	v_cmp_ngt_f32_e32 vcc_lo, 0xc2ce8ed0, v1
	v_fma_f32 v5, 0x3fb8aa3b, v1, -v4
	v_rndne_f32_e32 v6, v4
	s_delay_alu instid0(VALU_DEP_1) | instskip(NEXT) | instid1(VALU_DEP_1)
	v_dual_fmac_f32 v5, 0x32a5705f, v1 :: v_dual_sub_f32 v4, v4, v6
	v_add_f32_e32 v4, v4, v5
	v_cvt_i32_f32_e32 v5, v6
	s_delay_alu instid0(VALU_DEP_2) | instskip(SKIP_2) | instid1(VALU_DEP_1)
	v_exp_f32_e32 v4, v4
	s_waitcnt_depctr 0xfff
	v_ldexp_f32 v4, v4, v5
	v_cndmask_b32_e32 v4, 0, v4, vcc_lo
	v_cmp_nlt_f32_e32 vcc_lo, 0x42b17218, v1
	s_delay_alu instid0(VALU_DEP_2) | instskip(SKIP_4) | instid1(VALU_DEP_1)
	v_cndmask_b32_e32 v1, 0x7f800000, v4, vcc_lo
	scratch_load_b96 v[4:6], off, off offset:80
	v_add_f32_e32 v0, v0, v1
	s_waitcnt vmcnt(0)
	v_sub_f32_e32 v1, v4, v7
	v_mul_f32_e32 v4, 0x3fb8aa3b, v1
	v_cmp_ngt_f32_e32 vcc_lo, 0xc2ce8ed0, v1
	s_delay_alu instid0(VALU_DEP_2) | instskip(SKIP_1) | instid1(VALU_DEP_2)
	v_fma_f32 v8, 0x3fb8aa3b, v1, -v4
	v_rndne_f32_e32 v9, v4
	v_fmac_f32_e32 v8, 0x32a5705f, v1
	s_delay_alu instid0(VALU_DEP_2) | instskip(NEXT) | instid1(VALU_DEP_1)
	v_sub_f32_e32 v4, v4, v9
	v_add_f32_e32 v4, v4, v8
	v_cvt_i32_f32_e32 v8, v9
	s_delay_alu instid0(VALU_DEP_2) | instskip(SKIP_2) | instid1(VALU_DEP_1)
	v_exp_f32_e32 v4, v4
	s_waitcnt_depctr 0xfff
	v_ldexp_f32 v4, v4, v8
	v_cndmask_b32_e32 v4, 0, v4, vcc_lo
	v_cmp_nlt_f32_e32 vcc_lo, 0x42b17218, v1
	s_delay_alu instid0(VALU_DEP_2) | instskip(NEXT) | instid1(VALU_DEP_1)
	v_cndmask_b32_e32 v1, 0x7f800000, v4, vcc_lo
	v_dual_add_f32 v0, v0, v1 :: v_dual_sub_f32 v1, v5, v7
	s_delay_alu instid0(VALU_DEP_1) | instskip(SKIP_1) | instid1(VALU_DEP_2)
	v_mul_f32_e32 v4, 0x3fb8aa3b, v1
	v_cmp_ngt_f32_e32 vcc_lo, 0xc2ce8ed0, v1
	v_fma_f32 v5, 0x3fb8aa3b, v1, -v4
	v_rndne_f32_e32 v8, v4
	s_delay_alu instid0(VALU_DEP_1) | instskip(NEXT) | instid1(VALU_DEP_1)
	v_dual_fmac_f32 v5, 0x32a5705f, v1 :: v_dual_sub_f32 v4, v4, v8
	v_add_f32_e32 v4, v4, v5
	v_cvt_i32_f32_e32 v5, v8
	s_delay_alu instid0(VALU_DEP_2) | instskip(SKIP_2) | instid1(VALU_DEP_1)
	v_exp_f32_e32 v4, v4
	s_waitcnt_depctr 0xfff
	v_ldexp_f32 v4, v4, v5
	v_cndmask_b32_e32 v4, 0, v4, vcc_lo
	v_cmp_nlt_f32_e32 vcc_lo, 0x42b17218, v1
	s_delay_alu instid0(VALU_DEP_2) | instskip(NEXT) | instid1(VALU_DEP_1)
	v_cndmask_b32_e32 v1, 0x7f800000, v4, vcc_lo
	v_dual_add_f32 v0, v0, v1 :: v_dual_sub_f32 v1, v6, v7
	s_delay_alu instid0(VALU_DEP_1) | instskip(SKIP_1) | instid1(VALU_DEP_2)
	v_mul_f32_e32 v4, 0x3fb8aa3b, v1
	v_cmp_ngt_f32_e32 vcc_lo, 0xc2ce8ed0, v1
	v_fma_f32 v5, 0x3fb8aa3b, v1, -v4
	v_rndne_f32_e32 v6, v4
	s_delay_alu instid0(VALU_DEP_1) | instskip(NEXT) | instid1(VALU_DEP_1)
	v_dual_fmac_f32 v5, 0x32a5705f, v1 :: v_dual_sub_f32 v4, v4, v6
	v_add_f32_e32 v4, v4, v5
	v_cvt_i32_f32_e32 v5, v6
	s_delay_alu instid0(VALU_DEP_2) | instskip(SKIP_2) | instid1(VALU_DEP_1)
	v_exp_f32_e32 v4, v4
	s_waitcnt_depctr 0xfff
	v_ldexp_f32 v4, v4, v5
	v_cndmask_b32_e32 v4, 0, v4, vcc_lo
	v_cmp_nlt_f32_e32 vcc_lo, 0x42b17218, v1
	s_delay_alu instid0(VALU_DEP_2) | instskip(NEXT) | instid1(VALU_DEP_1)
	v_cndmask_b32_e32 v1, 0x7f800000, v4, vcc_lo
	v_dual_add_f32 v0, v0, v1 :: v_dual_sub_f32 v1, v2, v7
	s_delay_alu instid0(VALU_DEP_1) | instskip(SKIP_1) | instid1(VALU_DEP_2)
	v_mul_f32_e32 v2, 0x3fb8aa3b, v1
	v_cmp_ngt_f32_e32 vcc_lo, 0xc2ce8ed0, v1
	v_fma_f32 v4, 0x3fb8aa3b, v1, -v2
	v_rndne_f32_e32 v5, v2
	s_delay_alu instid0(VALU_DEP_2) | instskip(NEXT) | instid1(VALU_DEP_2)
	v_fmac_f32_e32 v4, 0x32a5705f, v1
	v_sub_f32_e32 v2, v2, v5
	s_delay_alu instid0(VALU_DEP_1) | instskip(SKIP_1) | instid1(VALU_DEP_2)
	v_add_f32_e32 v2, v2, v4
	v_cvt_i32_f32_e32 v4, v5
	v_exp_f32_e32 v2, v2
	s_waitcnt_depctr 0xfff
	v_ldexp_f32 v2, v2, v4
	s_delay_alu instid0(VALU_DEP_1) | instskip(SKIP_1) | instid1(VALU_DEP_2)
	v_cndmask_b32_e32 v2, 0, v2, vcc_lo
	v_cmp_nlt_f32_e32 vcc_lo, 0x42b17218, v1
	v_cndmask_b32_e32 v1, 0x7f800000, v2, vcc_lo
	s_delay_alu instid0(VALU_DEP_1) | instskip(NEXT) | instid1(VALU_DEP_1)
	v_dual_add_f32 v0, v0, v1 :: v_dual_sub_f32 v1, v3, v7
	v_mul_f32_e32 v2, 0x3fb8aa3b, v1
	v_cmp_ngt_f32_e32 vcc_lo, 0xc2ce8ed0, v1
	s_delay_alu instid0(VALU_DEP_2) | instskip(SKIP_1) | instid1(VALU_DEP_1)
	v_fma_f32 v3, 0x3fb8aa3b, v1, -v2
	v_rndne_f32_e32 v4, v2
	v_dual_fmac_f32 v3, 0x32a5705f, v1 :: v_dual_sub_f32 v2, v2, v4
	s_delay_alu instid0(VALU_DEP_1) | instskip(SKIP_1) | instid1(VALU_DEP_2)
	v_add_f32_e32 v2, v2, v3
	v_cvt_i32_f32_e32 v3, v4
	v_exp_f32_e32 v2, v2
	s_waitcnt_depctr 0xfff
	v_ldexp_f32 v2, v2, v3
	s_delay_alu instid0(VALU_DEP_1) | instskip(SKIP_1) | instid1(VALU_DEP_2)
	v_cndmask_b32_e32 v2, 0, v2, vcc_lo
	v_cmp_nlt_f32_e32 vcc_lo, 0x42b17218, v1
	v_cndmask_b32_e32 v1, 0x7f800000, v2, vcc_lo
	s_delay_alu instid0(VALU_DEP_1) | instskip(SKIP_4) | instid1(VALU_DEP_2)
	v_add_f32_e32 v4, v0, v1
	scratch_load_b128 v[0:3], off, off offset:100
	s_waitcnt vmcnt(0)
	v_sub_f32_e32 v0, v0, v7
	v_sub_f32_e32 v1, v1, v7
	v_mul_f32_e32 v5, 0x3fb8aa3b, v0
	v_cmp_ngt_f32_e32 vcc_lo, 0xc2ce8ed0, v0
	s_delay_alu instid0(VALU_DEP_2) | instskip(SKIP_1) | instid1(VALU_DEP_2)
	v_fma_f32 v6, 0x3fb8aa3b, v0, -v5
	v_rndne_f32_e32 v8, v5
	v_fmac_f32_e32 v6, 0x32a5705f, v0
	s_delay_alu instid0(VALU_DEP_2) | instskip(NEXT) | instid1(VALU_DEP_1)
	v_sub_f32_e32 v5, v5, v8
	v_add_f32_e32 v5, v5, v6
	v_cvt_i32_f32_e32 v6, v8
	s_delay_alu instid0(VALU_DEP_2) | instskip(SKIP_2) | instid1(VALU_DEP_1)
	v_exp_f32_e32 v5, v5
	s_waitcnt_depctr 0xfff
	v_ldexp_f32 v5, v5, v6
	v_cndmask_b32_e32 v5, 0, v5, vcc_lo
	v_cmp_nlt_f32_e32 vcc_lo, 0x42b17218, v0
	s_delay_alu instid0(VALU_DEP_2) | instskip(SKIP_1) | instid1(VALU_DEP_2)
	v_cndmask_b32_e32 v0, 0x7f800000, v5, vcc_lo
	v_cmp_ngt_f32_e32 vcc_lo, 0xc2ce8ed0, v1
	v_add_f32_e32 v0, v4, v0
	v_mul_f32_e32 v4, 0x3fb8aa3b, v1
	s_delay_alu instid0(VALU_DEP_1) | instskip(SKIP_1) | instid1(VALU_DEP_1)
	v_fma_f32 v5, 0x3fb8aa3b, v1, -v4
	v_rndne_f32_e32 v6, v4
	v_dual_fmac_f32 v5, 0x32a5705f, v1 :: v_dual_sub_f32 v4, v4, v6
	s_delay_alu instid0(VALU_DEP_1) | instskip(SKIP_1) | instid1(VALU_DEP_2)
	v_add_f32_e32 v4, v4, v5
	v_cvt_i32_f32_e32 v5, v6
	v_exp_f32_e32 v4, v4
	s_waitcnt_depctr 0xfff
	v_ldexp_f32 v4, v4, v5
	s_delay_alu instid0(VALU_DEP_1) | instskip(SKIP_1) | instid1(VALU_DEP_2)
	v_cndmask_b32_e32 v4, 0, v4, vcc_lo
	v_cmp_nlt_f32_e32 vcc_lo, 0x42b17218, v1
	v_cndmask_b32_e32 v1, 0x7f800000, v4, vcc_lo
	s_delay_alu instid0(VALU_DEP_1) | instskip(NEXT) | instid1(VALU_DEP_1)
	v_dual_add_f32 v0, v0, v1 :: v_dual_sub_f32 v1, v2, v7
	v_mul_f32_e32 v2, 0x3fb8aa3b, v1
	v_cmp_ngt_f32_e32 vcc_lo, 0xc2ce8ed0, v1
	s_delay_alu instid0(VALU_DEP_2) | instskip(SKIP_1) | instid1(VALU_DEP_2)
	v_fma_f32 v4, 0x3fb8aa3b, v1, -v2
	v_rndne_f32_e32 v5, v2
	v_fmac_f32_e32 v4, 0x32a5705f, v1
	s_delay_alu instid0(VALU_DEP_2) | instskip(NEXT) | instid1(VALU_DEP_1)
	v_sub_f32_e32 v2, v2, v5
	v_add_f32_e32 v2, v2, v4
	v_cvt_i32_f32_e32 v4, v5
	s_delay_alu instid0(VALU_DEP_2) | instskip(SKIP_2) | instid1(VALU_DEP_1)
	v_exp_f32_e32 v2, v2
	s_waitcnt_depctr 0xfff
	v_ldexp_f32 v2, v2, v4
	v_cndmask_b32_e32 v2, 0, v2, vcc_lo
	v_cmp_nlt_f32_e32 vcc_lo, 0x42b17218, v1
	s_delay_alu instid0(VALU_DEP_2) | instskip(NEXT) | instid1(VALU_DEP_1)
	v_cndmask_b32_e32 v1, 0x7f800000, v2, vcc_lo
	v_dual_add_f32 v0, v0, v1 :: v_dual_sub_f32 v1, v3, v7
	s_delay_alu instid0(VALU_DEP_1) | instskip(SKIP_1) | instid1(VALU_DEP_2)
	v_mul_f32_e32 v2, 0x3fb8aa3b, v1
	v_cmp_ngt_f32_e32 vcc_lo, 0xc2ce8ed0, v1
	v_fma_f32 v3, 0x3fb8aa3b, v1, -v2
	v_rndne_f32_e32 v4, v2
	s_delay_alu instid0(VALU_DEP_1) | instskip(NEXT) | instid1(VALU_DEP_1)
	v_dual_fmac_f32 v3, 0x32a5705f, v1 :: v_dual_sub_f32 v2, v2, v4
	v_add_f32_e32 v2, v2, v3
	v_cvt_i32_f32_e32 v3, v4
	s_delay_alu instid0(VALU_DEP_2) | instskip(SKIP_2) | instid1(VALU_DEP_1)
	v_exp_f32_e32 v2, v2
	s_waitcnt_depctr 0xfff
	v_ldexp_f32 v2, v2, v3
	v_cndmask_b32_e32 v2, 0, v2, vcc_lo
	v_cmp_nlt_f32_e32 vcc_lo, 0x42b17218, v1
	s_delay_alu instid0(VALU_DEP_2) | instskip(NEXT) | instid1(VALU_DEP_1)
	v_cndmask_b32_e32 v1, 0x7f800000, v2, vcc_lo
	v_add_f32_e32 v3, v0, v1
	scratch_load_b96 v[0:2], off, off offset:116
	s_waitcnt vmcnt(0)
	v_sub_f32_e32 v0, v0, v7
	s_delay_alu instid0(VALU_DEP_1) | instskip(SKIP_1) | instid1(VALU_DEP_2)
	v_dual_sub_f32 v1, v1, v7 :: v_dual_mul_f32 v4, 0x3fb8aa3b, v0
	v_cmp_ngt_f32_e32 vcc_lo, 0xc2ce8ed0, v0
	v_fma_f32 v5, 0x3fb8aa3b, v0, -v4
	v_rndne_f32_e32 v6, v4
	s_delay_alu instid0(VALU_DEP_1) | instskip(NEXT) | instid1(VALU_DEP_1)
	v_dual_fmac_f32 v5, 0x32a5705f, v0 :: v_dual_sub_f32 v4, v4, v6
	v_add_f32_e32 v4, v4, v5
	v_cvt_i32_f32_e32 v5, v6
	s_delay_alu instid0(VALU_DEP_2) | instskip(SKIP_2) | instid1(VALU_DEP_1)
	v_exp_f32_e32 v4, v4
	s_waitcnt_depctr 0xfff
	v_ldexp_f32 v4, v4, v5
	v_cndmask_b32_e32 v4, 0, v4, vcc_lo
	v_cmp_nlt_f32_e32 vcc_lo, 0x42b17218, v0
	s_delay_alu instid0(VALU_DEP_2) | instskip(SKIP_1) | instid1(VALU_DEP_2)
	v_cndmask_b32_e32 v0, 0x7f800000, v4, vcc_lo
	v_cmp_ngt_f32_e32 vcc_lo, 0xc2ce8ed0, v1
	v_dual_add_f32 v0, v3, v0 :: v_dual_mul_f32 v3, 0x3fb8aa3b, v1
	s_delay_alu instid0(VALU_DEP_1) | instskip(SKIP_1) | instid1(VALU_DEP_2)
	v_fma_f32 v4, 0x3fb8aa3b, v1, -v3
	v_rndne_f32_e32 v5, v3
	v_fmac_f32_e32 v4, 0x32a5705f, v1
	s_delay_alu instid0(VALU_DEP_2) | instskip(NEXT) | instid1(VALU_DEP_1)
	v_sub_f32_e32 v3, v3, v5
	v_add_f32_e32 v3, v3, v4
	v_cvt_i32_f32_e32 v4, v5
	s_delay_alu instid0(VALU_DEP_2) | instskip(SKIP_2) | instid1(VALU_DEP_1)
	v_exp_f32_e32 v3, v3
	s_waitcnt_depctr 0xfff
	v_ldexp_f32 v3, v3, v4
	v_cndmask_b32_e32 v3, 0, v3, vcc_lo
	v_cmp_nlt_f32_e32 vcc_lo, 0x42b17218, v1
	s_delay_alu instid0(VALU_DEP_2) | instskip(NEXT) | instid1(VALU_DEP_1)
	v_cndmask_b32_e32 v1, 0x7f800000, v3, vcc_lo
	v_dual_add_f32 v0, v0, v1 :: v_dual_sub_f32 v1, v2, v7
	s_delay_alu instid0(VALU_DEP_1) | instskip(SKIP_1) | instid1(VALU_DEP_2)
	v_mul_f32_e32 v2, 0x3fb8aa3b, v1
	v_cmp_ngt_f32_e32 vcc_lo, 0xc2ce8ed0, v1
	v_fma_f32 v3, 0x3fb8aa3b, v1, -v2
	v_rndne_f32_e32 v4, v2
	s_delay_alu instid0(VALU_DEP_1) | instskip(NEXT) | instid1(VALU_DEP_1)
	v_dual_fmac_f32 v3, 0x32a5705f, v1 :: v_dual_sub_f32 v2, v2, v4
	v_add_f32_e32 v2, v2, v3
	v_cvt_i32_f32_e32 v3, v4
	s_delay_alu instid0(VALU_DEP_2) | instskip(SKIP_2) | instid1(VALU_DEP_1)
	v_exp_f32_e32 v2, v2
	s_waitcnt_depctr 0xfff
	v_ldexp_f32 v2, v2, v3
	v_cndmask_b32_e32 v2, 0, v2, vcc_lo
	v_cmp_nlt_f32_e32 vcc_lo, 0x42b17218, v1
	s_delay_alu instid0(VALU_DEP_2) | instskip(NEXT) | instid1(VALU_DEP_1)
	v_cndmask_b32_e32 v1, 0x7f800000, v2, vcc_lo
	v_add_f32_e32 v0, v0, v1
	s_delay_alu instid0(VALU_DEP_1) | instskip(NEXT) | instid1(VALU_DEP_1)
	v_mov_b32_dpp v1, v0 quad_perm:[1,0,3,2] row_mask:0xf bank_mask:0xf
	v_add_f32_e32 v0, v0, v1
	s_delay_alu instid0(VALU_DEP_1) | instskip(NEXT) | instid1(VALU_DEP_1)
	v_mov_b32_dpp v1, v0 quad_perm:[2,3,0,1] row_mask:0xf bank_mask:0xf
	v_add_f32_e32 v0, v0, v1
	s_delay_alu instid0(VALU_DEP_1) | instskip(NEXT) | instid1(VALU_DEP_1)
	v_mov_b32_dpp v1, v0 row_half_mirror row_mask:0xf bank_mask:0xf
	v_add_f32_e32 v0, v0, v1
	s_delay_alu instid0(VALU_DEP_1)
	v_mov_b32_dpp v1, v0 row_mirror row_mask:0xf bank_mask:0xf
	s_and_b32 exec_lo, exec_lo, s2
	s_cbranch_execz .LBB301_24
; %bb.20:
	s_delay_alu instid0(VALU_DEP_1) | instskip(NEXT) | instid1(VALU_DEP_1)
	v_add_f32_e32 v0, v0, v1
	v_add_f32_e32 v0, v29, v0
	s_delay_alu instid0(VALU_DEP_1)
	v_cmp_neq_f32_e32 vcc_lo, 0, v0
	s_and_b32 exec_lo, exec_lo, vcc_lo
	s_cbranch_execz .LBB301_24
; %bb.21:
	s_and_not1_b32 vcc_lo, exec_lo, s15
	s_cbranch_vccnz .LBB301_24
; %bb.22:
	v_div_scale_f32 v2, null, v0, v0, 1.0
	v_div_scale_f32 v4, vcc_lo, 1.0, v0, 1.0
	s_delay_alu instid0(VALU_DEP_2) | instskip(SKIP_2) | instid1(VALU_DEP_1)
	v_rcp_f32_e32 v3, v2
	s_waitcnt_depctr 0xfff
	v_fma_f32 v1, -v2, v3, 1.0
	v_fmac_f32_e32 v3, v1, v3
	v_mul_lo_u32 v1, v28, s11
	s_delay_alu instid0(VALU_DEP_2) | instskip(NEXT) | instid1(VALU_DEP_1)
	v_mul_f32_e32 v5, v4, v3
	v_fma_f32 v6, -v2, v5, v4
	s_delay_alu instid0(VALU_DEP_1) | instskip(NEXT) | instid1(VALU_DEP_1)
	v_fmac_f32_e32 v5, v6, v3
	v_fma_f32 v4, -v2, v5, v4
	v_ashrrev_i32_e32 v2, 31, v1
	s_delay_alu instid0(VALU_DEP_2) | instskip(NEXT) | instid1(VALU_DEP_2)
	v_div_fmas_f32 v5, v4, v3, v5
	v_lshlrev_b64 v[3:4], 2, v[1:2]
	s_delay_alu instid0(VALU_DEP_2) | instskip(NEXT) | instid1(VALU_DEP_2)
	v_div_fixup_f32 v2, v5, v0, 1.0
	v_add_co_u32 v0, vcc_lo, s12, v3
	s_delay_alu instid0(VALU_DEP_3)
	v_add_co_ci_u32_e32 v1, vcc_lo, s13, v4, vcc_lo
.LBB301_23:                             ; =>This Inner Loop Header: Depth=1
	global_load_b32 v3, v[0:1], off
	s_add_i32 s8, s8, -1
	s_delay_alu instid0(SALU_CYCLE_1)
	s_cmp_lg_u32 s8, 0
	s_waitcnt vmcnt(0)
	v_mul_f32_e32 v3, v2, v3
	global_store_b32 v[0:1], v3, off
	v_add_co_u32 v0, vcc_lo, v0, 4
	v_add_co_ci_u32_e32 v1, vcc_lo, 0, v1, vcc_lo
	s_cbranch_scc1 .LBB301_23
.LBB301_24:
	s_endpgm
	.section	.rodata,"a",@progbits
	.p2align	6, 0x0
	.amdhsa_kernel _ZN4vllm3moe17topkGatingSoftmaxItLi32ELi512ELi2ELi64ELb0ELi1ELNS0_23SharedExpertScoringFuncE1EEEvPKT_PKbPfiPiS9_iiiiii
		.amdhsa_group_segment_fixed_size 0
		.amdhsa_private_segment_fixed_size 144
		.amdhsa_kernarg_size 72
		.amdhsa_user_sgpr_count 15
		.amdhsa_user_sgpr_dispatch_ptr 0
		.amdhsa_user_sgpr_queue_ptr 0
		.amdhsa_user_sgpr_kernarg_segment_ptr 1
		.amdhsa_user_sgpr_dispatch_id 0
		.amdhsa_user_sgpr_private_segment_size 0
		.amdhsa_wavefront_size32 1
		.amdhsa_uses_dynamic_stack 0
		.amdhsa_enable_private_segment 1
		.amdhsa_system_sgpr_workgroup_id_x 1
		.amdhsa_system_sgpr_workgroup_id_y 0
		.amdhsa_system_sgpr_workgroup_id_z 0
		.amdhsa_system_sgpr_workgroup_info 0
		.amdhsa_system_vgpr_workitem_id 1
		.amdhsa_next_free_vgpr 77
		.amdhsa_next_free_sgpr 19
		.amdhsa_reserve_vcc 1
		.amdhsa_float_round_mode_32 0
		.amdhsa_float_round_mode_16_64 0
		.amdhsa_float_denorm_mode_32 3
		.amdhsa_float_denorm_mode_16_64 3
		.amdhsa_dx10_clamp 1
		.amdhsa_ieee_mode 1
		.amdhsa_fp16_overflow 0
		.amdhsa_workgroup_processor_mode 1
		.amdhsa_memory_ordered 1
		.amdhsa_forward_progress 0
		.amdhsa_shared_vgpr_count 0
		.amdhsa_exception_fp_ieee_invalid_op 0
		.amdhsa_exception_fp_denorm_src 0
		.amdhsa_exception_fp_ieee_div_zero 0
		.amdhsa_exception_fp_ieee_overflow 0
		.amdhsa_exception_fp_ieee_underflow 0
		.amdhsa_exception_fp_ieee_inexact 0
		.amdhsa_exception_int_div_zero 0
	.end_amdhsa_kernel
	.section	.text._ZN4vllm3moe17topkGatingSoftmaxItLi32ELi512ELi2ELi64ELb0ELi1ELNS0_23SharedExpertScoringFuncE1EEEvPKT_PKbPfiPiS9_iiiiii,"axG",@progbits,_ZN4vllm3moe17topkGatingSoftmaxItLi32ELi512ELi2ELi64ELb0ELi1ELNS0_23SharedExpertScoringFuncE1EEEvPKT_PKbPfiPiS9_iiiiii,comdat
.Lfunc_end301:
	.size	_ZN4vllm3moe17topkGatingSoftmaxItLi32ELi512ELi2ELi64ELb0ELi1ELNS0_23SharedExpertScoringFuncE1EEEvPKT_PKbPfiPiS9_iiiiii, .Lfunc_end301-_ZN4vllm3moe17topkGatingSoftmaxItLi32ELi512ELi2ELi64ELb0ELi1ELNS0_23SharedExpertScoringFuncE1EEEvPKT_PKbPfiPiS9_iiiiii
                                        ; -- End function
	.section	.AMDGPU.csdata,"",@progbits
; Kernel info:
; codeLenInByte = 7684
; NumSgprs: 21
; NumVgprs: 77
; ScratchSize: 144
; MemoryBound: 0
; FloatMode: 240
; IeeeMode: 1
; LDSByteSize: 0 bytes/workgroup (compile time only)
; SGPRBlocks: 2
; VGPRBlocks: 9
; NumSGPRsForWavesPerEU: 21
; NumVGPRsForWavesPerEU: 77
; Occupancy: 16
; WaveLimiterHint : 0
; COMPUTE_PGM_RSRC2:SCRATCH_EN: 1
; COMPUTE_PGM_RSRC2:USER_SGPR: 15
; COMPUTE_PGM_RSRC2:TRAP_HANDLER: 0
; COMPUTE_PGM_RSRC2:TGID_X_EN: 1
; COMPUTE_PGM_RSRC2:TGID_Y_EN: 0
; COMPUTE_PGM_RSRC2:TGID_Z_EN: 0
; COMPUTE_PGM_RSRC2:TIDIG_COMP_CNT: 1
	.section	.text._ZN4vllm3moe17topkGatingSoftmaxItLi32ELi512ELi2ELi64ELb1ELi2ELNS0_23SharedExpertScoringFuncE1EEEvPKT_PKbPfiPiS9_iiiiii,"axG",@progbits,_ZN4vllm3moe17topkGatingSoftmaxItLi32ELi512ELi2ELi64ELb1ELi2ELNS0_23SharedExpertScoringFuncE1EEEvPKT_PKbPfiPiS9_iiiiii,comdat
	.protected	_ZN4vllm3moe17topkGatingSoftmaxItLi32ELi512ELi2ELi64ELb1ELi2ELNS0_23SharedExpertScoringFuncE1EEEvPKT_PKbPfiPiS9_iiiiii ; -- Begin function _ZN4vllm3moe17topkGatingSoftmaxItLi32ELi512ELi2ELi64ELb1ELi2ELNS0_23SharedExpertScoringFuncE1EEEvPKT_PKbPfiPiS9_iiiiii
	.globl	_ZN4vllm3moe17topkGatingSoftmaxItLi32ELi512ELi2ELi64ELb1ELi2ELNS0_23SharedExpertScoringFuncE1EEEvPKT_PKbPfiPiS9_iiiiii
	.p2align	8
	.type	_ZN4vllm3moe17topkGatingSoftmaxItLi32ELi512ELi2ELi64ELb1ELi2ELNS0_23SharedExpertScoringFuncE1EEEvPKT_PKbPfiPiS9_iiiiii,@function
_ZN4vllm3moe17topkGatingSoftmaxItLi32ELi512ELi2ELi64ELb1ELi2ELNS0_23SharedExpertScoringFuncE1EEEvPKT_PKbPfiPiS9_iiiiii: ; @_ZN4vllm3moe17topkGatingSoftmaxItLi32ELi512ELi2ELi64ELb1ELi2ELNS0_23SharedExpertScoringFuncE1EEEvPKT_PKbPfiPiS9_iiiiii
; %bb.0:
	s_load_b32 s16, s[0:1], 0x18
	v_bfe_u32 v1, v0, 10, 10
	v_and_b32_e32 v0, 0x3ff, v0
	s_lshl_b32 s18, s15, 2
	s_mov_b32 s2, exec_lo
	s_delay_alu instid0(VALU_DEP_2) | instskip(NEXT) | instid1(VALU_DEP_2)
	v_lshlrev_b32_e32 v28, 1, v1
	v_lshrrev_b32_e32 v29, 4, v0
	s_delay_alu instid0(VALU_DEP_1) | instskip(SKIP_1) | instid1(VALU_DEP_1)
	v_add3_u32 v24, s18, v28, v29
	s_waitcnt lgkmcnt(0)
	v_cmpx_gt_i32_e64 s16, v24
	s_cbranch_execz .LBB302_22
; %bb.1:
	s_clause 0x1
	s_load_b128 s[4:7], s[0:1], 0x0
	s_load_b64 s[12:13], s[0:1], 0x10
	s_waitcnt lgkmcnt(0)
	s_cmp_eq_u64 s[6:7], 0
	s_cbranch_scc1 .LBB302_3
; %bb.2:
	v_ashrrev_i32_e32 v2, 31, v24
	v_add_co_u32 v1, vcc_lo, s6, v24
	s_delay_alu instid0(VALU_DEP_2) | instskip(SKIP_3) | instid1(VALU_DEP_1)
	v_add_co_ci_u32_e32 v2, vcc_lo, s7, v2, vcc_lo
	global_load_u8 v1, v[1:2], off
	s_waitcnt vmcnt(0)
	v_and_b32_e32 v1, 1, v1
	v_cmp_eq_u32_e32 vcc_lo, 1, v1
	s_xor_b32 s2, vcc_lo, -1
	s_delay_alu instid0(SALU_CYCLE_1)
	s_or_not1_b32 s17, s2, exec_lo
	s_branch .LBB302_4
.LBB302_3:
	s_mov_b32 s17, -1
.LBB302_4:
	s_load_b64 s[14:15], s[0:1], 0x40
	v_and_b32_e32 v25, 15, v0
	s_delay_alu instid0(VALU_DEP_1) | instskip(SKIP_2) | instid1(VALU_DEP_1)
	v_dual_mov_b32 v27, 0 :: v_dual_lshlrev_b32 v26, 5, v25
	s_waitcnt lgkmcnt(0)
	v_mul_lo_u32 v1, v24, s15
	v_ashrrev_i32_e32 v2, 31, v1
	s_delay_alu instid0(VALU_DEP_1) | instskip(SKIP_1) | instid1(VALU_DEP_2)
	v_lshlrev_b64 v[0:1], 1, v[1:2]
	v_lshlrev_b32_e32 v2, 6, v25
	v_add_co_u32 v30, vcc_lo, s4, v0
	s_delay_alu instid0(VALU_DEP_3) | instskip(SKIP_1) | instid1(VALU_DEP_2)
	v_add_co_ci_u32_e32 v31, vcc_lo, s5, v1, vcc_lo
	s_load_b128 s[4:7], s[0:1], 0x30
	v_add_co_u32 v12, vcc_lo, v30, v2
	s_delay_alu instid0(VALU_DEP_2)
	v_add_co_ci_u32_e32 v13, vcc_lo, 0, v31, vcc_lo
	v_cmp_gt_u32_e32 vcc_lo, 2, v25
	s_clause 0x3
	global_load_b128 v[0:3], v[12:13], off
	global_load_b128 v[4:7], v[12:13], off offset:16
	global_load_b128 v[8:11], v[12:13], off offset:32
	;; [unrolled: 1-line block ×3, first 2 shown]
	s_waitcnt vmcnt(3)
	v_and_b32_e32 v16, 0xffff, v0
	v_lshrrev_b32_e32 v0, 16, v0
	v_and_b32_e32 v17, 0xffff, v1
	v_lshrrev_b32_e32 v1, 16, v1
	v_and_b32_e32 v18, 0xffff, v2
	v_lshrrev_b32_e32 v2, 16, v2
	v_and_b32_e32 v19, 0xffff, v3
	v_lshrrev_b32_e32 v3, 16, v3
	s_waitcnt vmcnt(2)
	v_and_b32_e32 v32, 0xffff, v4
	v_lshrrev_b32_e32 v4, 16, v4
	v_and_b32_e32 v33, 0xffff, v5
	v_lshrrev_b32_e32 v5, 16, v5
	v_and_b32_e32 v34, 0xffff, v6
	v_lshrrev_b32_e32 v6, 16, v6
	v_and_b32_e32 v35, 0xffff, v7
	v_lshrrev_b32_e32 v40, 16, v7
	;; [unrolled: 9-line block ×4, first 2 shown]
	v_cvt_f32_u32_e32 v20, v16
	v_cvt_f32_u32_e32 v21, v0
	;; [unrolled: 1-line block ×32, first 2 shown]
	s_clause 0x7
	scratch_store_b128 off, v[36:39], off offset:112
	scratch_store_b128 off, v[32:35], off offset:96
	;; [unrolled: 1-line block ×7, first 2 shown]
	scratch_store_b128 off, v[20:23], off
	s_and_saveexec_b32 s2, vcc_lo
	s_cbranch_execz .LBB302_6
; %bb.5:
	v_lshlrev_b32_e32 v1, 1, v25
	s_delay_alu instid0(VALU_DEP_1) | instskip(SKIP_4) | instid1(VALU_DEP_1)
	v_add_co_u32 v1, vcc_lo, v30, v1
	v_add_co_ci_u32_e32 v2, vcc_lo, 0, v31, vcc_lo
	global_load_u16 v1, v[1:2], off offset:1024
	s_waitcnt vmcnt(0)
	v_cvt_f32_u32_e32 v1, v1
	v_mul_f32_e32 v2, 0xbfb8aa3b, v1
	v_cmp_nlt_f32_e32 vcc_lo, 0x42ce8ed0, v1
	s_delay_alu instid0(VALU_DEP_2) | instskip(SKIP_1) | instid1(VALU_DEP_1)
	v_fma_f32 v3, 0xbfb8aa3b, v1, -v2
	v_rndne_f32_e32 v30, v2
	v_dual_fmamk_f32 v3, v1, 0xb2a5705f, v3 :: v_dual_sub_f32 v2, v2, v30
	s_delay_alu instid0(VALU_DEP_1) | instskip(SKIP_1) | instid1(VALU_DEP_2)
	v_add_f32_e32 v2, v2, v3
	v_cvt_i32_f32_e32 v3, v30
	v_exp_f32_e32 v2, v2
	s_waitcnt_depctr 0xfff
	v_ldexp_f32 v2, v2, v3
	s_delay_alu instid0(VALU_DEP_1) | instskip(SKIP_1) | instid1(VALU_DEP_2)
	v_cndmask_b32_e32 v2, 0, v2, vcc_lo
	v_cmp_ngt_f32_e32 vcc_lo, 0xc2b17218, v1
	v_cndmask_b32_e32 v1, 0x7f800000, v2, vcc_lo
	s_delay_alu instid0(VALU_DEP_1) | instskip(NEXT) | instid1(VALU_DEP_1)
	v_add_f32_e32 v3, 1.0, v1
	v_div_scale_f32 v2, null, v3, v3, 1.0
	v_div_scale_f32 v31, vcc_lo, 1.0, v3, 1.0
	s_delay_alu instid0(VALU_DEP_2) | instskip(SKIP_2) | instid1(VALU_DEP_1)
	v_rcp_f32_e32 v30, v2
	s_waitcnt_depctr 0xfff
	v_fma_f32 v1, -v2, v30, 1.0
	v_fmac_f32_e32 v30, v1, v30
	s_waitcnt lgkmcnt(0)
	v_mul_lo_u32 v1, v24, s7
	s_delay_alu instid0(VALU_DEP_2) | instskip(NEXT) | instid1(VALU_DEP_2)
	v_mul_f32_e32 v32, v31, v30
	v_add3_u32 v1, v1, s4, v25
	s_delay_alu instid0(VALU_DEP_2) | instskip(NEXT) | instid1(VALU_DEP_1)
	v_fma_f32 v33, -v2, v32, v31
	v_fmac_f32_e32 v32, v33, v30
	s_delay_alu instid0(VALU_DEP_1) | instskip(NEXT) | instid1(VALU_DEP_4)
	v_fma_f32 v31, -v2, v32, v31
	v_ashrrev_i32_e32 v2, 31, v1
	s_delay_alu instid0(VALU_DEP_2) | instskip(NEXT) | instid1(VALU_DEP_2)
	v_div_fmas_f32 v30, v31, v30, v32
	v_lshlrev_b64 v[1:2], 2, v[1:2]
	s_delay_alu instid0(VALU_DEP_2) | instskip(NEXT) | instid1(VALU_DEP_2)
	v_div_fixup_f32 v3, v30, v3, 1.0
	v_add_co_u32 v1, vcc_lo, s12, v1
	s_delay_alu instid0(VALU_DEP_3)
	v_add_co_ci_u32_e32 v2, vcc_lo, s13, v2, vcc_lo
	global_store_b32 v[1:2], v3, off
.LBB302_6:
	s_or_b32 exec_lo, exec_lo, s2
	s_clause 0x2
	scratch_load_b128 v[34:37], off, off offset:84
	scratch_load_b128 v[38:41], off, off offset:100
	scratch_load_b96 v[1:3], off, off offset:116
	v_cmp_lt_f32_e32 vcc_lo, v20, v21
	v_or_b32_e32 v30, 1, v26
	v_or_b32_e32 v33, 21, v26
	;; [unrolled: 1-line block ×4, first 2 shown]
	v_cndmask_b32_e32 v21, v20, v21, vcc_lo
	v_cndmask_b32_e32 v31, v26, v30, vcc_lo
	v_or_b32_e32 v20, 2, v26
	s_delay_alu instid0(VALU_DEP_3) | instskip(NEXT) | instid1(VALU_DEP_2)
	v_cmp_lt_f32_e32 vcc_lo, v21, v22
	v_dual_cndmask_b32 v31, v31, v20 :: v_dual_cndmask_b32 v22, v21, v22
	v_or_b32_e32 v21, 3, v26
	s_delay_alu instid0(VALU_DEP_2) | instskip(SKIP_1) | instid1(VALU_DEP_3)
	v_cmp_lt_f32_e32 vcc_lo, v22, v23
	v_cndmask_b32_e32 v23, v22, v23, vcc_lo
	v_cndmask_b32_e32 v31, v31, v21, vcc_lo
	v_or_b32_e32 v22, 4, v26
	s_delay_alu instid0(VALU_DEP_3) | instskip(SKIP_1) | instid1(VALU_DEP_3)
	v_cmp_lt_f32_e32 vcc_lo, v23, v16
	v_cndmask_b32_e32 v23, v23, v16, vcc_lo
	v_cndmask_b32_e32 v31, v31, v22, vcc_lo
	v_or_b32_e32 v16, 5, v26
	s_delay_alu instid0(VALU_DEP_3) | instskip(SKIP_1) | instid1(VALU_DEP_3)
	;; [unrolled: 5-line block ×15, first 2 shown]
	v_cmp_lt_f32_e32 vcc_lo, v4, v6
	v_cndmask_b32_e32 v4, v4, v6, vcc_lo
	v_cndmask_b32_e32 v5, v32, v31, vcc_lo
	v_or_b32_e32 v32, 19, v26
	s_delay_alu instid0(VALU_DEP_3) | instskip(NEXT) | instid1(VALU_DEP_2)
	v_cmp_lt_f32_e32 vcc_lo, v4, v7
	v_dual_cndmask_b32 v4, v4, v7 :: v_dual_cndmask_b32 v5, v5, v32
	v_or_b32_e32 v7, 20, v26
	s_delay_alu instid0(VALU_DEP_2) | instskip(NEXT) | instid1(VALU_DEP_2)
	v_cmp_lt_f32_e32 vcc_lo, v4, v0
	v_dual_cndmask_b32 v0, v4, v0 :: v_dual_cndmask_b32 v5, v5, v7
	s_waitcnt vmcnt(2)
	s_delay_alu instid0(VALU_DEP_1) | instskip(SKIP_1) | instid1(VALU_DEP_3)
	v_cmp_lt_f32_e32 vcc_lo, v0, v34
	v_cndmask_b32_e32 v0, v0, v34, vcc_lo
	v_cndmask_b32_e32 v4, v5, v33, vcc_lo
	v_or_b32_e32 v34, 22, v26
	s_delay_alu instid0(VALU_DEP_3) | instskip(SKIP_1) | instid1(VALU_DEP_3)
	v_cmp_lt_f32_e32 vcc_lo, v0, v35
	v_cndmask_b32_e32 v0, v0, v35, vcc_lo
	v_cndmask_b32_e32 v4, v4, v34, vcc_lo
	v_or_b32_e32 v35, 23, v26
	s_delay_alu instid0(VALU_DEP_3) | instskip(SKIP_1) | instid1(VALU_DEP_3)
	;; [unrolled: 5-line block ×3, first 2 shown]
	v_cmp_lt_f32_e32 vcc_lo, v0, v37
	v_cndmask_b32_e32 v0, v0, v37, vcc_lo
	v_cndmask_b32_e32 v4, v4, v36, vcc_lo
	v_or_b32_e32 v37, 25, v26
	s_waitcnt vmcnt(1)
	s_delay_alu instid0(VALU_DEP_3) | instskip(SKIP_1) | instid1(VALU_DEP_3)
	v_cmp_lt_f32_e32 vcc_lo, v0, v38
	v_cndmask_b32_e32 v0, v0, v38, vcc_lo
	v_cndmask_b32_e32 v4, v4, v37, vcc_lo
	v_or_b32_e32 v38, 26, v26
	s_delay_alu instid0(VALU_DEP_3) | instskip(SKIP_1) | instid1(VALU_DEP_3)
	v_cmp_lt_f32_e32 vcc_lo, v0, v39
	v_cndmask_b32_e32 v0, v0, v39, vcc_lo
	v_cndmask_b32_e32 v4, v4, v38, vcc_lo
	v_or_b32_e32 v39, 27, v26
	;; [unrolled: 5-line block ×4, first 2 shown]
	s_waitcnt vmcnt(0)
	s_delay_alu instid0(VALU_DEP_3) | instskip(SKIP_1) | instid1(VALU_DEP_3)
	v_cmp_lt_f32_e32 vcc_lo, v0, v1
	v_cndmask_b32_e32 v0, v0, v1, vcc_lo
	v_cndmask_b32_e32 v4, v4, v41, vcc_lo
	s_delay_alu instid0(VALU_DEP_2) | instskip(SKIP_1) | instid1(VALU_DEP_3)
	v_cmp_lt_f32_e32 vcc_lo, v0, v2
	v_cndmask_b32_e32 v0, v0, v2, vcc_lo
	v_cndmask_b32_e32 v1, v4, v42, vcc_lo
	s_delay_alu instid0(VALU_DEP_2) | instskip(NEXT) | instid1(VALU_DEP_2)
	v_cmp_lt_f32_e32 vcc_lo, v0, v3
	v_cndmask_b32_e32 v1, v1, v43, vcc_lo
	v_cndmask_b32_e32 v0, v0, v3, vcc_lo
	s_delay_alu instid0(VALU_DEP_2) | instskip(NEXT) | instid1(VALU_DEP_2)
	v_mov_b32_dpp v2, v1 quad_perm:[1,0,3,2] row_mask:0xf bank_mask:0xf
	v_mov_b32_dpp v3, v0 quad_perm:[1,0,3,2] row_mask:0xf bank_mask:0xf
	s_delay_alu instid0(VALU_DEP_2) | instskip(NEXT) | instid1(VALU_DEP_2)
	v_cmp_lt_i32_e32 vcc_lo, v2, v1
	v_cmp_eq_f32_e64 s2, v0, v3
	v_cmp_lt_f32_e64 s3, v0, v3
	s_delay_alu instid0(VALU_DEP_2)
	s_and_b32 s2, s2, vcc_lo
	s_delay_alu instid0(VALU_DEP_1) | instid1(SALU_CYCLE_1)
	s_or_b32 vcc_lo, s3, s2
	v_dual_cndmask_b32 v0, v0, v3 :: v_dual_cndmask_b32 v1, v1, v2
	s_delay_alu instid0(VALU_DEP_1) | instskip(NEXT) | instid1(VALU_DEP_2)
	v_mov_b32_dpp v2, v0 quad_perm:[2,3,0,1] row_mask:0xf bank_mask:0xf
	v_mov_b32_dpp v3, v1 quad_perm:[2,3,0,1] row_mask:0xf bank_mask:0xf
	s_delay_alu instid0(VALU_DEP_2) | instskip(NEXT) | instid1(VALU_DEP_2)
	v_cmp_eq_f32_e32 vcc_lo, v0, v2
	v_cmp_lt_i32_e64 s2, v3, v1
	v_cmp_lt_f32_e64 s3, v0, v2
	s_delay_alu instid0(VALU_DEP_2)
	s_and_b32 s2, vcc_lo, s2
	s_delay_alu instid0(VALU_DEP_1) | instid1(SALU_CYCLE_1)
	s_or_b32 vcc_lo, s3, s2
	v_dual_cndmask_b32 v0, v0, v2 :: v_dual_cndmask_b32 v1, v1, v3
	s_delay_alu instid0(VALU_DEP_1) | instskip(NEXT) | instid1(VALU_DEP_2)
	v_mov_b32_dpp v2, v0 row_half_mirror row_mask:0xf bank_mask:0xf
	v_mov_b32_dpp v3, v1 row_half_mirror row_mask:0xf bank_mask:0xf
	s_delay_alu instid0(VALU_DEP_2) | instskip(NEXT) | instid1(VALU_DEP_2)
	v_cmp_eq_f32_e32 vcc_lo, v0, v2
	v_cmp_lt_i32_e64 s2, v3, v1
	v_cmp_lt_f32_e64 s3, v0, v2
	s_delay_alu instid0(VALU_DEP_2)
	s_and_b32 s2, vcc_lo, s2
	s_delay_alu instid0(VALU_DEP_1) | instid1(SALU_CYCLE_1)
	s_or_b32 vcc_lo, s3, s2
	s_waitcnt lgkmcnt(0)
	s_cmp_gt_i32 s4, 0
	v_cndmask_b32_e32 v2, v0, v2, vcc_lo
	v_cndmask_b32_e32 v0, v1, v3, vcc_lo
	v_cmp_eq_u32_e32 vcc_lo, 0, v25
	s_cselect_b32 s3, -1, 0
	s_cmp_lt_i32 s4, 1
	v_mov_b32_dpp v4, v2 row_mirror row_mask:0xf bank_mask:0xf
	v_mov_b32_dpp v6, v0 row_mirror row_mask:0xf bank_mask:0xf
	s_cbranch_scc1 .LBB302_18
; %bb.7:
	s_load_b128 s[8:11], s[0:1], 0x20
	s_delay_alu instid0(VALU_DEP_2) | instskip(NEXT) | instid1(VALU_DEP_2)
	v_cmp_eq_f32_e64 s0, v2, v4
	v_cmp_lt_i32_e64 s1, v6, v0
	v_cmp_lt_f32_e64 s2, v2, v4
	v_mul_lo_u32 v1, v24, s7
	v_mul_lo_u32 v3, v24, s14
	;; [unrolled: 1-line block ×3, first 2 shown]
	s_and_b32 s0, s0, s1
	v_mov_b32_e32 v27, 0
	s_or_b32 s0, s2, s0
	s_delay_alu instid0(SALU_CYCLE_1)
	v_cndmask_b32_e64 v0, v0, v6, s0
	v_cndmask_b32_e64 v44, v2, v4, s0
	s_and_saveexec_b32 s2, vcc_lo
	s_cbranch_execz .LBB302_9
; %bb.8:
	s_delay_alu instid0(VALU_DEP_1)
	v_sub_f32_e32 v27, v44, v44
	v_cmp_le_i32_e64 s0, s5, v0
	v_cmp_gt_i32_e64 s1, s6, v0
	v_subrev_nc_u32_e32 v51, s5, v0
	v_ashrrev_i32_e32 v6, 31, v5
	v_mul_f32_e32 v2, 0x3fb8aa3b, v27
	s_delay_alu instid0(VALU_DEP_4) | instskip(NEXT) | instid1(SALU_CYCLE_1)
	s_and_b32 s0, s0, s1
	s_and_b32 s0, s17, s0
	s_delay_alu instid0(VALU_DEP_1) | instskip(SKIP_2) | instid1(VALU_DEP_3)
	v_rndne_f32_e32 v47, v2
	v_fma_f32 v4, 0x3fb8aa3b, v27, -v2
	v_lshlrev_b64 v[49:50], 2, v[5:6]
	v_sub_f32_e32 v2, v2, v47
	s_delay_alu instid0(VALU_DEP_3) | instskip(NEXT) | instid1(VALU_DEP_1)
	v_fmamk_f32 v4, v27, 0x32a5705f, v4
	v_add_f32_e32 v4, v2, v4
	v_ashrrev_i32_e32 v2, 31, v1
	s_delay_alu instid0(VALU_DEP_2) | instskip(NEXT) | instid1(VALU_DEP_1)
	v_exp_f32_e32 v52, v4
	v_lshlrev_b64 v[45:46], 2, v[1:2]
	v_ashrrev_i32_e32 v4, 31, v3
	v_cvt_i32_f32_e32 v2, v47
	s_delay_alu instid0(VALU_DEP_2) | instskip(SKIP_2) | instid1(VALU_DEP_1)
	v_lshlrev_b64 v[47:48], 2, v[3:4]
	v_cndmask_b32_e64 v4, 0x200, v51, s0
	v_add_co_u32 v45, s0, s12, v45
	v_add_co_ci_u32_e64 v46, s0, s13, v46, s0
	s_delay_alu instid0(TRANS32_DEP_1) | instskip(SKIP_1) | instid1(VALU_DEP_1)
	v_ldexp_f32 v2, v52, v2
	v_cmp_ngt_f32_e64 s0, 0xc2ce8ed0, v27
	v_cndmask_b32_e64 v2, 0, v2, s0
	s_waitcnt lgkmcnt(0)
	v_add_co_u32 v47, s0, s8, v47
	s_delay_alu instid0(VALU_DEP_1) | instskip(SKIP_1) | instid1(VALU_DEP_1)
	v_add_co_ci_u32_e64 v48, s0, s9, v48, s0
	v_cmp_nlt_f32_e64 s0, 0x42b17218, v27
	v_cndmask_b32_e64 v27, 0x7f800000, v2, s0
	v_add_co_u32 v49, s0, s10, v49
	s_delay_alu instid0(VALU_DEP_1)
	v_add_co_ci_u32_e64 v50, s0, s11, v50, s0
	global_store_b32 v[47:48], v4, off
	global_store_b32 v[45:46], v27, off
	global_store_b32 v[49:50], v24, off
.LBB302_9:
	s_or_b32 exec_lo, exec_lo, s2
	v_ashrrev_i32_e32 v4, 31, v0
	s_mov_b32 s1, exec_lo
	s_delay_alu instid0(VALU_DEP_1) | instskip(NEXT) | instid1(VALU_DEP_1)
	v_lshrrev_b32_e32 v2, 27, v4
	v_add_nc_u32_e32 v2, v0, v2
	s_delay_alu instid0(VALU_DEP_1) | instskip(NEXT) | instid1(VALU_DEP_1)
	v_ashrrev_i32_e32 v2, 5, v2
	v_lshrrev_b32_e32 v6, 28, v2
	s_delay_alu instid0(VALU_DEP_1) | instskip(NEXT) | instid1(VALU_DEP_1)
	v_add_nc_u32_e32 v6, v2, v6
	v_and_b32_e32 v6, -16, v6
	s_delay_alu instid0(VALU_DEP_1) | instskip(NEXT) | instid1(VALU_DEP_1)
	v_sub_nc_u32_e32 v6, v2, v6
	v_cmpx_eq_u32_e64 v25, v6
	s_cbranch_execz .LBB302_11
; %bb.10:
	v_lshrrev_b32_e32 v4, 23, v4
	v_lshlrev_b32_e32 v2, 5, v2
	s_delay_alu instid0(VALU_DEP_2) | instskip(NEXT) | instid1(VALU_DEP_2)
	v_add_nc_u32_e32 v4, v0, v4
	v_sub_nc_u32_e32 v0, v0, v2
	s_delay_alu instid0(VALU_DEP_2) | instskip(NEXT) | instid1(VALU_DEP_1)
	v_ashrrev_i32_e32 v2, 9, v4
	v_lshl_add_u32 v0, v2, 5, v0
	v_mov_b32_e32 v2, 0xff800000
	s_delay_alu instid0(VALU_DEP_2)
	v_lshl_add_u32 v0, v0, 2, 0
	scratch_store_b32 v0, v2, off
.LBB302_11:
	s_or_b32 exec_lo, exec_lo, s1
	s_cmp_eq_u32 s4, 1
	s_cbranch_scc1 .LBB302_18
; %bb.12:
	s_add_i32 s18, s18, s16
	v_add_nc_u32_e32 v0, 1, v5
	v_add3_u32 v6, s18, v29, v28
	v_add_nc_u32_e32 v2, 1, v3
	v_add_nc_u32_e32 v4, 1, v1
	v_mov_b32_e32 v28, 0xff800000
	s_add_i32 s14, s4, -1
	s_branch .LBB302_14
.LBB302_13:                             ;   in Loop: Header=BB302_14 Depth=1
	s_or_b32 exec_lo, exec_lo, s1
	v_add_nc_u32_e32 v6, s16, v6
	v_add_nc_u32_e32 v0, 1, v0
	v_add_nc_u32_e32 v2, 1, v2
	v_add_nc_u32_e32 v4, 1, v4
	s_add_i32 s14, s14, -1
	s_delay_alu instid0(SALU_CYCLE_1)
	s_cmp_eq_u32 s14, 0
	s_cbranch_scc1 .LBB302_18
.LBB302_14:                             ; =>This Inner Loop Header: Depth=1
	s_clause 0x7
	scratch_load_b128 v[45:48], off, off
	scratch_load_b128 v[49:52], off, off offset:16
	scratch_load_b128 v[53:56], off, off offset:32
	;; [unrolled: 1-line block ×7, first 2 shown]
	s_waitcnt vmcnt(7)
	v_cmp_gt_f32_e64 s0, v46, v45
	s_delay_alu instid0(VALU_DEP_1) | instskip(SKIP_1) | instid1(VALU_DEP_2)
	v_cndmask_b32_e64 v3, v45, v46, s0
	v_cndmask_b32_e64 v1, v26, v30, s0
	v_cmp_gt_f32_e64 s0, v47, v3
	s_delay_alu instid0(VALU_DEP_1) | instskip(NEXT) | instid1(VALU_DEP_3)
	v_cndmask_b32_e64 v3, v3, v47, s0
	v_cndmask_b32_e64 v1, v1, v20, s0
	s_delay_alu instid0(VALU_DEP_2) | instskip(NEXT) | instid1(VALU_DEP_1)
	v_cmp_gt_f32_e64 s0, v48, v3
	v_cndmask_b32_e64 v3, v3, v48, s0
	s_delay_alu instid0(VALU_DEP_3) | instskip(SKIP_1) | instid1(VALU_DEP_2)
	v_cndmask_b32_e64 v1, v1, v21, s0
	s_waitcnt vmcnt(6)
	v_cmp_gt_f32_e64 s0, v49, v3
	s_delay_alu instid0(VALU_DEP_1) | instskip(NEXT) | instid1(VALU_DEP_3)
	v_cndmask_b32_e64 v3, v3, v49, s0
	v_cndmask_b32_e64 v1, v1, v22, s0
	s_delay_alu instid0(VALU_DEP_2) | instskip(NEXT) | instid1(VALU_DEP_1)
	v_cmp_gt_f32_e64 s0, v50, v3
	v_cndmask_b32_e64 v3, v3, v50, s0
	s_delay_alu instid0(VALU_DEP_3) | instskip(NEXT) | instid1(VALU_DEP_2)
	v_cndmask_b32_e64 v1, v1, v16, s0
	v_cmp_gt_f32_e64 s0, v51, v3
	s_delay_alu instid0(VALU_DEP_1) | instskip(NEXT) | instid1(VALU_DEP_3)
	v_cndmask_b32_e64 v3, v3, v51, s0
	v_cndmask_b32_e64 v1, v1, v17, s0
	s_delay_alu instid0(VALU_DEP_2) | instskip(NEXT) | instid1(VALU_DEP_1)
	v_cmp_gt_f32_e64 s0, v52, v3
	v_cndmask_b32_e64 v3, v3, v52, s0
	s_delay_alu instid0(VALU_DEP_3) | instskip(SKIP_1) | instid1(VALU_DEP_2)
	v_cndmask_b32_e64 v1, v1, v18, s0
	s_waitcnt vmcnt(5)
	v_cmp_gt_f32_e64 s0, v53, v3
	s_delay_alu instid0(VALU_DEP_1) | instskip(NEXT) | instid1(VALU_DEP_3)
	v_cndmask_b32_e64 v3, v3, v53, s0
	v_cndmask_b32_e64 v1, v1, v19, s0
	s_delay_alu instid0(VALU_DEP_2) | instskip(NEXT) | instid1(VALU_DEP_1)
	v_cmp_gt_f32_e64 s0, v54, v3
	v_cndmask_b32_e64 v3, v3, v54, s0
	s_delay_alu instid0(VALU_DEP_3) | instskip(NEXT) | instid1(VALU_DEP_2)
	;; [unrolled: 19-line block ×7, first 2 shown]
	v_cndmask_b32_e64 v1, v1, v41, s0
	v_cmp_gt_f32_e64 s0, v75, v3
	s_delay_alu instid0(VALU_DEP_1) | instskip(NEXT) | instid1(VALU_DEP_3)
	v_cndmask_b32_e64 v3, v3, v75, s0
	v_cndmask_b32_e64 v1, v1, v42, s0
	s_delay_alu instid0(VALU_DEP_2) | instskip(NEXT) | instid1(VALU_DEP_1)
	v_cmp_gt_f32_e64 s0, v76, v3
	v_cndmask_b32_e64 v1, v1, v43, s0
	v_cndmask_b32_e64 v3, v3, v76, s0
	s_delay_alu instid0(VALU_DEP_2) | instskip(NEXT) | instid1(VALU_DEP_2)
	v_mov_b32_dpp v5, v1 quad_perm:[1,0,3,2] row_mask:0xf bank_mask:0xf
	v_mov_b32_dpp v29, v3 quad_perm:[1,0,3,2] row_mask:0xf bank_mask:0xf
	s_delay_alu instid0(VALU_DEP_2) | instskip(NEXT) | instid1(VALU_DEP_2)
	v_cmp_lt_i32_e64 s0, v5, v1
	v_cmp_eq_f32_e64 s1, v3, v29
	v_cmp_lt_f32_e64 s2, v3, v29
	s_delay_alu instid0(VALU_DEP_2)
	s_and_b32 s0, s1, s0
	s_delay_alu instid0(VALU_DEP_1) | instid1(SALU_CYCLE_1)
	s_or_b32 s0, s2, s0
	s_delay_alu instid0(SALU_CYCLE_1) | instskip(SKIP_1) | instid1(VALU_DEP_2)
	v_cndmask_b32_e64 v3, v3, v29, s0
	v_cndmask_b32_e64 v1, v1, v5, s0
	v_mov_b32_dpp v5, v3 quad_perm:[2,3,0,1] row_mask:0xf bank_mask:0xf
	s_delay_alu instid0(VALU_DEP_2) | instskip(NEXT) | instid1(VALU_DEP_2)
	v_mov_b32_dpp v29, v1 quad_perm:[2,3,0,1] row_mask:0xf bank_mask:0xf
	v_cmp_eq_f32_e64 s0, v3, v5
	s_delay_alu instid0(VALU_DEP_2) | instskip(SKIP_1) | instid1(VALU_DEP_2)
	v_cmp_lt_i32_e64 s1, v29, v1
	v_cmp_lt_f32_e64 s2, v3, v5
	s_and_b32 s0, s0, s1
	s_delay_alu instid0(VALU_DEP_1) | instid1(SALU_CYCLE_1)
	s_or_b32 s0, s2, s0
	s_delay_alu instid0(SALU_CYCLE_1) | instskip(SKIP_1) | instid1(VALU_DEP_2)
	v_cndmask_b32_e64 v3, v3, v5, s0
	v_cndmask_b32_e64 v5, v1, v29, s0
	v_mov_b32_dpp v1, v3 row_half_mirror row_mask:0xf bank_mask:0xf
	s_delay_alu instid0(VALU_DEP_2) | instskip(NEXT) | instid1(VALU_DEP_2)
	v_mov_b32_dpp v29, v5 row_half_mirror row_mask:0xf bank_mask:0xf
	v_cmp_eq_f32_e64 s0, v3, v1
	s_delay_alu instid0(VALU_DEP_2) | instskip(SKIP_1) | instid1(VALU_DEP_2)
	v_cmp_lt_i32_e64 s1, v29, v5
	v_cmp_lt_f32_e64 s2, v3, v1
	s_and_b32 s0, s0, s1
	s_delay_alu instid0(VALU_DEP_1) | instid1(SALU_CYCLE_1)
	s_or_b32 s0, s2, s0
	s_delay_alu instid0(SALU_CYCLE_1) | instskip(SKIP_1) | instid1(VALU_DEP_2)
	v_cndmask_b32_e64 v1, v3, v1, s0
	v_cndmask_b32_e64 v5, v5, v29, s0
	v_mov_b32_dpp v3, v1 row_mirror row_mask:0xf bank_mask:0xf
	s_delay_alu instid0(VALU_DEP_2) | instskip(NEXT) | instid1(VALU_DEP_2)
	v_mov_b32_dpp v29, v5 row_mirror row_mask:0xf bank_mask:0xf
	v_cmp_eq_f32_e64 s0, v1, v3
	s_delay_alu instid0(VALU_DEP_2) | instskip(SKIP_1) | instid1(VALU_DEP_2)
	v_cmp_lt_i32_e64 s1, v29, v5
	v_cmp_lt_f32_e64 s2, v1, v3
	s_and_b32 s0, s0, s1
	s_delay_alu instid0(VALU_DEP_1) | instid1(SALU_CYCLE_1)
	s_or_b32 s0, s2, s0
	s_delay_alu instid0(SALU_CYCLE_1)
	v_cndmask_b32_e64 v29, v5, v29, s0
	s_and_saveexec_b32 s2, vcc_lo
	s_cbranch_execz .LBB302_16
; %bb.15:                               ;   in Loop: Header=BB302_14 Depth=1
	v_cndmask_b32_e64 v1, v1, v3, s0
	s_delay_alu instid0(VALU_DEP_2) | instskip(SKIP_4) | instid1(VALU_DEP_4)
	v_cmp_le_i32_e64 s0, s5, v29
	v_cmp_gt_i32_e64 s1, s6, v29
	v_ashrrev_i32_e32 v5, 31, v4
	v_subrev_nc_u32_e32 v52, s5, v29
	v_sub_f32_e32 v51, v1, v44
	s_and_b32 s0, s0, s1
	s_delay_alu instid0(SALU_CYCLE_1) | instskip(NEXT) | instid1(VALU_DEP_1)
	s_and_b32 s0, s17, s0
	v_mul_f32_e32 v1, 0x3fb8aa3b, v51
	s_delay_alu instid0(VALU_DEP_1) | instskip(SKIP_1) | instid1(VALU_DEP_2)
	v_fma_f32 v3, 0x3fb8aa3b, v51, -v1
	v_rndne_f32_e32 v45, v1
	v_fmac_f32_e32 v3, 0x32a5705f, v51
	s_delay_alu instid0(VALU_DEP_2) | instskip(SKIP_2) | instid1(VALU_DEP_3)
	v_sub_f32_e32 v1, v1, v45
	v_cvt_i32_f32_e32 v50, v45
	v_lshlrev_b64 v[45:46], 2, v[4:5]
	v_add_f32_e32 v1, v1, v3
	v_ashrrev_i32_e32 v3, 31, v2
	s_delay_alu instid0(VALU_DEP_2) | instskip(SKIP_1) | instid1(VALU_DEP_2)
	v_exp_f32_e32 v49, v1
	v_ashrrev_i32_e32 v1, 31, v0
	v_lshlrev_b64 v[47:48], 2, v[2:3]
	s_waitcnt_depctr 0xfff
	v_ldexp_f32 v3, v49, v50
	v_lshlrev_b64 v[49:50], 2, v[0:1]
	v_cndmask_b32_e64 v1, 0x200, v52, s0
	v_cmp_ngt_f32_e64 s0, 0xc2ce8ed0, v51
	s_delay_alu instid0(VALU_DEP_1) | instskip(SKIP_1) | instid1(VALU_DEP_1)
	v_cndmask_b32_e64 v3, 0, v3, s0
	v_add_co_u32 v45, s0, s12, v45
	v_add_co_ci_u32_e64 v46, s0, s13, v46, s0
	v_cmp_nlt_f32_e64 s0, 0x42b17218, v51
	s_delay_alu instid0(VALU_DEP_1) | instskip(SKIP_2) | instid1(VALU_DEP_1)
	v_cndmask_b32_e64 v3, 0x7f800000, v3, s0
	s_waitcnt lgkmcnt(0)
	v_add_co_u32 v47, s0, s8, v47
	v_add_co_ci_u32_e64 v48, s0, s9, v48, s0
	v_add_co_u32 v49, s0, s10, v49
	v_add_f32_e32 v27, v27, v3
	v_add_co_ci_u32_e64 v50, s0, s11, v50, s0
	global_store_b32 v[45:46], v3, off
	global_store_b32 v[47:48], v1, off
	;; [unrolled: 1-line block ×3, first 2 shown]
.LBB302_16:                             ;   in Loop: Header=BB302_14 Depth=1
	s_or_b32 exec_lo, exec_lo, s2
	s_delay_alu instid0(VALU_DEP_1) | instskip(SKIP_1) | instid1(VALU_DEP_1)
	v_ashrrev_i32_e32 v3, 31, v29
	s_mov_b32 s1, exec_lo
	v_lshrrev_b32_e32 v1, 27, v3
	s_delay_alu instid0(VALU_DEP_1) | instskip(NEXT) | instid1(VALU_DEP_1)
	v_add_nc_u32_e32 v1, v29, v1
	v_ashrrev_i32_e32 v1, 5, v1
	s_delay_alu instid0(VALU_DEP_1) | instskip(NEXT) | instid1(VALU_DEP_1)
	v_lshrrev_b32_e32 v5, 28, v1
	v_add_nc_u32_e32 v5, v1, v5
	s_delay_alu instid0(VALU_DEP_1) | instskip(NEXT) | instid1(VALU_DEP_1)
	v_and_b32_e32 v5, -16, v5
	v_sub_nc_u32_e32 v5, v1, v5
	s_delay_alu instid0(VALU_DEP_1)
	v_cmpx_eq_u32_e64 v25, v5
	s_cbranch_execz .LBB302_13
; %bb.17:                               ;   in Loop: Header=BB302_14 Depth=1
	v_lshrrev_b32_e32 v3, 23, v3
	v_lshlrev_b32_e32 v1, 5, v1
	s_delay_alu instid0(VALU_DEP_2) | instskip(NEXT) | instid1(VALU_DEP_2)
	v_add_nc_u32_e32 v3, v29, v3
	v_sub_nc_u32_e32 v1, v29, v1
	s_delay_alu instid0(VALU_DEP_2) | instskip(NEXT) | instid1(VALU_DEP_1)
	v_ashrrev_i32_e32 v3, 9, v3
	v_lshl_add_u32 v1, v3, 5, v1
	s_delay_alu instid0(VALU_DEP_1)
	v_lshl_add_u32 v1, v1, 2, 0
	scratch_store_b32 v1, v28, off
	s_branch .LBB302_13
.LBB302_18:
	v_cmp_eq_u32_e32 vcc_lo, 0, v25
	v_cmp_neq_f32_e64 s0, 0, v27
	s_delay_alu instid0(VALU_DEP_1) | instskip(NEXT) | instid1(SALU_CYCLE_1)
	s_and_b32 s0, vcc_lo, s0
	s_and_b32 exec_lo, exec_lo, s0
	s_cbranch_execz .LBB302_22
; %bb.19:
	s_and_not1_b32 vcc_lo, exec_lo, s3
	s_cbranch_vccnz .LBB302_22
; %bb.20:
	v_div_scale_f32 v1, null, v27, v27, 1.0
	v_div_scale_f32 v3, vcc_lo, 1.0, v27, 1.0
	s_delay_alu instid0(VALU_DEP_2) | instskip(SKIP_2) | instid1(VALU_DEP_1)
	v_rcp_f32_e32 v2, v1
	s_waitcnt_depctr 0xfff
	v_fma_f32 v0, -v1, v2, 1.0
	v_fmac_f32_e32 v2, v0, v2
	v_mul_lo_u32 v0, v24, s7
	s_delay_alu instid0(VALU_DEP_2) | instskip(NEXT) | instid1(VALU_DEP_1)
	v_mul_f32_e32 v4, v3, v2
	v_fma_f32 v5, -v1, v4, v3
	s_delay_alu instid0(VALU_DEP_1) | instskip(NEXT) | instid1(VALU_DEP_1)
	v_fmac_f32_e32 v4, v5, v2
	v_fma_f32 v3, -v1, v4, v3
	v_ashrrev_i32_e32 v1, 31, v0
	s_delay_alu instid0(VALU_DEP_2) | instskip(NEXT) | instid1(VALU_DEP_2)
	v_div_fmas_f32 v2, v3, v2, v4
	v_lshlrev_b64 v[0:1], 2, v[0:1]
	s_delay_alu instid0(VALU_DEP_2) | instskip(NEXT) | instid1(VALU_DEP_2)
	v_div_fixup_f32 v2, v2, v27, 1.0
	v_add_co_u32 v0, vcc_lo, s12, v0
	s_delay_alu instid0(VALU_DEP_3)
	v_add_co_ci_u32_e32 v1, vcc_lo, s13, v1, vcc_lo
.LBB302_21:                             ; =>This Inner Loop Header: Depth=1
	global_load_b32 v3, v[0:1], off
	s_add_i32 s4, s4, -1
	s_delay_alu instid0(SALU_CYCLE_1)
	s_cmp_lg_u32 s4, 0
	s_waitcnt vmcnt(0)
	v_mul_f32_e32 v3, v2, v3
	global_store_b32 v[0:1], v3, off
	v_add_co_u32 v0, vcc_lo, v0, 4
	v_add_co_ci_u32_e32 v1, vcc_lo, 0, v1, vcc_lo
	s_cbranch_scc1 .LBB302_21
.LBB302_22:
	s_endpgm
	.section	.rodata,"a",@progbits
	.p2align	6, 0x0
	.amdhsa_kernel _ZN4vllm3moe17topkGatingSoftmaxItLi32ELi512ELi2ELi64ELb1ELi2ELNS0_23SharedExpertScoringFuncE1EEEvPKT_PKbPfiPiS9_iiiiii
		.amdhsa_group_segment_fixed_size 0
		.amdhsa_private_segment_fixed_size 144
		.amdhsa_kernarg_size 72
		.amdhsa_user_sgpr_count 15
		.amdhsa_user_sgpr_dispatch_ptr 0
		.amdhsa_user_sgpr_queue_ptr 0
		.amdhsa_user_sgpr_kernarg_segment_ptr 1
		.amdhsa_user_sgpr_dispatch_id 0
		.amdhsa_user_sgpr_private_segment_size 0
		.amdhsa_wavefront_size32 1
		.amdhsa_uses_dynamic_stack 0
		.amdhsa_enable_private_segment 1
		.amdhsa_system_sgpr_workgroup_id_x 1
		.amdhsa_system_sgpr_workgroup_id_y 0
		.amdhsa_system_sgpr_workgroup_id_z 0
		.amdhsa_system_sgpr_workgroup_info 0
		.amdhsa_system_vgpr_workitem_id 1
		.amdhsa_next_free_vgpr 77
		.amdhsa_next_free_sgpr 19
		.amdhsa_reserve_vcc 1
		.amdhsa_float_round_mode_32 0
		.amdhsa_float_round_mode_16_64 0
		.amdhsa_float_denorm_mode_32 3
		.amdhsa_float_denorm_mode_16_64 3
		.amdhsa_dx10_clamp 1
		.amdhsa_ieee_mode 1
		.amdhsa_fp16_overflow 0
		.amdhsa_workgroup_processor_mode 1
		.amdhsa_memory_ordered 1
		.amdhsa_forward_progress 0
		.amdhsa_shared_vgpr_count 0
		.amdhsa_exception_fp_ieee_invalid_op 0
		.amdhsa_exception_fp_denorm_src 0
		.amdhsa_exception_fp_ieee_div_zero 0
		.amdhsa_exception_fp_ieee_overflow 0
		.amdhsa_exception_fp_ieee_underflow 0
		.amdhsa_exception_fp_ieee_inexact 0
		.amdhsa_exception_int_div_zero 0
	.end_amdhsa_kernel
	.section	.text._ZN4vllm3moe17topkGatingSoftmaxItLi32ELi512ELi2ELi64ELb1ELi2ELNS0_23SharedExpertScoringFuncE1EEEvPKT_PKbPfiPiS9_iiiiii,"axG",@progbits,_ZN4vllm3moe17topkGatingSoftmaxItLi32ELi512ELi2ELi64ELb1ELi2ELNS0_23SharedExpertScoringFuncE1EEEvPKT_PKbPfiPiS9_iiiiii,comdat
.Lfunc_end302:
	.size	_ZN4vllm3moe17topkGatingSoftmaxItLi32ELi512ELi2ELi64ELb1ELi2ELNS0_23SharedExpertScoringFuncE1EEEvPKT_PKbPfiPiS9_iiiiii, .Lfunc_end302-_ZN4vllm3moe17topkGatingSoftmaxItLi32ELi512ELi2ELi64ELb1ELi2ELNS0_23SharedExpertScoringFuncE1EEEvPKT_PKbPfiPiS9_iiiiii
                                        ; -- End function
	.section	.AMDGPU.csdata,"",@progbits
; Kernel info:
; codeLenInByte = 4532
; NumSgprs: 21
; NumVgprs: 77
; ScratchSize: 144
; MemoryBound: 0
; FloatMode: 240
; IeeeMode: 1
; LDSByteSize: 0 bytes/workgroup (compile time only)
; SGPRBlocks: 2
; VGPRBlocks: 9
; NumSGPRsForWavesPerEU: 21
; NumVGPRsForWavesPerEU: 77
; Occupancy: 16
; WaveLimiterHint : 0
; COMPUTE_PGM_RSRC2:SCRATCH_EN: 1
; COMPUTE_PGM_RSRC2:USER_SGPR: 15
; COMPUTE_PGM_RSRC2:TRAP_HANDLER: 0
; COMPUTE_PGM_RSRC2:TGID_X_EN: 1
; COMPUTE_PGM_RSRC2:TGID_Y_EN: 0
; COMPUTE_PGM_RSRC2:TGID_Z_EN: 0
; COMPUTE_PGM_RSRC2:TIDIG_COMP_CNT: 1
	.section	.text._ZN4vllm3moe17topkGatingSoftmaxItLi32ELi512ELi2ELi64ELb0ELi2ELNS0_23SharedExpertScoringFuncE1EEEvPKT_PKbPfiPiS9_iiiiii,"axG",@progbits,_ZN4vllm3moe17topkGatingSoftmaxItLi32ELi512ELi2ELi64ELb0ELi2ELNS0_23SharedExpertScoringFuncE1EEEvPKT_PKbPfiPiS9_iiiiii,comdat
	.protected	_ZN4vllm3moe17topkGatingSoftmaxItLi32ELi512ELi2ELi64ELb0ELi2ELNS0_23SharedExpertScoringFuncE1EEEvPKT_PKbPfiPiS9_iiiiii ; -- Begin function _ZN4vllm3moe17topkGatingSoftmaxItLi32ELi512ELi2ELi64ELb0ELi2ELNS0_23SharedExpertScoringFuncE1EEEvPKT_PKbPfiPiS9_iiiiii
	.globl	_ZN4vllm3moe17topkGatingSoftmaxItLi32ELi512ELi2ELi64ELb0ELi2ELNS0_23SharedExpertScoringFuncE1EEEvPKT_PKbPfiPiS9_iiiiii
	.p2align	8
	.type	_ZN4vllm3moe17topkGatingSoftmaxItLi32ELi512ELi2ELi64ELb0ELi2ELNS0_23SharedExpertScoringFuncE1EEEvPKT_PKbPfiPiS9_iiiiii,@function
_ZN4vllm3moe17topkGatingSoftmaxItLi32ELi512ELi2ELi64ELb0ELi2ELNS0_23SharedExpertScoringFuncE1EEEvPKT_PKbPfiPiS9_iiiiii: ; @_ZN4vllm3moe17topkGatingSoftmaxItLi32ELi512ELi2ELi64ELb0ELi2ELNS0_23SharedExpertScoringFuncE1EEEvPKT_PKbPfiPiS9_iiiiii
; %bb.0:
	s_load_b32 s16, s[0:1], 0x18
	v_bfe_u32 v1, v0, 10, 10
	v_and_b32_e32 v0, 0x3ff, v0
	s_lshl_b32 s18, s15, 2
	s_mov_b32 s2, exec_lo
	s_delay_alu instid0(VALU_DEP_2) | instskip(NEXT) | instid1(VALU_DEP_2)
	v_lshlrev_b32_e32 v32, 1, v1
	v_lshrrev_b32_e32 v33, 4, v0
	s_delay_alu instid0(VALU_DEP_1) | instskip(SKIP_1) | instid1(VALU_DEP_1)
	v_add3_u32 v28, s18, v32, v33
	s_waitcnt lgkmcnt(0)
	v_cmpx_gt_i32_e64 s16, v28
	s_cbranch_execz .LBB303_24
; %bb.1:
	s_clause 0x1
	s_load_b128 s[4:7], s[0:1], 0x0
	s_load_b64 s[12:13], s[0:1], 0x10
	s_waitcnt lgkmcnt(0)
	s_cmp_eq_u64 s[6:7], 0
	s_cbranch_scc1 .LBB303_3
; %bb.2:
	v_ashrrev_i32_e32 v2, 31, v28
	v_add_co_u32 v1, vcc_lo, s6, v28
	s_delay_alu instid0(VALU_DEP_2) | instskip(SKIP_3) | instid1(VALU_DEP_1)
	v_add_co_ci_u32_e32 v2, vcc_lo, s7, v2, vcc_lo
	global_load_u8 v1, v[1:2], off
	s_waitcnt vmcnt(0)
	v_and_b32_e32 v1, 1, v1
	v_cmp_eq_u32_e32 vcc_lo, 1, v1
	s_xor_b32 s2, vcc_lo, -1
	s_delay_alu instid0(SALU_CYCLE_1)
	s_or_not1_b32 s17, s2, exec_lo
	s_branch .LBB303_4
.LBB303_3:
	s_mov_b32 s17, -1
.LBB303_4:
	s_load_b64 s[14:15], s[0:1], 0x40
	v_dual_mov_b32 v30, 0 :: v_dual_and_b32 v29, 15, v0
	s_delay_alu instid0(VALU_DEP_1) | instskip(SKIP_2) | instid1(VALU_DEP_1)
	v_lshlrev_b32_e32 v31, 5, v29
	s_waitcnt lgkmcnt(0)
	v_mul_lo_u32 v1, v28, s15
	v_ashrrev_i32_e32 v2, 31, v1
	s_delay_alu instid0(VALU_DEP_1) | instskip(SKIP_1) | instid1(VALU_DEP_2)
	v_lshlrev_b64 v[0:1], 1, v[1:2]
	v_lshlrev_b32_e32 v2, 6, v29
	v_add_co_u32 v0, vcc_lo, s4, v0
	s_delay_alu instid0(VALU_DEP_3) | instskip(SKIP_1) | instid1(VALU_DEP_2)
	v_add_co_ci_u32_e32 v1, vcc_lo, s5, v1, vcc_lo
	s_load_b128 s[4:7], s[0:1], 0x30
	v_add_co_u32 v14, vcc_lo, v0, v2
	s_delay_alu instid0(VALU_DEP_2)
	v_add_co_ci_u32_e32 v15, vcc_lo, 0, v1, vcc_lo
	v_cmp_gt_u32_e32 vcc_lo, 2, v29
	s_clause 0x3
	global_load_b128 v[2:5], v[14:15], off
	global_load_b128 v[6:9], v[14:15], off offset:16
	global_load_b128 v[10:13], v[14:15], off offset:32
	;; [unrolled: 1-line block ×3, first 2 shown]
	s_waitcnt vmcnt(3)
	v_and_b32_e32 v18, 0xffff, v2
	v_lshrrev_b32_e32 v2, 16, v2
	v_and_b32_e32 v19, 0xffff, v3
	v_lshrrev_b32_e32 v3, 16, v3
	;; [unrolled: 2-line block ×4, first 2 shown]
	s_waitcnt vmcnt(2)
	v_and_b32_e32 v34, 0xffff, v6
	v_lshrrev_b32_e32 v6, 16, v6
	v_and_b32_e32 v35, 0xffff, v7
	v_lshrrev_b32_e32 v7, 16, v7
	;; [unrolled: 2-line block ×4, first 2 shown]
	s_waitcnt vmcnt(1)
	v_and_b32_e32 v9, 0xffff, v10
	v_lshrrev_b32_e32 v10, 16, v10
	v_and_b32_e32 v38, 0xffff, v11
	v_lshrrev_b32_e32 v11, 16, v11
	;; [unrolled: 2-line block ×3, first 2 shown]
	v_and_b32_e32 v41, 0xffff, v13
	s_waitcnt vmcnt(0)
	v_and_b32_e32 v46, 0xffff, v15
	v_lshrrev_b32_e32 v15, 16, v15
	v_and_b32_e32 v47, 0xffff, v16
	v_lshrrev_b32_e32 v48, 16, v16
	;; [unrolled: 2-line block ×4, first 2 shown]
	v_lshrrev_b32_e32 v43, 16, v13
	v_cvt_f32_u32_e32 v24, v18
	v_cvt_f32_u32_e32 v25, v2
	;; [unrolled: 1-line block ×32, first 2 shown]
	s_clause 0x7
	scratch_store_b128 off, v[38:41], off offset:112
	scratch_store_b128 off, v[34:37], off offset:96
	;; [unrolled: 1-line block ×7, first 2 shown]
	scratch_store_b128 off, v[24:27], off
	s_and_saveexec_b32 s2, vcc_lo
	s_cbranch_execz .LBB303_6
; %bb.5:
	v_lshlrev_b32_e32 v2, 1, v29
	s_delay_alu instid0(VALU_DEP_1) | instskip(SKIP_4) | instid1(VALU_DEP_1)
	v_add_co_u32 v0, vcc_lo, v0, v2
	v_add_co_ci_u32_e32 v1, vcc_lo, 0, v1, vcc_lo
	global_load_u16 v0, v[0:1], off offset:1024
	s_waitcnt vmcnt(0)
	v_cvt_f32_u32_e32 v0, v0
	v_mul_f32_e32 v1, 0xbfb8aa3b, v0
	v_cmp_nlt_f32_e32 vcc_lo, 0x42ce8ed0, v0
	s_delay_alu instid0(VALU_DEP_2) | instskip(SKIP_1) | instid1(VALU_DEP_1)
	v_fma_f32 v2, 0xbfb8aa3b, v0, -v1
	v_rndne_f32_e32 v3, v1
	v_dual_fmamk_f32 v2, v0, 0xb2a5705f, v2 :: v_dual_sub_f32 v1, v1, v3
	s_delay_alu instid0(VALU_DEP_1) | instskip(SKIP_1) | instid1(VALU_DEP_2)
	v_add_f32_e32 v1, v1, v2
	v_cvt_i32_f32_e32 v2, v3
	v_exp_f32_e32 v1, v1
	s_waitcnt_depctr 0xfff
	v_ldexp_f32 v1, v1, v2
	s_delay_alu instid0(VALU_DEP_1) | instskip(SKIP_1) | instid1(VALU_DEP_2)
	v_cndmask_b32_e32 v1, 0, v1, vcc_lo
	v_cmp_ngt_f32_e32 vcc_lo, 0xc2b17218, v0
	v_cndmask_b32_e32 v0, 0x7f800000, v1, vcc_lo
	s_delay_alu instid0(VALU_DEP_1) | instskip(NEXT) | instid1(VALU_DEP_1)
	v_add_f32_e32 v2, 1.0, v0
	v_div_scale_f32 v1, null, v2, v2, 1.0
	v_div_scale_f32 v5, vcc_lo, 1.0, v2, 1.0
	s_delay_alu instid0(VALU_DEP_2) | instskip(SKIP_2) | instid1(VALU_DEP_1)
	v_rcp_f32_e32 v3, v1
	s_waitcnt_depctr 0xfff
	v_fma_f32 v0, -v1, v3, 1.0
	v_fmac_f32_e32 v3, v0, v3
	s_waitcnt lgkmcnt(0)
	v_mul_lo_u32 v0, v28, s7
	s_delay_alu instid0(VALU_DEP_2) | instskip(NEXT) | instid1(VALU_DEP_2)
	v_mul_f32_e32 v6, v5, v3
	v_add3_u32 v0, v0, s4, v29
	s_delay_alu instid0(VALU_DEP_2) | instskip(NEXT) | instid1(VALU_DEP_1)
	v_fma_f32 v7, -v1, v6, v5
	v_fmac_f32_e32 v6, v7, v3
	s_delay_alu instid0(VALU_DEP_1) | instskip(NEXT) | instid1(VALU_DEP_4)
	v_fma_f32 v5, -v1, v6, v5
	v_ashrrev_i32_e32 v1, 31, v0
	s_delay_alu instid0(VALU_DEP_2) | instskip(NEXT) | instid1(VALU_DEP_2)
	v_div_fmas_f32 v3, v5, v3, v6
	v_lshlrev_b64 v[0:1], 2, v[0:1]
	s_delay_alu instid0(VALU_DEP_2) | instskip(NEXT) | instid1(VALU_DEP_2)
	v_div_fixup_f32 v2, v3, v2, 1.0
	v_add_co_u32 v0, vcc_lo, s12, v0
	s_delay_alu instid0(VALU_DEP_3)
	v_add_co_ci_u32_e32 v1, vcc_lo, s13, v1, vcc_lo
	global_store_b32 v[0:1], v2, off
.LBB303_6:
	s_or_b32 exec_lo, exec_lo, s2
	s_clause 0x2
	scratch_load_b128 v[0:3], off, off offset:84
	scratch_load_b128 v[39:42], off, off offset:100
	scratch_load_b96 v[5:7], off, off offset:116
	v_cmp_lt_f32_e32 vcc_lo, v24, v25
	v_or_b32_e32 v34, 1, v31
	v_or_b32_e32 v37, 24, v31
	;; [unrolled: 1-line block ×4, first 2 shown]
	v_cndmask_b32_e32 v25, v24, v25, vcc_lo
	v_cndmask_b32_e32 v35, v31, v34, vcc_lo
	v_or_b32_e32 v24, 2, v31
	v_or_b32_e32 v44, 31, v31
	s_delay_alu instid0(VALU_DEP_4) | instskip(NEXT) | instid1(VALU_DEP_3)
	v_cmp_lt_f32_e32 vcc_lo, v25, v26
	v_dual_cndmask_b32 v35, v35, v24 :: v_dual_cndmask_b32 v26, v25, v26
	v_or_b32_e32 v25, 3, v31
	s_delay_alu instid0(VALU_DEP_2) | instskip(SKIP_1) | instid1(VALU_DEP_3)
	v_cmp_lt_f32_e32 vcc_lo, v26, v27
	v_cndmask_b32_e32 v27, v26, v27, vcc_lo
	v_cndmask_b32_e32 v35, v35, v25, vcc_lo
	v_or_b32_e32 v26, 4, v31
	s_delay_alu instid0(VALU_DEP_3) | instskip(SKIP_1) | instid1(VALU_DEP_3)
	v_cmp_lt_f32_e32 vcc_lo, v27, v20
	v_cndmask_b32_e32 v27, v27, v20, vcc_lo
	v_cndmask_b32_e32 v35, v35, v26, vcc_lo
	v_or_b32_e32 v20, 5, v31
	s_delay_alu instid0(VALU_DEP_3) | instskip(SKIP_1) | instid1(VALU_DEP_3)
	;; [unrolled: 5-line block ×17, first 2 shown]
	v_cmp_lt_f32_e32 vcc_lo, v27, v4
	v_cndmask_b32_e32 v4, v27, v4, vcc_lo
	v_cndmask_b32_e32 v35, v35, v11, vcc_lo
	v_or_b32_e32 v27, 21, v31
	s_waitcnt vmcnt(2)
	s_delay_alu instid0(VALU_DEP_3) | instskip(SKIP_1) | instid1(VALU_DEP_3)
	v_cmp_lt_f32_e32 vcc_lo, v4, v0
	v_cndmask_b32_e32 v0, v4, v0, vcc_lo
	v_cndmask_b32_e32 v36, v35, v27, vcc_lo
	v_or_b32_e32 v35, 22, v31
	s_delay_alu instid0(VALU_DEP_3) | instskip(SKIP_1) | instid1(VALU_DEP_3)
	v_cmp_lt_f32_e32 vcc_lo, v0, v1
	v_cndmask_b32_e32 v0, v0, v1, vcc_lo
	v_cndmask_b32_e32 v4, v36, v35, vcc_lo
	v_or_b32_e32 v36, 23, v31
	s_delay_alu instid0(VALU_DEP_3) | instskip(SKIP_1) | instid1(VALU_DEP_3)
	v_cmp_lt_f32_e32 vcc_lo, v0, v2
	v_cndmask_b32_e32 v0, v0, v2, vcc_lo
	v_cndmask_b32_e32 v1, v4, v36, vcc_lo
	s_delay_alu instid0(VALU_DEP_2) | instskip(NEXT) | instid1(VALU_DEP_2)
	v_cmp_lt_f32_e32 vcc_lo, v0, v3
	v_dual_cndmask_b32 v1, v1, v37 :: v_dual_cndmask_b32 v0, v0, v3
	s_waitcnt vmcnt(1)
	s_delay_alu instid0(VALU_DEP_1) | instskip(NEXT) | instid1(VALU_DEP_2)
	v_cmp_lt_f32_e32 vcc_lo, v0, v39
	v_dual_cndmask_b32 v0, v0, v39 :: v_dual_cndmask_b32 v1, v1, v38
	v_or_b32_e32 v39, 26, v31
	s_delay_alu instid0(VALU_DEP_2) | instskip(NEXT) | instid1(VALU_DEP_2)
	v_cmp_lt_f32_e32 vcc_lo, v0, v40
	v_dual_cndmask_b32 v0, v0, v40 :: v_dual_cndmask_b32 v1, v1, v39
	v_or_b32_e32 v40, 27, v31
	s_delay_alu instid0(VALU_DEP_2) | instskip(NEXT) | instid1(VALU_DEP_2)
	;; [unrolled: 4-line block ×3, first 2 shown]
	v_cmp_lt_f32_e32 vcc_lo, v0, v42
	v_dual_cndmask_b32 v0, v0, v42 :: v_dual_cndmask_b32 v1, v1, v41
	v_or_b32_e32 v42, 29, v31
	s_waitcnt vmcnt(0)
	s_delay_alu instid0(VALU_DEP_2) | instskip(NEXT) | instid1(VALU_DEP_2)
	v_cmp_lt_f32_e32 vcc_lo, v0, v5
	v_dual_cndmask_b32 v0, v0, v5 :: v_dual_cndmask_b32 v1, v1, v42
	s_delay_alu instid0(VALU_DEP_1) | instskip(NEXT) | instid1(VALU_DEP_2)
	v_cmp_lt_f32_e32 vcc_lo, v0, v6
	v_dual_cndmask_b32 v0, v0, v6 :: v_dual_cndmask_b32 v1, v1, v43
	s_delay_alu instid0(VALU_DEP_1) | instskip(NEXT) | instid1(VALU_DEP_2)
	;; [unrolled: 3-line block ×3, first 2 shown]
	v_mov_b32_dpp v4, v1 quad_perm:[1,0,3,2] row_mask:0xf bank_mask:0xf
	v_mov_b32_dpp v5, v0 quad_perm:[1,0,3,2] row_mask:0xf bank_mask:0xf
	s_delay_alu instid0(VALU_DEP_2) | instskip(NEXT) | instid1(VALU_DEP_2)
	v_cmp_lt_i32_e32 vcc_lo, v4, v1
	v_cmp_eq_f32_e64 s2, v0, v5
	v_cmp_lt_f32_e64 s3, v0, v5
	s_delay_alu instid0(VALU_DEP_2)
	s_and_b32 s2, s2, vcc_lo
	s_delay_alu instid0(VALU_DEP_1) | instid1(SALU_CYCLE_1)
	s_or_b32 vcc_lo, s3, s2
	v_dual_cndmask_b32 v0, v0, v5 :: v_dual_cndmask_b32 v1, v1, v4
	s_delay_alu instid0(VALU_DEP_1) | instskip(NEXT) | instid1(VALU_DEP_2)
	v_mov_b32_dpp v4, v0 quad_perm:[2,3,0,1] row_mask:0xf bank_mask:0xf
	v_mov_b32_dpp v5, v1 quad_perm:[2,3,0,1] row_mask:0xf bank_mask:0xf
	s_delay_alu instid0(VALU_DEP_2) | instskip(NEXT) | instid1(VALU_DEP_2)
	v_cmp_eq_f32_e32 vcc_lo, v0, v4
	v_cmp_lt_i32_e64 s2, v5, v1
	v_cmp_lt_f32_e64 s3, v0, v4
	s_delay_alu instid0(VALU_DEP_2)
	s_and_b32 s2, vcc_lo, s2
	s_delay_alu instid0(VALU_DEP_1) | instid1(SALU_CYCLE_1)
	s_or_b32 vcc_lo, s3, s2
	v_dual_cndmask_b32 v0, v0, v4 :: v_dual_cndmask_b32 v1, v1, v5
	s_delay_alu instid0(VALU_DEP_1) | instskip(NEXT) | instid1(VALU_DEP_2)
	v_mov_b32_dpp v4, v0 row_half_mirror row_mask:0xf bank_mask:0xf
	v_mov_b32_dpp v5, v1 row_half_mirror row_mask:0xf bank_mask:0xf
	s_delay_alu instid0(VALU_DEP_2) | instskip(NEXT) | instid1(VALU_DEP_2)
	v_cmp_eq_f32_e32 vcc_lo, v0, v4
	v_cmp_lt_i32_e64 s2, v5, v1
	v_cmp_lt_f32_e64 s3, v0, v4
	s_delay_alu instid0(VALU_DEP_2)
	s_and_b32 s2, vcc_lo, s2
	s_delay_alu instid0(VALU_DEP_1) | instid1(SALU_CYCLE_1)
	s_or_b32 vcc_lo, s3, s2
	v_cndmask_b32_e32 v6, v0, v4, vcc_lo
	v_cndmask_b32_e32 v0, v1, v5, vcc_lo
	s_delay_alu instid0(VALU_DEP_2) | instskip(NEXT) | instid1(VALU_DEP_2)
	v_mov_b32_dpp v1, v6 row_mirror row_mask:0xf bank_mask:0xf
	v_mov_b32_dpp v4, v0 row_mirror row_mask:0xf bank_mask:0xf
	s_delay_alu instid0(VALU_DEP_2) | instskip(NEXT) | instid1(VALU_DEP_2)
	v_cmp_eq_f32_e32 vcc_lo, v6, v1
	v_cmp_lt_i32_e64 s2, v4, v0
	v_cmp_lt_f32_e64 s3, v6, v1
	s_delay_alu instid0(VALU_DEP_2) | instskip(SKIP_1) | instid1(VALU_DEP_2)
	s_and_b32 s2, vcc_lo, s2
	v_cmp_eq_u32_e32 vcc_lo, 0, v29
	s_or_b32 s2, s3, s2
	s_waitcnt lgkmcnt(0)
	s_cmp_gt_i32 s4, 0
	v_cndmask_b32_e64 v7, v6, v1, s2
	s_cselect_b32 s3, -1, 0
	s_cmp_lt_i32 s4, 1
	s_cbranch_scc1 .LBB303_19
; %bb.7:
	s_load_b128 s[8:11], s[0:1], 0x20
	v_mul_lo_u32 v1, v28, s7
	v_mul_lo_u32 v3, v28, s14
	;; [unrolled: 1-line block ×3, first 2 shown]
	v_cndmask_b32_e64 v0, v0, v4, s2
	v_mov_b32_e32 v30, 0
	s_and_saveexec_b32 s2, vcc_lo
	s_cbranch_execz .LBB303_9
; %bb.8:
	v_sub_f32_e32 v30, v7, v7
	v_cmp_le_i32_e64 s0, s5, v0
	v_cmp_gt_i32_e64 s1, s6, v0
	v_subrev_nc_u32_e32 v51, s5, v0
	v_ashrrev_i32_e32 v6, 31, v5
	v_mul_f32_e32 v2, 0x3fb8aa3b, v30
	s_delay_alu instid0(VALU_DEP_4) | instskip(NEXT) | instid1(SALU_CYCLE_1)
	s_and_b32 s0, s0, s1
	s_and_b32 s0, s17, s0
	s_delay_alu instid0(VALU_DEP_1) | instskip(SKIP_2) | instid1(VALU_DEP_3)
	v_rndne_f32_e32 v47, v2
	v_fma_f32 v4, 0x3fb8aa3b, v30, -v2
	v_lshlrev_b64 v[49:50], 2, v[5:6]
	v_sub_f32_e32 v2, v2, v47
	s_delay_alu instid0(VALU_DEP_3) | instskip(NEXT) | instid1(VALU_DEP_1)
	v_fmamk_f32 v4, v30, 0x32a5705f, v4
	v_add_f32_e32 v4, v2, v4
	v_ashrrev_i32_e32 v2, 31, v1
	s_delay_alu instid0(VALU_DEP_2) | instskip(NEXT) | instid1(VALU_DEP_1)
	v_exp_f32_e32 v52, v4
	v_lshlrev_b64 v[45:46], 2, v[1:2]
	v_ashrrev_i32_e32 v4, 31, v3
	v_cvt_i32_f32_e32 v2, v47
	s_delay_alu instid0(VALU_DEP_2) | instskip(SKIP_2) | instid1(VALU_DEP_1)
	v_lshlrev_b64 v[47:48], 2, v[3:4]
	v_cndmask_b32_e64 v4, 0x200, v51, s0
	v_add_co_u32 v45, s0, s12, v45
	v_add_co_ci_u32_e64 v46, s0, s13, v46, s0
	s_delay_alu instid0(TRANS32_DEP_1) | instskip(SKIP_1) | instid1(VALU_DEP_1)
	v_ldexp_f32 v2, v52, v2
	v_cmp_ngt_f32_e64 s0, 0xc2ce8ed0, v30
	v_cndmask_b32_e64 v2, 0, v2, s0
	s_waitcnt lgkmcnt(0)
	v_add_co_u32 v47, s0, s8, v47
	s_delay_alu instid0(VALU_DEP_1) | instskip(SKIP_1) | instid1(VALU_DEP_1)
	v_add_co_ci_u32_e64 v48, s0, s9, v48, s0
	v_cmp_nlt_f32_e64 s0, 0x42b17218, v30
	v_cndmask_b32_e64 v30, 0x7f800000, v2, s0
	v_add_co_u32 v49, s0, s10, v49
	s_delay_alu instid0(VALU_DEP_1)
	v_add_co_ci_u32_e64 v50, s0, s11, v50, s0
	global_store_b32 v[47:48], v4, off
	global_store_b32 v[45:46], v30, off
	;; [unrolled: 1-line block ×3, first 2 shown]
.LBB303_9:
	s_or_b32 exec_lo, exec_lo, s2
	v_ashrrev_i32_e32 v4, 31, v0
	s_mov_b32 s1, exec_lo
	s_delay_alu instid0(VALU_DEP_1) | instskip(NEXT) | instid1(VALU_DEP_1)
	v_lshrrev_b32_e32 v2, 27, v4
	v_add_nc_u32_e32 v2, v0, v2
	s_delay_alu instid0(VALU_DEP_1) | instskip(NEXT) | instid1(VALU_DEP_1)
	v_ashrrev_i32_e32 v2, 5, v2
	v_lshrrev_b32_e32 v6, 28, v2
	s_delay_alu instid0(VALU_DEP_1) | instskip(NEXT) | instid1(VALU_DEP_1)
	v_add_nc_u32_e32 v6, v2, v6
	v_and_b32_e32 v6, -16, v6
	s_delay_alu instid0(VALU_DEP_1) | instskip(NEXT) | instid1(VALU_DEP_1)
	v_sub_nc_u32_e32 v6, v2, v6
	v_cmpx_eq_u32_e64 v29, v6
	s_cbranch_execz .LBB303_11
; %bb.10:
	v_lshrrev_b32_e32 v4, 23, v4
	v_lshlrev_b32_e32 v2, 5, v2
	s_delay_alu instid0(VALU_DEP_2) | instskip(NEXT) | instid1(VALU_DEP_2)
	v_add_nc_u32_e32 v4, v0, v4
	v_sub_nc_u32_e32 v0, v0, v2
	s_delay_alu instid0(VALU_DEP_2) | instskip(NEXT) | instid1(VALU_DEP_1)
	v_ashrrev_i32_e32 v2, 9, v4
	v_lshl_add_u32 v0, v2, 5, v0
	v_mov_b32_e32 v2, 0xff800000
	s_delay_alu instid0(VALU_DEP_2)
	v_lshl_add_u32 v0, v0, 2, 0
	scratch_store_b32 v0, v2, off
.LBB303_11:
	s_or_b32 exec_lo, exec_lo, s1
	s_cmp_eq_u32 s4, 1
	s_cbranch_scc1 .LBB303_18
; %bb.12:
	s_add_i32 s18, s18, s16
	v_add_nc_u32_e32 v0, 1, v5
	v_add3_u32 v6, s18, v33, v32
	v_add_nc_u32_e32 v2, 1, v3
	v_add_nc_u32_e32 v4, 1, v1
	v_mov_b32_e32 v32, 0xff800000
	s_add_i32 s14, s4, -1
	s_branch .LBB303_14
.LBB303_13:                             ;   in Loop: Header=BB303_14 Depth=1
	s_or_b32 exec_lo, exec_lo, s1
	v_add_nc_u32_e32 v6, s16, v6
	v_add_nc_u32_e32 v0, 1, v0
	;; [unrolled: 1-line block ×4, first 2 shown]
	s_add_i32 s14, s14, -1
	s_delay_alu instid0(SALU_CYCLE_1)
	s_cmp_eq_u32 s14, 0
	s_cbranch_scc1 .LBB303_18
.LBB303_14:                             ; =>This Inner Loop Header: Depth=1
	s_clause 0x7
	scratch_load_b128 v[45:48], off, off
	scratch_load_b128 v[49:52], off, off offset:16
	scratch_load_b128 v[53:56], off, off offset:32
	scratch_load_b128 v[57:60], off, off offset:48
	scratch_load_b128 v[61:64], off, off offset:64
	scratch_load_b128 v[65:68], off, off offset:80
	scratch_load_b128 v[69:72], off, off offset:96
	scratch_load_b128 v[73:76], off, off offset:112
	s_waitcnt vmcnt(7)
	v_cmp_gt_f32_e64 s0, v46, v45
	s_delay_alu instid0(VALU_DEP_1) | instskip(SKIP_1) | instid1(VALU_DEP_2)
	v_cndmask_b32_e64 v3, v45, v46, s0
	v_cndmask_b32_e64 v1, v31, v34, s0
	v_cmp_gt_f32_e64 s0, v47, v3
	s_delay_alu instid0(VALU_DEP_1) | instskip(NEXT) | instid1(VALU_DEP_3)
	v_cndmask_b32_e64 v3, v3, v47, s0
	v_cndmask_b32_e64 v1, v1, v24, s0
	s_delay_alu instid0(VALU_DEP_2) | instskip(NEXT) | instid1(VALU_DEP_1)
	v_cmp_gt_f32_e64 s0, v48, v3
	v_cndmask_b32_e64 v3, v3, v48, s0
	s_delay_alu instid0(VALU_DEP_3) | instskip(SKIP_1) | instid1(VALU_DEP_2)
	v_cndmask_b32_e64 v1, v1, v25, s0
	s_waitcnt vmcnt(6)
	v_cmp_gt_f32_e64 s0, v49, v3
	s_delay_alu instid0(VALU_DEP_1) | instskip(NEXT) | instid1(VALU_DEP_3)
	v_cndmask_b32_e64 v3, v3, v49, s0
	v_cndmask_b32_e64 v1, v1, v26, s0
	s_delay_alu instid0(VALU_DEP_2) | instskip(NEXT) | instid1(VALU_DEP_1)
	v_cmp_gt_f32_e64 s0, v50, v3
	v_cndmask_b32_e64 v3, v3, v50, s0
	s_delay_alu instid0(VALU_DEP_3) | instskip(NEXT) | instid1(VALU_DEP_2)
	v_cndmask_b32_e64 v1, v1, v20, s0
	v_cmp_gt_f32_e64 s0, v51, v3
	s_delay_alu instid0(VALU_DEP_1) | instskip(NEXT) | instid1(VALU_DEP_3)
	v_cndmask_b32_e64 v3, v3, v51, s0
	v_cndmask_b32_e64 v1, v1, v21, s0
	s_delay_alu instid0(VALU_DEP_2) | instskip(NEXT) | instid1(VALU_DEP_1)
	v_cmp_gt_f32_e64 s0, v52, v3
	v_cndmask_b32_e64 v3, v3, v52, s0
	s_delay_alu instid0(VALU_DEP_3) | instskip(SKIP_1) | instid1(VALU_DEP_2)
	v_cndmask_b32_e64 v1, v1, v22, s0
	s_waitcnt vmcnt(5)
	v_cmp_gt_f32_e64 s0, v53, v3
	s_delay_alu instid0(VALU_DEP_1) | instskip(NEXT) | instid1(VALU_DEP_3)
	v_cndmask_b32_e64 v3, v3, v53, s0
	v_cndmask_b32_e64 v1, v1, v23, s0
	s_delay_alu instid0(VALU_DEP_2) | instskip(NEXT) | instid1(VALU_DEP_1)
	v_cmp_gt_f32_e64 s0, v54, v3
	v_cndmask_b32_e64 v3, v3, v54, s0
	s_delay_alu instid0(VALU_DEP_3) | instskip(NEXT) | instid1(VALU_DEP_2)
	;; [unrolled: 19-line block ×7, first 2 shown]
	v_cndmask_b32_e64 v1, v1, v42, s0
	v_cmp_gt_f32_e64 s0, v75, v3
	s_delay_alu instid0(VALU_DEP_1) | instskip(NEXT) | instid1(VALU_DEP_3)
	v_cndmask_b32_e64 v3, v3, v75, s0
	v_cndmask_b32_e64 v1, v1, v43, s0
	s_delay_alu instid0(VALU_DEP_2) | instskip(NEXT) | instid1(VALU_DEP_1)
	v_cmp_gt_f32_e64 s0, v76, v3
	v_cndmask_b32_e64 v1, v1, v44, s0
	v_cndmask_b32_e64 v3, v3, v76, s0
	s_delay_alu instid0(VALU_DEP_2) | instskip(NEXT) | instid1(VALU_DEP_2)
	v_mov_b32_dpp v5, v1 quad_perm:[1,0,3,2] row_mask:0xf bank_mask:0xf
	v_mov_b32_dpp v33, v3 quad_perm:[1,0,3,2] row_mask:0xf bank_mask:0xf
	s_delay_alu instid0(VALU_DEP_2) | instskip(NEXT) | instid1(VALU_DEP_2)
	v_cmp_lt_i32_e64 s0, v5, v1
	v_cmp_eq_f32_e64 s1, v3, v33
	v_cmp_lt_f32_e64 s2, v3, v33
	s_delay_alu instid0(VALU_DEP_2)
	s_and_b32 s0, s1, s0
	s_delay_alu instid0(VALU_DEP_1) | instid1(SALU_CYCLE_1)
	s_or_b32 s0, s2, s0
	s_delay_alu instid0(SALU_CYCLE_1) | instskip(SKIP_1) | instid1(VALU_DEP_2)
	v_cndmask_b32_e64 v3, v3, v33, s0
	v_cndmask_b32_e64 v1, v1, v5, s0
	v_mov_b32_dpp v5, v3 quad_perm:[2,3,0,1] row_mask:0xf bank_mask:0xf
	s_delay_alu instid0(VALU_DEP_2) | instskip(NEXT) | instid1(VALU_DEP_2)
	v_mov_b32_dpp v33, v1 quad_perm:[2,3,0,1] row_mask:0xf bank_mask:0xf
	v_cmp_eq_f32_e64 s0, v3, v5
	s_delay_alu instid0(VALU_DEP_2) | instskip(SKIP_1) | instid1(VALU_DEP_2)
	v_cmp_lt_i32_e64 s1, v33, v1
	v_cmp_lt_f32_e64 s2, v3, v5
	s_and_b32 s0, s0, s1
	s_delay_alu instid0(VALU_DEP_1) | instid1(SALU_CYCLE_1)
	s_or_b32 s0, s2, s0
	s_delay_alu instid0(SALU_CYCLE_1) | instskip(SKIP_1) | instid1(VALU_DEP_2)
	v_cndmask_b32_e64 v3, v3, v5, s0
	v_cndmask_b32_e64 v5, v1, v33, s0
	v_mov_b32_dpp v1, v3 row_half_mirror row_mask:0xf bank_mask:0xf
	s_delay_alu instid0(VALU_DEP_2) | instskip(NEXT) | instid1(VALU_DEP_2)
	v_mov_b32_dpp v33, v5 row_half_mirror row_mask:0xf bank_mask:0xf
	v_cmp_eq_f32_e64 s0, v3, v1
	s_delay_alu instid0(VALU_DEP_2) | instskip(SKIP_1) | instid1(VALU_DEP_2)
	v_cmp_lt_i32_e64 s1, v33, v5
	v_cmp_lt_f32_e64 s2, v3, v1
	s_and_b32 s0, s0, s1
	s_delay_alu instid0(VALU_DEP_1) | instid1(SALU_CYCLE_1)
	s_or_b32 s0, s2, s0
	s_delay_alu instid0(SALU_CYCLE_1) | instskip(SKIP_1) | instid1(VALU_DEP_2)
	v_cndmask_b32_e64 v1, v3, v1, s0
	v_cndmask_b32_e64 v5, v5, v33, s0
	v_mov_b32_dpp v3, v1 row_mirror row_mask:0xf bank_mask:0xf
	s_delay_alu instid0(VALU_DEP_2) | instskip(NEXT) | instid1(VALU_DEP_2)
	v_mov_b32_dpp v33, v5 row_mirror row_mask:0xf bank_mask:0xf
	v_cmp_eq_f32_e64 s0, v1, v3
	s_delay_alu instid0(VALU_DEP_2) | instskip(SKIP_1) | instid1(VALU_DEP_2)
	v_cmp_lt_i32_e64 s1, v33, v5
	v_cmp_lt_f32_e64 s2, v1, v3
	s_and_b32 s0, s0, s1
	s_delay_alu instid0(VALU_DEP_1) | instid1(SALU_CYCLE_1)
	s_or_b32 s0, s2, s0
	s_delay_alu instid0(SALU_CYCLE_1)
	v_cndmask_b32_e64 v33, v5, v33, s0
	s_and_saveexec_b32 s2, vcc_lo
	s_cbranch_execz .LBB303_16
; %bb.15:                               ;   in Loop: Header=BB303_14 Depth=1
	v_cndmask_b32_e64 v1, v1, v3, s0
	s_delay_alu instid0(VALU_DEP_2) | instskip(SKIP_4) | instid1(VALU_DEP_4)
	v_cmp_le_i32_e64 s0, s5, v33
	v_cmp_gt_i32_e64 s1, s6, v33
	v_ashrrev_i32_e32 v5, 31, v4
	v_subrev_nc_u32_e32 v52, s5, v33
	v_sub_f32_e32 v51, v1, v7
	s_and_b32 s0, s0, s1
	s_delay_alu instid0(SALU_CYCLE_1) | instskip(NEXT) | instid1(VALU_DEP_1)
	s_and_b32 s0, s17, s0
	v_mul_f32_e32 v1, 0x3fb8aa3b, v51
	s_delay_alu instid0(VALU_DEP_1) | instskip(SKIP_1) | instid1(VALU_DEP_2)
	v_fma_f32 v3, 0x3fb8aa3b, v51, -v1
	v_rndne_f32_e32 v45, v1
	v_fmac_f32_e32 v3, 0x32a5705f, v51
	s_delay_alu instid0(VALU_DEP_2) | instskip(SKIP_2) | instid1(VALU_DEP_3)
	v_sub_f32_e32 v1, v1, v45
	v_cvt_i32_f32_e32 v50, v45
	v_lshlrev_b64 v[45:46], 2, v[4:5]
	v_add_f32_e32 v1, v1, v3
	v_ashrrev_i32_e32 v3, 31, v2
	s_delay_alu instid0(VALU_DEP_2) | instskip(SKIP_1) | instid1(VALU_DEP_2)
	v_exp_f32_e32 v49, v1
	v_ashrrev_i32_e32 v1, 31, v0
	v_lshlrev_b64 v[47:48], 2, v[2:3]
	s_waitcnt_depctr 0xfff
	v_ldexp_f32 v3, v49, v50
	v_lshlrev_b64 v[49:50], 2, v[0:1]
	v_cndmask_b32_e64 v1, 0x200, v52, s0
	v_cmp_ngt_f32_e64 s0, 0xc2ce8ed0, v51
	s_delay_alu instid0(VALU_DEP_1) | instskip(SKIP_1) | instid1(VALU_DEP_1)
	v_cndmask_b32_e64 v3, 0, v3, s0
	v_add_co_u32 v45, s0, s12, v45
	v_add_co_ci_u32_e64 v46, s0, s13, v46, s0
	v_cmp_nlt_f32_e64 s0, 0x42b17218, v51
	s_delay_alu instid0(VALU_DEP_1) | instskip(SKIP_2) | instid1(VALU_DEP_1)
	v_cndmask_b32_e64 v3, 0x7f800000, v3, s0
	s_waitcnt lgkmcnt(0)
	v_add_co_u32 v47, s0, s8, v47
	v_add_co_ci_u32_e64 v48, s0, s9, v48, s0
	s_delay_alu instid0(VALU_DEP_3) | instskip(SKIP_1) | instid1(VALU_DEP_1)
	v_add_f32_e32 v30, v30, v3
	v_add_co_u32 v49, s0, s10, v49
	v_add_co_ci_u32_e64 v50, s0, s11, v50, s0
	global_store_b32 v[45:46], v3, off
	global_store_b32 v[47:48], v1, off
	;; [unrolled: 1-line block ×3, first 2 shown]
.LBB303_16:                             ;   in Loop: Header=BB303_14 Depth=1
	s_or_b32 exec_lo, exec_lo, s2
	s_delay_alu instid0(VALU_DEP_1) | instskip(SKIP_1) | instid1(VALU_DEP_1)
	v_ashrrev_i32_e32 v3, 31, v33
	s_mov_b32 s1, exec_lo
	v_lshrrev_b32_e32 v1, 27, v3
	s_delay_alu instid0(VALU_DEP_1) | instskip(NEXT) | instid1(VALU_DEP_1)
	v_add_nc_u32_e32 v1, v33, v1
	v_ashrrev_i32_e32 v1, 5, v1
	s_delay_alu instid0(VALU_DEP_1) | instskip(NEXT) | instid1(VALU_DEP_1)
	v_lshrrev_b32_e32 v5, 28, v1
	v_add_nc_u32_e32 v5, v1, v5
	s_delay_alu instid0(VALU_DEP_1) | instskip(NEXT) | instid1(VALU_DEP_1)
	v_and_b32_e32 v5, -16, v5
	v_sub_nc_u32_e32 v5, v1, v5
	s_delay_alu instid0(VALU_DEP_1)
	v_cmpx_eq_u32_e64 v29, v5
	s_cbranch_execz .LBB303_13
; %bb.17:                               ;   in Loop: Header=BB303_14 Depth=1
	v_lshrrev_b32_e32 v3, 23, v3
	v_lshlrev_b32_e32 v1, 5, v1
	s_delay_alu instid0(VALU_DEP_2) | instskip(NEXT) | instid1(VALU_DEP_2)
	v_add_nc_u32_e32 v3, v33, v3
	v_sub_nc_u32_e32 v1, v33, v1
	s_delay_alu instid0(VALU_DEP_2) | instskip(NEXT) | instid1(VALU_DEP_1)
	v_ashrrev_i32_e32 v3, 9, v3
	v_lshl_add_u32 v1, v3, 5, v1
	s_delay_alu instid0(VALU_DEP_1)
	v_lshl_add_u32 v1, v1, 2, 0
	scratch_store_b32 v1, v32, off
	s_branch .LBB303_13
.LBB303_18:
	scratch_load_b64 v[2:3], off, off offset:92
.LBB303_19:
	scratch_load_b128 v[8:11], off, off
	s_waitcnt vmcnt(0)
	v_sub_f32_e32 v0, v8, v7
	s_delay_alu instid0(VALU_DEP_1) | instskip(NEXT) | instid1(VALU_DEP_1)
	v_mul_f32_e32 v1, 0x3fb8aa3b, v0
	v_fma_f32 v4, 0x3fb8aa3b, v0, -v1
	v_rndne_f32_e32 v5, v1
	s_delay_alu instid0(VALU_DEP_1) | instskip(SKIP_1) | instid1(VALU_DEP_4)
	v_sub_f32_e32 v1, v1, v5
	v_cmp_ngt_f32_e32 vcc_lo, 0xc2ce8ed0, v0
	v_fmac_f32_e32 v4, 0x32a5705f, v0
	s_delay_alu instid0(VALU_DEP_1) | instskip(SKIP_1) | instid1(VALU_DEP_2)
	v_add_f32_e32 v1, v1, v4
	v_cvt_i32_f32_e32 v4, v5
	v_exp_f32_e32 v1, v1
	s_waitcnt_depctr 0xfff
	v_ldexp_f32 v1, v1, v4
	s_delay_alu instid0(VALU_DEP_1) | instskip(SKIP_1) | instid1(VALU_DEP_2)
	v_cndmask_b32_e32 v1, 0, v1, vcc_lo
	v_cmp_nlt_f32_e32 vcc_lo, 0x42b17218, v0
	v_dual_cndmask_b32 v0, 0x7f800000, v1 :: v_dual_sub_f32 v1, v9, v7
	s_delay_alu instid0(VALU_DEP_1) | instskip(SKIP_1) | instid1(VALU_DEP_2)
	v_mul_f32_e32 v4, 0x3fb8aa3b, v1
	v_cmp_ngt_f32_e32 vcc_lo, 0xc2ce8ed0, v1
	v_fma_f32 v5, 0x3fb8aa3b, v1, -v4
	v_rndne_f32_e32 v6, v4
	s_delay_alu instid0(VALU_DEP_1) | instskip(NEXT) | instid1(VALU_DEP_1)
	v_dual_fmac_f32 v5, 0x32a5705f, v1 :: v_dual_sub_f32 v4, v4, v6
	v_add_f32_e32 v4, v4, v5
	v_cvt_i32_f32_e32 v5, v6
	s_delay_alu instid0(VALU_DEP_2) | instskip(SKIP_2) | instid1(VALU_DEP_1)
	v_exp_f32_e32 v4, v4
	s_waitcnt_depctr 0xfff
	v_ldexp_f32 v4, v4, v5
	v_cndmask_b32_e32 v4, 0, v4, vcc_lo
	v_cmp_nlt_f32_e32 vcc_lo, 0x42b17218, v1
	s_delay_alu instid0(VALU_DEP_2) | instskip(NEXT) | instid1(VALU_DEP_1)
	v_cndmask_b32_e32 v1, 0x7f800000, v4, vcc_lo
	v_dual_add_f32 v0, v0, v1 :: v_dual_sub_f32 v1, v10, v7
	s_delay_alu instid0(VALU_DEP_1) | instskip(SKIP_1) | instid1(VALU_DEP_2)
	v_mul_f32_e32 v4, 0x3fb8aa3b, v1
	v_cmp_ngt_f32_e32 vcc_lo, 0xc2ce8ed0, v1
	v_fma_f32 v5, 0x3fb8aa3b, v1, -v4
	v_rndne_f32_e32 v6, v4
	s_delay_alu instid0(VALU_DEP_1) | instskip(NEXT) | instid1(VALU_DEP_1)
	v_dual_fmac_f32 v5, 0x32a5705f, v1 :: v_dual_sub_f32 v4, v4, v6
	v_add_f32_e32 v4, v4, v5
	v_cvt_i32_f32_e32 v5, v6
	s_delay_alu instid0(VALU_DEP_2) | instskip(SKIP_2) | instid1(VALU_DEP_1)
	v_exp_f32_e32 v4, v4
	s_waitcnt_depctr 0xfff
	v_ldexp_f32 v4, v4, v5
	v_cndmask_b32_e32 v4, 0, v4, vcc_lo
	v_cmp_nlt_f32_e32 vcc_lo, 0x42b17218, v1
	s_delay_alu instid0(VALU_DEP_2) | instskip(NEXT) | instid1(VALU_DEP_1)
	v_cndmask_b32_e32 v1, 0x7f800000, v4, vcc_lo
	v_dual_add_f32 v0, v0, v1 :: v_dual_sub_f32 v1, v11, v7
	scratch_load_b128 v[8:11], off, off offset:16
	v_mul_f32_e32 v4, 0x3fb8aa3b, v1
	v_cmp_ngt_f32_e32 vcc_lo, 0xc2ce8ed0, v1
	s_delay_alu instid0(VALU_DEP_2) | instskip(SKIP_1) | instid1(VALU_DEP_1)
	v_fma_f32 v5, 0x3fb8aa3b, v1, -v4
	v_rndne_f32_e32 v6, v4
	v_dual_fmac_f32 v5, 0x32a5705f, v1 :: v_dual_sub_f32 v4, v4, v6
	s_delay_alu instid0(VALU_DEP_1) | instskip(SKIP_1) | instid1(VALU_DEP_2)
	v_add_f32_e32 v4, v4, v5
	v_cvt_i32_f32_e32 v5, v6
	v_exp_f32_e32 v4, v4
	s_waitcnt_depctr 0xfff
	v_ldexp_f32 v4, v4, v5
	s_delay_alu instid0(VALU_DEP_1) | instskip(SKIP_1) | instid1(VALU_DEP_2)
	v_cndmask_b32_e32 v4, 0, v4, vcc_lo
	v_cmp_nlt_f32_e32 vcc_lo, 0x42b17218, v1
	v_cndmask_b32_e32 v1, 0x7f800000, v4, vcc_lo
	s_delay_alu instid0(VALU_DEP_1) | instskip(SKIP_2) | instid1(VALU_DEP_1)
	v_add_f32_e32 v0, v0, v1
	s_waitcnt vmcnt(0)
	v_sub_f32_e32 v1, v8, v7
	v_mul_f32_e32 v4, 0x3fb8aa3b, v1
	v_cmp_ngt_f32_e32 vcc_lo, 0xc2ce8ed0, v1
	s_delay_alu instid0(VALU_DEP_2) | instskip(SKIP_1) | instid1(VALU_DEP_1)
	v_fma_f32 v5, 0x3fb8aa3b, v1, -v4
	v_rndne_f32_e32 v6, v4
	v_dual_fmac_f32 v5, 0x32a5705f, v1 :: v_dual_sub_f32 v4, v4, v6
	s_delay_alu instid0(VALU_DEP_1) | instskip(SKIP_1) | instid1(VALU_DEP_2)
	v_add_f32_e32 v4, v4, v5
	v_cvt_i32_f32_e32 v5, v6
	v_exp_f32_e32 v4, v4
	s_waitcnt_depctr 0xfff
	v_ldexp_f32 v4, v4, v5
	s_delay_alu instid0(VALU_DEP_1) | instskip(SKIP_1) | instid1(VALU_DEP_2)
	v_cndmask_b32_e32 v4, 0, v4, vcc_lo
	v_cmp_nlt_f32_e32 vcc_lo, 0x42b17218, v1
	v_cndmask_b32_e32 v1, 0x7f800000, v4, vcc_lo
	s_delay_alu instid0(VALU_DEP_1) | instskip(NEXT) | instid1(VALU_DEP_1)
	v_dual_add_f32 v0, v0, v1 :: v_dual_sub_f32 v1, v9, v7
	v_mul_f32_e32 v4, 0x3fb8aa3b, v1
	v_cmp_ngt_f32_e32 vcc_lo, 0xc2ce8ed0, v1
	s_delay_alu instid0(VALU_DEP_2) | instskip(SKIP_1) | instid1(VALU_DEP_1)
	v_fma_f32 v5, 0x3fb8aa3b, v1, -v4
	v_rndne_f32_e32 v6, v4
	v_dual_fmac_f32 v5, 0x32a5705f, v1 :: v_dual_sub_f32 v4, v4, v6
	s_delay_alu instid0(VALU_DEP_1) | instskip(SKIP_1) | instid1(VALU_DEP_2)
	v_add_f32_e32 v4, v4, v5
	v_cvt_i32_f32_e32 v5, v6
	v_exp_f32_e32 v4, v4
	s_waitcnt_depctr 0xfff
	v_ldexp_f32 v4, v4, v5
	s_delay_alu instid0(VALU_DEP_1) | instskip(SKIP_1) | instid1(VALU_DEP_2)
	v_cndmask_b32_e32 v4, 0, v4, vcc_lo
	v_cmp_nlt_f32_e32 vcc_lo, 0x42b17218, v1
	v_cndmask_b32_e32 v1, 0x7f800000, v4, vcc_lo
	s_delay_alu instid0(VALU_DEP_1) | instskip(NEXT) | instid1(VALU_DEP_1)
	v_dual_add_f32 v0, v0, v1 :: v_dual_sub_f32 v1, v10, v7
	v_mul_f32_e32 v4, 0x3fb8aa3b, v1
	v_cmp_ngt_f32_e32 vcc_lo, 0xc2ce8ed0, v1
	s_delay_alu instid0(VALU_DEP_2) | instskip(SKIP_1) | instid1(VALU_DEP_1)
	v_fma_f32 v5, 0x3fb8aa3b, v1, -v4
	v_rndne_f32_e32 v6, v4
	v_dual_fmac_f32 v5, 0x32a5705f, v1 :: v_dual_sub_f32 v4, v4, v6
	s_delay_alu instid0(VALU_DEP_1) | instskip(SKIP_1) | instid1(VALU_DEP_2)
	v_add_f32_e32 v4, v4, v5
	v_cvt_i32_f32_e32 v5, v6
	v_exp_f32_e32 v4, v4
	s_waitcnt_depctr 0xfff
	v_ldexp_f32 v4, v4, v5
	s_delay_alu instid0(VALU_DEP_1) | instskip(SKIP_1) | instid1(VALU_DEP_2)
	v_cndmask_b32_e32 v4, 0, v4, vcc_lo
	v_cmp_nlt_f32_e32 vcc_lo, 0x42b17218, v1
	v_cndmask_b32_e32 v1, 0x7f800000, v4, vcc_lo
	s_delay_alu instid0(VALU_DEP_1) | instskip(SKIP_3) | instid1(VALU_DEP_2)
	v_dual_add_f32 v0, v0, v1 :: v_dual_sub_f32 v1, v11, v7
	scratch_load_b128 v[8:11], off, off offset:32
	v_mul_f32_e32 v4, 0x3fb8aa3b, v1
	v_cmp_ngt_f32_e32 vcc_lo, 0xc2ce8ed0, v1
	v_fma_f32 v5, 0x3fb8aa3b, v1, -v4
	v_rndne_f32_e32 v6, v4
	s_delay_alu instid0(VALU_DEP_1) | instskip(NEXT) | instid1(VALU_DEP_1)
	v_dual_fmac_f32 v5, 0x32a5705f, v1 :: v_dual_sub_f32 v4, v4, v6
	v_add_f32_e32 v4, v4, v5
	v_cvt_i32_f32_e32 v5, v6
	s_delay_alu instid0(VALU_DEP_2) | instskip(SKIP_2) | instid1(VALU_DEP_1)
	v_exp_f32_e32 v4, v4
	s_waitcnt_depctr 0xfff
	v_ldexp_f32 v4, v4, v5
	v_cndmask_b32_e32 v4, 0, v4, vcc_lo
	v_cmp_nlt_f32_e32 vcc_lo, 0x42b17218, v1
	s_delay_alu instid0(VALU_DEP_2) | instskip(NEXT) | instid1(VALU_DEP_1)
	v_cndmask_b32_e32 v1, 0x7f800000, v4, vcc_lo
	v_add_f32_e32 v0, v0, v1
	s_waitcnt vmcnt(0)
	v_sub_f32_e32 v1, v8, v7
	s_delay_alu instid0(VALU_DEP_1) | instskip(SKIP_1) | instid1(VALU_DEP_2)
	v_mul_f32_e32 v4, 0x3fb8aa3b, v1
	v_cmp_ngt_f32_e32 vcc_lo, 0xc2ce8ed0, v1
	v_fma_f32 v5, 0x3fb8aa3b, v1, -v4
	v_rndne_f32_e32 v6, v4
	s_delay_alu instid0(VALU_DEP_1) | instskip(NEXT) | instid1(VALU_DEP_1)
	v_dual_fmac_f32 v5, 0x32a5705f, v1 :: v_dual_sub_f32 v4, v4, v6
	v_add_f32_e32 v4, v4, v5
	v_cvt_i32_f32_e32 v5, v6
	s_delay_alu instid0(VALU_DEP_2) | instskip(SKIP_2) | instid1(VALU_DEP_1)
	v_exp_f32_e32 v4, v4
	s_waitcnt_depctr 0xfff
	v_ldexp_f32 v4, v4, v5
	v_cndmask_b32_e32 v4, 0, v4, vcc_lo
	v_cmp_nlt_f32_e32 vcc_lo, 0x42b17218, v1
	s_delay_alu instid0(VALU_DEP_2) | instskip(NEXT) | instid1(VALU_DEP_1)
	v_cndmask_b32_e32 v1, 0x7f800000, v4, vcc_lo
	v_dual_add_f32 v0, v0, v1 :: v_dual_sub_f32 v1, v9, v7
	s_delay_alu instid0(VALU_DEP_1) | instskip(SKIP_1) | instid1(VALU_DEP_2)
	v_mul_f32_e32 v4, 0x3fb8aa3b, v1
	v_cmp_ngt_f32_e32 vcc_lo, 0xc2ce8ed0, v1
	v_fma_f32 v5, 0x3fb8aa3b, v1, -v4
	v_rndne_f32_e32 v6, v4
	s_delay_alu instid0(VALU_DEP_1) | instskip(NEXT) | instid1(VALU_DEP_1)
	v_dual_fmac_f32 v5, 0x32a5705f, v1 :: v_dual_sub_f32 v4, v4, v6
	v_add_f32_e32 v4, v4, v5
	v_cvt_i32_f32_e32 v5, v6
	s_delay_alu instid0(VALU_DEP_2) | instskip(SKIP_2) | instid1(VALU_DEP_1)
	v_exp_f32_e32 v4, v4
	s_waitcnt_depctr 0xfff
	v_ldexp_f32 v4, v4, v5
	v_cndmask_b32_e32 v4, 0, v4, vcc_lo
	v_cmp_nlt_f32_e32 vcc_lo, 0x42b17218, v1
	s_delay_alu instid0(VALU_DEP_2) | instskip(NEXT) | instid1(VALU_DEP_1)
	v_cndmask_b32_e32 v1, 0x7f800000, v4, vcc_lo
	v_dual_add_f32 v0, v0, v1 :: v_dual_sub_f32 v1, v10, v7
	;; [unrolled: 18-line block ×3, first 2 shown]
	scratch_load_b128 v[8:11], off, off offset:48
	v_mul_f32_e32 v4, 0x3fb8aa3b, v1
	v_cmp_ngt_f32_e32 vcc_lo, 0xc2ce8ed0, v1
	s_delay_alu instid0(VALU_DEP_2) | instskip(SKIP_1) | instid1(VALU_DEP_1)
	v_fma_f32 v5, 0x3fb8aa3b, v1, -v4
	v_rndne_f32_e32 v6, v4
	v_dual_fmac_f32 v5, 0x32a5705f, v1 :: v_dual_sub_f32 v4, v4, v6
	s_delay_alu instid0(VALU_DEP_1) | instskip(SKIP_1) | instid1(VALU_DEP_2)
	v_add_f32_e32 v4, v4, v5
	v_cvt_i32_f32_e32 v5, v6
	v_exp_f32_e32 v4, v4
	s_waitcnt_depctr 0xfff
	v_ldexp_f32 v4, v4, v5
	s_delay_alu instid0(VALU_DEP_1) | instskip(SKIP_1) | instid1(VALU_DEP_2)
	v_cndmask_b32_e32 v4, 0, v4, vcc_lo
	v_cmp_nlt_f32_e32 vcc_lo, 0x42b17218, v1
	v_cndmask_b32_e32 v1, 0x7f800000, v4, vcc_lo
	s_delay_alu instid0(VALU_DEP_1) | instskip(SKIP_2) | instid1(VALU_DEP_1)
	v_add_f32_e32 v0, v0, v1
	s_waitcnt vmcnt(0)
	v_sub_f32_e32 v1, v8, v7
	v_mul_f32_e32 v4, 0x3fb8aa3b, v1
	v_cmp_ngt_f32_e32 vcc_lo, 0xc2ce8ed0, v1
	s_delay_alu instid0(VALU_DEP_2) | instskip(SKIP_1) | instid1(VALU_DEP_1)
	v_fma_f32 v5, 0x3fb8aa3b, v1, -v4
	v_rndne_f32_e32 v6, v4
	v_dual_fmac_f32 v5, 0x32a5705f, v1 :: v_dual_sub_f32 v4, v4, v6
	s_delay_alu instid0(VALU_DEP_1) | instskip(SKIP_1) | instid1(VALU_DEP_2)
	v_add_f32_e32 v4, v4, v5
	v_cvt_i32_f32_e32 v5, v6
	v_exp_f32_e32 v4, v4
	s_waitcnt_depctr 0xfff
	v_ldexp_f32 v4, v4, v5
	s_delay_alu instid0(VALU_DEP_1) | instskip(SKIP_1) | instid1(VALU_DEP_2)
	v_cndmask_b32_e32 v4, 0, v4, vcc_lo
	v_cmp_nlt_f32_e32 vcc_lo, 0x42b17218, v1
	v_cndmask_b32_e32 v1, 0x7f800000, v4, vcc_lo
	s_delay_alu instid0(VALU_DEP_1) | instskip(NEXT) | instid1(VALU_DEP_1)
	v_dual_add_f32 v0, v0, v1 :: v_dual_sub_f32 v1, v9, v7
	v_mul_f32_e32 v4, 0x3fb8aa3b, v1
	v_cmp_ngt_f32_e32 vcc_lo, 0xc2ce8ed0, v1
	s_delay_alu instid0(VALU_DEP_2) | instskip(SKIP_1) | instid1(VALU_DEP_1)
	v_fma_f32 v5, 0x3fb8aa3b, v1, -v4
	v_rndne_f32_e32 v6, v4
	v_dual_fmac_f32 v5, 0x32a5705f, v1 :: v_dual_sub_f32 v4, v4, v6
	s_delay_alu instid0(VALU_DEP_1) | instskip(SKIP_1) | instid1(VALU_DEP_2)
	v_add_f32_e32 v4, v4, v5
	v_cvt_i32_f32_e32 v5, v6
	v_exp_f32_e32 v4, v4
	s_waitcnt_depctr 0xfff
	v_ldexp_f32 v4, v4, v5
	s_delay_alu instid0(VALU_DEP_1) | instskip(SKIP_1) | instid1(VALU_DEP_2)
	v_cndmask_b32_e32 v4, 0, v4, vcc_lo
	v_cmp_nlt_f32_e32 vcc_lo, 0x42b17218, v1
	v_cndmask_b32_e32 v1, 0x7f800000, v4, vcc_lo
	s_delay_alu instid0(VALU_DEP_1) | instskip(NEXT) | instid1(VALU_DEP_1)
	v_dual_add_f32 v0, v0, v1 :: v_dual_sub_f32 v1, v10, v7
	v_mul_f32_e32 v4, 0x3fb8aa3b, v1
	v_cmp_ngt_f32_e32 vcc_lo, 0xc2ce8ed0, v1
	s_delay_alu instid0(VALU_DEP_2) | instskip(SKIP_1) | instid1(VALU_DEP_1)
	v_fma_f32 v5, 0x3fb8aa3b, v1, -v4
	v_rndne_f32_e32 v6, v4
	v_dual_fmac_f32 v5, 0x32a5705f, v1 :: v_dual_sub_f32 v4, v4, v6
	s_delay_alu instid0(VALU_DEP_1) | instskip(SKIP_1) | instid1(VALU_DEP_2)
	v_add_f32_e32 v4, v4, v5
	v_cvt_i32_f32_e32 v5, v6
	v_exp_f32_e32 v4, v4
	s_waitcnt_depctr 0xfff
	v_ldexp_f32 v4, v4, v5
	s_delay_alu instid0(VALU_DEP_1) | instskip(SKIP_1) | instid1(VALU_DEP_2)
	v_cndmask_b32_e32 v4, 0, v4, vcc_lo
	v_cmp_nlt_f32_e32 vcc_lo, 0x42b17218, v1
	v_cndmask_b32_e32 v1, 0x7f800000, v4, vcc_lo
	s_delay_alu instid0(VALU_DEP_1) | instskip(SKIP_3) | instid1(VALU_DEP_2)
	v_dual_add_f32 v0, v0, v1 :: v_dual_sub_f32 v1, v11, v7
	scratch_load_b128 v[8:11], off, off offset:64
	v_mul_f32_e32 v4, 0x3fb8aa3b, v1
	v_cmp_ngt_f32_e32 vcc_lo, 0xc2ce8ed0, v1
	v_fma_f32 v5, 0x3fb8aa3b, v1, -v4
	v_rndne_f32_e32 v6, v4
	s_delay_alu instid0(VALU_DEP_1) | instskip(NEXT) | instid1(VALU_DEP_1)
	v_dual_fmac_f32 v5, 0x32a5705f, v1 :: v_dual_sub_f32 v4, v4, v6
	v_add_f32_e32 v4, v4, v5
	v_cvt_i32_f32_e32 v5, v6
	s_delay_alu instid0(VALU_DEP_2) | instskip(SKIP_2) | instid1(VALU_DEP_1)
	v_exp_f32_e32 v4, v4
	s_waitcnt_depctr 0xfff
	v_ldexp_f32 v4, v4, v5
	v_cndmask_b32_e32 v4, 0, v4, vcc_lo
	v_cmp_nlt_f32_e32 vcc_lo, 0x42b17218, v1
	s_delay_alu instid0(VALU_DEP_2) | instskip(NEXT) | instid1(VALU_DEP_1)
	v_cndmask_b32_e32 v1, 0x7f800000, v4, vcc_lo
	v_add_f32_e32 v0, v0, v1
	s_waitcnt vmcnt(0)
	v_sub_f32_e32 v1, v8, v7
	s_delay_alu instid0(VALU_DEP_1) | instskip(SKIP_1) | instid1(VALU_DEP_2)
	v_mul_f32_e32 v4, 0x3fb8aa3b, v1
	v_cmp_ngt_f32_e32 vcc_lo, 0xc2ce8ed0, v1
	v_fma_f32 v5, 0x3fb8aa3b, v1, -v4
	v_rndne_f32_e32 v6, v4
	s_delay_alu instid0(VALU_DEP_1) | instskip(NEXT) | instid1(VALU_DEP_1)
	v_dual_fmac_f32 v5, 0x32a5705f, v1 :: v_dual_sub_f32 v4, v4, v6
	v_add_f32_e32 v4, v4, v5
	v_cvt_i32_f32_e32 v5, v6
	s_delay_alu instid0(VALU_DEP_2) | instskip(SKIP_2) | instid1(VALU_DEP_1)
	v_exp_f32_e32 v4, v4
	s_waitcnt_depctr 0xfff
	v_ldexp_f32 v4, v4, v5
	v_cndmask_b32_e32 v4, 0, v4, vcc_lo
	v_cmp_nlt_f32_e32 vcc_lo, 0x42b17218, v1
	s_delay_alu instid0(VALU_DEP_2) | instskip(NEXT) | instid1(VALU_DEP_1)
	v_cndmask_b32_e32 v1, 0x7f800000, v4, vcc_lo
	v_dual_add_f32 v0, v0, v1 :: v_dual_sub_f32 v1, v9, v7
	s_delay_alu instid0(VALU_DEP_1) | instskip(SKIP_1) | instid1(VALU_DEP_2)
	v_mul_f32_e32 v4, 0x3fb8aa3b, v1
	v_cmp_ngt_f32_e32 vcc_lo, 0xc2ce8ed0, v1
	v_fma_f32 v5, 0x3fb8aa3b, v1, -v4
	v_rndne_f32_e32 v6, v4
	s_delay_alu instid0(VALU_DEP_1) | instskip(NEXT) | instid1(VALU_DEP_1)
	v_dual_fmac_f32 v5, 0x32a5705f, v1 :: v_dual_sub_f32 v4, v4, v6
	v_add_f32_e32 v4, v4, v5
	v_cvt_i32_f32_e32 v5, v6
	s_delay_alu instid0(VALU_DEP_2) | instskip(SKIP_2) | instid1(VALU_DEP_1)
	v_exp_f32_e32 v4, v4
	s_waitcnt_depctr 0xfff
	v_ldexp_f32 v4, v4, v5
	v_cndmask_b32_e32 v4, 0, v4, vcc_lo
	v_cmp_nlt_f32_e32 vcc_lo, 0x42b17218, v1
	s_delay_alu instid0(VALU_DEP_2) | instskip(NEXT) | instid1(VALU_DEP_1)
	v_cndmask_b32_e32 v1, 0x7f800000, v4, vcc_lo
	v_dual_add_f32 v0, v0, v1 :: v_dual_sub_f32 v1, v10, v7
	;; [unrolled: 18-line block ×3, first 2 shown]
	s_delay_alu instid0(VALU_DEP_1) | instskip(SKIP_1) | instid1(VALU_DEP_2)
	v_mul_f32_e32 v4, 0x3fb8aa3b, v1
	v_cmp_ngt_f32_e32 vcc_lo, 0xc2ce8ed0, v1
	v_fma_f32 v5, 0x3fb8aa3b, v1, -v4
	v_rndne_f32_e32 v6, v4
	s_delay_alu instid0(VALU_DEP_1) | instskip(NEXT) | instid1(VALU_DEP_1)
	v_dual_fmac_f32 v5, 0x32a5705f, v1 :: v_dual_sub_f32 v4, v4, v6
	v_add_f32_e32 v4, v4, v5
	v_cvt_i32_f32_e32 v5, v6
	s_delay_alu instid0(VALU_DEP_2) | instskip(SKIP_2) | instid1(VALU_DEP_1)
	v_exp_f32_e32 v4, v4
	s_waitcnt_depctr 0xfff
	v_ldexp_f32 v4, v4, v5
	v_cndmask_b32_e32 v4, 0, v4, vcc_lo
	v_cmp_nlt_f32_e32 vcc_lo, 0x42b17218, v1
	s_delay_alu instid0(VALU_DEP_2) | instskip(SKIP_4) | instid1(VALU_DEP_1)
	v_cndmask_b32_e32 v1, 0x7f800000, v4, vcc_lo
	scratch_load_b96 v[4:6], off, off offset:80
	v_add_f32_e32 v0, v0, v1
	s_waitcnt vmcnt(0)
	v_sub_f32_e32 v1, v4, v7
	v_mul_f32_e32 v4, 0x3fb8aa3b, v1
	v_cmp_ngt_f32_e32 vcc_lo, 0xc2ce8ed0, v1
	s_delay_alu instid0(VALU_DEP_2) | instskip(SKIP_1) | instid1(VALU_DEP_2)
	v_fma_f32 v8, 0x3fb8aa3b, v1, -v4
	v_rndne_f32_e32 v9, v4
	v_fmac_f32_e32 v8, 0x32a5705f, v1
	s_delay_alu instid0(VALU_DEP_2) | instskip(NEXT) | instid1(VALU_DEP_1)
	v_sub_f32_e32 v4, v4, v9
	v_add_f32_e32 v4, v4, v8
	v_cvt_i32_f32_e32 v8, v9
	s_delay_alu instid0(VALU_DEP_2) | instskip(SKIP_2) | instid1(VALU_DEP_1)
	v_exp_f32_e32 v4, v4
	s_waitcnt_depctr 0xfff
	v_ldexp_f32 v4, v4, v8
	v_cndmask_b32_e32 v4, 0, v4, vcc_lo
	v_cmp_nlt_f32_e32 vcc_lo, 0x42b17218, v1
	s_delay_alu instid0(VALU_DEP_2) | instskip(NEXT) | instid1(VALU_DEP_1)
	v_cndmask_b32_e32 v1, 0x7f800000, v4, vcc_lo
	v_dual_add_f32 v0, v0, v1 :: v_dual_sub_f32 v1, v5, v7
	s_delay_alu instid0(VALU_DEP_1) | instskip(SKIP_1) | instid1(VALU_DEP_2)
	v_mul_f32_e32 v4, 0x3fb8aa3b, v1
	v_cmp_ngt_f32_e32 vcc_lo, 0xc2ce8ed0, v1
	v_fma_f32 v5, 0x3fb8aa3b, v1, -v4
	v_rndne_f32_e32 v8, v4
	s_delay_alu instid0(VALU_DEP_1) | instskip(NEXT) | instid1(VALU_DEP_1)
	v_dual_fmac_f32 v5, 0x32a5705f, v1 :: v_dual_sub_f32 v4, v4, v8
	v_add_f32_e32 v4, v4, v5
	v_cvt_i32_f32_e32 v5, v8
	s_delay_alu instid0(VALU_DEP_2) | instskip(SKIP_2) | instid1(VALU_DEP_1)
	v_exp_f32_e32 v4, v4
	s_waitcnt_depctr 0xfff
	v_ldexp_f32 v4, v4, v5
	v_cndmask_b32_e32 v4, 0, v4, vcc_lo
	v_cmp_nlt_f32_e32 vcc_lo, 0x42b17218, v1
	s_delay_alu instid0(VALU_DEP_2) | instskip(NEXT) | instid1(VALU_DEP_1)
	v_cndmask_b32_e32 v1, 0x7f800000, v4, vcc_lo
	v_dual_add_f32 v0, v0, v1 :: v_dual_sub_f32 v1, v6, v7
	s_delay_alu instid0(VALU_DEP_1) | instskip(SKIP_1) | instid1(VALU_DEP_2)
	v_mul_f32_e32 v4, 0x3fb8aa3b, v1
	v_cmp_ngt_f32_e32 vcc_lo, 0xc2ce8ed0, v1
	v_fma_f32 v5, 0x3fb8aa3b, v1, -v4
	v_rndne_f32_e32 v6, v4
	s_delay_alu instid0(VALU_DEP_1) | instskip(NEXT) | instid1(VALU_DEP_1)
	v_dual_fmac_f32 v5, 0x32a5705f, v1 :: v_dual_sub_f32 v4, v4, v6
	v_add_f32_e32 v4, v4, v5
	v_cvt_i32_f32_e32 v5, v6
	s_delay_alu instid0(VALU_DEP_2) | instskip(SKIP_2) | instid1(VALU_DEP_1)
	v_exp_f32_e32 v4, v4
	s_waitcnt_depctr 0xfff
	v_ldexp_f32 v4, v4, v5
	v_cndmask_b32_e32 v4, 0, v4, vcc_lo
	v_cmp_nlt_f32_e32 vcc_lo, 0x42b17218, v1
	s_delay_alu instid0(VALU_DEP_2) | instskip(NEXT) | instid1(VALU_DEP_1)
	v_cndmask_b32_e32 v1, 0x7f800000, v4, vcc_lo
	v_dual_add_f32 v0, v0, v1 :: v_dual_sub_f32 v1, v2, v7
	s_delay_alu instid0(VALU_DEP_1) | instskip(SKIP_1) | instid1(VALU_DEP_2)
	v_mul_f32_e32 v2, 0x3fb8aa3b, v1
	v_cmp_ngt_f32_e32 vcc_lo, 0xc2ce8ed0, v1
	v_fma_f32 v4, 0x3fb8aa3b, v1, -v2
	v_rndne_f32_e32 v5, v2
	s_delay_alu instid0(VALU_DEP_2) | instskip(NEXT) | instid1(VALU_DEP_2)
	v_fmac_f32_e32 v4, 0x32a5705f, v1
	v_sub_f32_e32 v2, v2, v5
	s_delay_alu instid0(VALU_DEP_1) | instskip(SKIP_1) | instid1(VALU_DEP_2)
	v_add_f32_e32 v2, v2, v4
	v_cvt_i32_f32_e32 v4, v5
	v_exp_f32_e32 v2, v2
	s_waitcnt_depctr 0xfff
	v_ldexp_f32 v2, v2, v4
	s_delay_alu instid0(VALU_DEP_1) | instskip(SKIP_1) | instid1(VALU_DEP_2)
	v_cndmask_b32_e32 v2, 0, v2, vcc_lo
	v_cmp_nlt_f32_e32 vcc_lo, 0x42b17218, v1
	v_cndmask_b32_e32 v1, 0x7f800000, v2, vcc_lo
	s_delay_alu instid0(VALU_DEP_1) | instskip(NEXT) | instid1(VALU_DEP_1)
	v_dual_add_f32 v0, v0, v1 :: v_dual_sub_f32 v1, v3, v7
	v_mul_f32_e32 v2, 0x3fb8aa3b, v1
	v_cmp_ngt_f32_e32 vcc_lo, 0xc2ce8ed0, v1
	s_delay_alu instid0(VALU_DEP_2) | instskip(SKIP_1) | instid1(VALU_DEP_1)
	v_fma_f32 v3, 0x3fb8aa3b, v1, -v2
	v_rndne_f32_e32 v4, v2
	v_dual_fmac_f32 v3, 0x32a5705f, v1 :: v_dual_sub_f32 v2, v2, v4
	s_delay_alu instid0(VALU_DEP_1) | instskip(SKIP_1) | instid1(VALU_DEP_2)
	v_add_f32_e32 v2, v2, v3
	v_cvt_i32_f32_e32 v3, v4
	v_exp_f32_e32 v2, v2
	s_waitcnt_depctr 0xfff
	v_ldexp_f32 v2, v2, v3
	s_delay_alu instid0(VALU_DEP_1) | instskip(SKIP_1) | instid1(VALU_DEP_2)
	v_cndmask_b32_e32 v2, 0, v2, vcc_lo
	v_cmp_nlt_f32_e32 vcc_lo, 0x42b17218, v1
	v_cndmask_b32_e32 v1, 0x7f800000, v2, vcc_lo
	s_delay_alu instid0(VALU_DEP_1) | instskip(SKIP_4) | instid1(VALU_DEP_2)
	v_add_f32_e32 v4, v0, v1
	scratch_load_b128 v[0:3], off, off offset:100
	s_waitcnt vmcnt(0)
	v_sub_f32_e32 v0, v0, v7
	v_sub_f32_e32 v1, v1, v7
	v_mul_f32_e32 v5, 0x3fb8aa3b, v0
	v_cmp_ngt_f32_e32 vcc_lo, 0xc2ce8ed0, v0
	s_delay_alu instid0(VALU_DEP_2) | instskip(SKIP_1) | instid1(VALU_DEP_2)
	v_fma_f32 v6, 0x3fb8aa3b, v0, -v5
	v_rndne_f32_e32 v8, v5
	v_fmac_f32_e32 v6, 0x32a5705f, v0
	s_delay_alu instid0(VALU_DEP_2) | instskip(NEXT) | instid1(VALU_DEP_1)
	v_sub_f32_e32 v5, v5, v8
	v_add_f32_e32 v5, v5, v6
	v_cvt_i32_f32_e32 v6, v8
	s_delay_alu instid0(VALU_DEP_2) | instskip(SKIP_2) | instid1(VALU_DEP_1)
	v_exp_f32_e32 v5, v5
	s_waitcnt_depctr 0xfff
	v_ldexp_f32 v5, v5, v6
	v_cndmask_b32_e32 v5, 0, v5, vcc_lo
	v_cmp_nlt_f32_e32 vcc_lo, 0x42b17218, v0
	s_delay_alu instid0(VALU_DEP_2) | instskip(SKIP_1) | instid1(VALU_DEP_2)
	v_cndmask_b32_e32 v0, 0x7f800000, v5, vcc_lo
	v_cmp_ngt_f32_e32 vcc_lo, 0xc2ce8ed0, v1
	v_add_f32_e32 v0, v4, v0
	v_mul_f32_e32 v4, 0x3fb8aa3b, v1
	s_delay_alu instid0(VALU_DEP_1) | instskip(SKIP_1) | instid1(VALU_DEP_1)
	v_fma_f32 v5, 0x3fb8aa3b, v1, -v4
	v_rndne_f32_e32 v6, v4
	v_dual_fmac_f32 v5, 0x32a5705f, v1 :: v_dual_sub_f32 v4, v4, v6
	s_delay_alu instid0(VALU_DEP_1) | instskip(SKIP_1) | instid1(VALU_DEP_2)
	v_add_f32_e32 v4, v4, v5
	v_cvt_i32_f32_e32 v5, v6
	v_exp_f32_e32 v4, v4
	s_waitcnt_depctr 0xfff
	v_ldexp_f32 v4, v4, v5
	s_delay_alu instid0(VALU_DEP_1) | instskip(SKIP_1) | instid1(VALU_DEP_2)
	v_cndmask_b32_e32 v4, 0, v4, vcc_lo
	v_cmp_nlt_f32_e32 vcc_lo, 0x42b17218, v1
	v_cndmask_b32_e32 v1, 0x7f800000, v4, vcc_lo
	s_delay_alu instid0(VALU_DEP_1) | instskip(NEXT) | instid1(VALU_DEP_1)
	v_dual_add_f32 v0, v0, v1 :: v_dual_sub_f32 v1, v2, v7
	v_mul_f32_e32 v2, 0x3fb8aa3b, v1
	v_cmp_ngt_f32_e32 vcc_lo, 0xc2ce8ed0, v1
	s_delay_alu instid0(VALU_DEP_2) | instskip(SKIP_1) | instid1(VALU_DEP_2)
	v_fma_f32 v4, 0x3fb8aa3b, v1, -v2
	v_rndne_f32_e32 v5, v2
	v_fmac_f32_e32 v4, 0x32a5705f, v1
	s_delay_alu instid0(VALU_DEP_2) | instskip(NEXT) | instid1(VALU_DEP_1)
	v_sub_f32_e32 v2, v2, v5
	v_add_f32_e32 v2, v2, v4
	v_cvt_i32_f32_e32 v4, v5
	s_delay_alu instid0(VALU_DEP_2) | instskip(SKIP_2) | instid1(VALU_DEP_1)
	v_exp_f32_e32 v2, v2
	s_waitcnt_depctr 0xfff
	v_ldexp_f32 v2, v2, v4
	v_cndmask_b32_e32 v2, 0, v2, vcc_lo
	v_cmp_nlt_f32_e32 vcc_lo, 0x42b17218, v1
	s_delay_alu instid0(VALU_DEP_2) | instskip(NEXT) | instid1(VALU_DEP_1)
	v_cndmask_b32_e32 v1, 0x7f800000, v2, vcc_lo
	v_dual_add_f32 v0, v0, v1 :: v_dual_sub_f32 v1, v3, v7
	s_delay_alu instid0(VALU_DEP_1) | instskip(SKIP_1) | instid1(VALU_DEP_2)
	v_mul_f32_e32 v2, 0x3fb8aa3b, v1
	v_cmp_ngt_f32_e32 vcc_lo, 0xc2ce8ed0, v1
	v_fma_f32 v3, 0x3fb8aa3b, v1, -v2
	v_rndne_f32_e32 v4, v2
	s_delay_alu instid0(VALU_DEP_1) | instskip(NEXT) | instid1(VALU_DEP_1)
	v_dual_fmac_f32 v3, 0x32a5705f, v1 :: v_dual_sub_f32 v2, v2, v4
	v_add_f32_e32 v2, v2, v3
	v_cvt_i32_f32_e32 v3, v4
	s_delay_alu instid0(VALU_DEP_2) | instskip(SKIP_2) | instid1(VALU_DEP_1)
	v_exp_f32_e32 v2, v2
	s_waitcnt_depctr 0xfff
	v_ldexp_f32 v2, v2, v3
	v_cndmask_b32_e32 v2, 0, v2, vcc_lo
	v_cmp_nlt_f32_e32 vcc_lo, 0x42b17218, v1
	s_delay_alu instid0(VALU_DEP_2) | instskip(NEXT) | instid1(VALU_DEP_1)
	v_cndmask_b32_e32 v1, 0x7f800000, v2, vcc_lo
	v_add_f32_e32 v3, v0, v1
	scratch_load_b96 v[0:2], off, off offset:116
	s_waitcnt vmcnt(0)
	v_sub_f32_e32 v0, v0, v7
	s_delay_alu instid0(VALU_DEP_1) | instskip(SKIP_1) | instid1(VALU_DEP_2)
	v_dual_sub_f32 v1, v1, v7 :: v_dual_mul_f32 v4, 0x3fb8aa3b, v0
	v_cmp_ngt_f32_e32 vcc_lo, 0xc2ce8ed0, v0
	v_fma_f32 v5, 0x3fb8aa3b, v0, -v4
	v_rndne_f32_e32 v6, v4
	s_delay_alu instid0(VALU_DEP_1) | instskip(NEXT) | instid1(VALU_DEP_1)
	v_dual_fmac_f32 v5, 0x32a5705f, v0 :: v_dual_sub_f32 v4, v4, v6
	v_add_f32_e32 v4, v4, v5
	v_cvt_i32_f32_e32 v5, v6
	s_delay_alu instid0(VALU_DEP_2) | instskip(SKIP_2) | instid1(VALU_DEP_1)
	v_exp_f32_e32 v4, v4
	s_waitcnt_depctr 0xfff
	v_ldexp_f32 v4, v4, v5
	v_cndmask_b32_e32 v4, 0, v4, vcc_lo
	v_cmp_nlt_f32_e32 vcc_lo, 0x42b17218, v0
	s_delay_alu instid0(VALU_DEP_2) | instskip(SKIP_1) | instid1(VALU_DEP_2)
	v_cndmask_b32_e32 v0, 0x7f800000, v4, vcc_lo
	v_cmp_ngt_f32_e32 vcc_lo, 0xc2ce8ed0, v1
	v_dual_add_f32 v0, v3, v0 :: v_dual_mul_f32 v3, 0x3fb8aa3b, v1
	s_delay_alu instid0(VALU_DEP_1) | instskip(SKIP_1) | instid1(VALU_DEP_2)
	v_fma_f32 v4, 0x3fb8aa3b, v1, -v3
	v_rndne_f32_e32 v5, v3
	v_fmac_f32_e32 v4, 0x32a5705f, v1
	s_delay_alu instid0(VALU_DEP_2) | instskip(NEXT) | instid1(VALU_DEP_1)
	v_sub_f32_e32 v3, v3, v5
	v_add_f32_e32 v3, v3, v4
	v_cvt_i32_f32_e32 v4, v5
	s_delay_alu instid0(VALU_DEP_2) | instskip(SKIP_2) | instid1(VALU_DEP_1)
	v_exp_f32_e32 v3, v3
	s_waitcnt_depctr 0xfff
	v_ldexp_f32 v3, v3, v4
	v_cndmask_b32_e32 v3, 0, v3, vcc_lo
	v_cmp_nlt_f32_e32 vcc_lo, 0x42b17218, v1
	s_delay_alu instid0(VALU_DEP_2) | instskip(NEXT) | instid1(VALU_DEP_1)
	v_cndmask_b32_e32 v1, 0x7f800000, v3, vcc_lo
	v_dual_add_f32 v0, v0, v1 :: v_dual_sub_f32 v1, v2, v7
	s_delay_alu instid0(VALU_DEP_1) | instskip(SKIP_1) | instid1(VALU_DEP_2)
	v_mul_f32_e32 v2, 0x3fb8aa3b, v1
	v_cmp_ngt_f32_e32 vcc_lo, 0xc2ce8ed0, v1
	v_fma_f32 v3, 0x3fb8aa3b, v1, -v2
	v_rndne_f32_e32 v4, v2
	s_delay_alu instid0(VALU_DEP_1) | instskip(NEXT) | instid1(VALU_DEP_1)
	v_dual_fmac_f32 v3, 0x32a5705f, v1 :: v_dual_sub_f32 v2, v2, v4
	v_add_f32_e32 v2, v2, v3
	v_cvt_i32_f32_e32 v3, v4
	s_delay_alu instid0(VALU_DEP_2) | instskip(SKIP_2) | instid1(VALU_DEP_1)
	v_exp_f32_e32 v2, v2
	s_waitcnt_depctr 0xfff
	v_ldexp_f32 v2, v2, v3
	v_cndmask_b32_e32 v2, 0, v2, vcc_lo
	v_cmp_nlt_f32_e32 vcc_lo, 0x42b17218, v1
	s_delay_alu instid0(VALU_DEP_2) | instskip(SKIP_1) | instid1(VALU_DEP_2)
	v_cndmask_b32_e32 v1, 0x7f800000, v2, vcc_lo
	v_cmp_eq_u32_e32 vcc_lo, 0, v29
	v_add_f32_e32 v0, v0, v1
	s_delay_alu instid0(VALU_DEP_1) | instskip(NEXT) | instid1(VALU_DEP_1)
	v_mov_b32_dpp v1, v0 quad_perm:[1,0,3,2] row_mask:0xf bank_mask:0xf
	v_add_f32_e32 v0, v0, v1
	s_delay_alu instid0(VALU_DEP_1) | instskip(NEXT) | instid1(VALU_DEP_1)
	v_mov_b32_dpp v1, v0 quad_perm:[2,3,0,1] row_mask:0xf bank_mask:0xf
	v_add_f32_e32 v0, v0, v1
	s_delay_alu instid0(VALU_DEP_1) | instskip(NEXT) | instid1(VALU_DEP_1)
	v_mov_b32_dpp v1, v0 row_half_mirror row_mask:0xf bank_mask:0xf
	v_add_f32_e32 v0, v0, v1
	s_delay_alu instid0(VALU_DEP_1)
	v_mov_b32_dpp v1, v0 row_mirror row_mask:0xf bank_mask:0xf
	s_and_b32 exec_lo, exec_lo, vcc_lo
	s_cbranch_execz .LBB303_24
; %bb.20:
	s_delay_alu instid0(VALU_DEP_1) | instskip(NEXT) | instid1(VALU_DEP_1)
	v_add_f32_e32 v0, v0, v1
	v_add_f32_e32 v0, v30, v0
	s_delay_alu instid0(VALU_DEP_1)
	v_cmp_neq_f32_e32 vcc_lo, 0, v0
	s_and_b32 exec_lo, exec_lo, vcc_lo
	s_cbranch_execz .LBB303_24
; %bb.21:
	s_and_not1_b32 vcc_lo, exec_lo, s3
	s_cbranch_vccnz .LBB303_24
; %bb.22:
	v_div_scale_f32 v2, null, v0, v0, 1.0
	v_div_scale_f32 v4, vcc_lo, 1.0, v0, 1.0
	s_delay_alu instid0(VALU_DEP_2) | instskip(SKIP_2) | instid1(VALU_DEP_1)
	v_rcp_f32_e32 v3, v2
	s_waitcnt_depctr 0xfff
	v_fma_f32 v1, -v2, v3, 1.0
	v_fmac_f32_e32 v3, v1, v3
	v_mul_lo_u32 v1, v28, s7
	s_delay_alu instid0(VALU_DEP_2) | instskip(NEXT) | instid1(VALU_DEP_1)
	v_mul_f32_e32 v5, v4, v3
	v_fma_f32 v6, -v2, v5, v4
	s_delay_alu instid0(VALU_DEP_1) | instskip(NEXT) | instid1(VALU_DEP_1)
	v_fmac_f32_e32 v5, v6, v3
	v_fma_f32 v4, -v2, v5, v4
	v_ashrrev_i32_e32 v2, 31, v1
	s_delay_alu instid0(VALU_DEP_2) | instskip(NEXT) | instid1(VALU_DEP_2)
	v_div_fmas_f32 v5, v4, v3, v5
	v_lshlrev_b64 v[3:4], 2, v[1:2]
	s_delay_alu instid0(VALU_DEP_2) | instskip(NEXT) | instid1(VALU_DEP_2)
	v_div_fixup_f32 v2, v5, v0, 1.0
	v_add_co_u32 v0, vcc_lo, s12, v3
	s_delay_alu instid0(VALU_DEP_3)
	v_add_co_ci_u32_e32 v1, vcc_lo, s13, v4, vcc_lo
.LBB303_23:                             ; =>This Inner Loop Header: Depth=1
	global_load_b32 v3, v[0:1], off
	s_add_i32 s4, s4, -1
	s_delay_alu instid0(SALU_CYCLE_1)
	s_cmp_lg_u32 s4, 0
	s_waitcnt vmcnt(0)
	v_mul_f32_e32 v3, v2, v3
	global_store_b32 v[0:1], v3, off
	v_add_co_u32 v0, vcc_lo, v0, 4
	v_add_co_ci_u32_e32 v1, vcc_lo, 0, v1, vcc_lo
	s_cbranch_scc1 .LBB303_23
.LBB303_24:
	s_endpgm
	.section	.rodata,"a",@progbits
	.p2align	6, 0x0
	.amdhsa_kernel _ZN4vllm3moe17topkGatingSoftmaxItLi32ELi512ELi2ELi64ELb0ELi2ELNS0_23SharedExpertScoringFuncE1EEEvPKT_PKbPfiPiS9_iiiiii
		.amdhsa_group_segment_fixed_size 0
		.amdhsa_private_segment_fixed_size 144
		.amdhsa_kernarg_size 72
		.amdhsa_user_sgpr_count 15
		.amdhsa_user_sgpr_dispatch_ptr 0
		.amdhsa_user_sgpr_queue_ptr 0
		.amdhsa_user_sgpr_kernarg_segment_ptr 1
		.amdhsa_user_sgpr_dispatch_id 0
		.amdhsa_user_sgpr_private_segment_size 0
		.amdhsa_wavefront_size32 1
		.amdhsa_uses_dynamic_stack 0
		.amdhsa_enable_private_segment 1
		.amdhsa_system_sgpr_workgroup_id_x 1
		.amdhsa_system_sgpr_workgroup_id_y 0
		.amdhsa_system_sgpr_workgroup_id_z 0
		.amdhsa_system_sgpr_workgroup_info 0
		.amdhsa_system_vgpr_workitem_id 1
		.amdhsa_next_free_vgpr 77
		.amdhsa_next_free_sgpr 19
		.amdhsa_reserve_vcc 1
		.amdhsa_float_round_mode_32 0
		.amdhsa_float_round_mode_16_64 0
		.amdhsa_float_denorm_mode_32 3
		.amdhsa_float_denorm_mode_16_64 3
		.amdhsa_dx10_clamp 1
		.amdhsa_ieee_mode 1
		.amdhsa_fp16_overflow 0
		.amdhsa_workgroup_processor_mode 1
		.amdhsa_memory_ordered 1
		.amdhsa_forward_progress 0
		.amdhsa_shared_vgpr_count 0
		.amdhsa_exception_fp_ieee_invalid_op 0
		.amdhsa_exception_fp_denorm_src 0
		.amdhsa_exception_fp_ieee_div_zero 0
		.amdhsa_exception_fp_ieee_overflow 0
		.amdhsa_exception_fp_ieee_underflow 0
		.amdhsa_exception_fp_ieee_inexact 0
		.amdhsa_exception_int_div_zero 0
	.end_amdhsa_kernel
	.section	.text._ZN4vllm3moe17topkGatingSoftmaxItLi32ELi512ELi2ELi64ELb0ELi2ELNS0_23SharedExpertScoringFuncE1EEEvPKT_PKbPfiPiS9_iiiiii,"axG",@progbits,_ZN4vllm3moe17topkGatingSoftmaxItLi32ELi512ELi2ELi64ELb0ELi2ELNS0_23SharedExpertScoringFuncE1EEEvPKT_PKbPfiPiS9_iiiiii,comdat
.Lfunc_end303:
	.size	_ZN4vllm3moe17topkGatingSoftmaxItLi32ELi512ELi2ELi64ELb0ELi2ELNS0_23SharedExpertScoringFuncE1EEEvPKT_PKbPfiPiS9_iiiiii, .Lfunc_end303-_ZN4vllm3moe17topkGatingSoftmaxItLi32ELi512ELi2ELi64ELb0ELi2ELNS0_23SharedExpertScoringFuncE1EEEvPKT_PKbPfiPiS9_iiiiii
                                        ; -- End function
	.section	.AMDGPU.csdata,"",@progbits
; Kernel info:
; codeLenInByte = 8284
; NumSgprs: 21
; NumVgprs: 77
; ScratchSize: 144
; MemoryBound: 0
; FloatMode: 240
; IeeeMode: 1
; LDSByteSize: 0 bytes/workgroup (compile time only)
; SGPRBlocks: 2
; VGPRBlocks: 9
; NumSGPRsForWavesPerEU: 21
; NumVGPRsForWavesPerEU: 77
; Occupancy: 16
; WaveLimiterHint : 0
; COMPUTE_PGM_RSRC2:SCRATCH_EN: 1
; COMPUTE_PGM_RSRC2:USER_SGPR: 15
; COMPUTE_PGM_RSRC2:TRAP_HANDLER: 0
; COMPUTE_PGM_RSRC2:TGID_X_EN: 1
; COMPUTE_PGM_RSRC2:TGID_Y_EN: 0
; COMPUTE_PGM_RSRC2:TGID_Z_EN: 0
; COMPUTE_PGM_RSRC2:TIDIG_COMP_CNT: 1
	.section	.text._ZN4vllm3moe17topkGatingSoftmaxItLi32ELi512ELi2ELi64ELb1ELi4ELNS0_23SharedExpertScoringFuncE1EEEvPKT_PKbPfiPiS9_iiiiii,"axG",@progbits,_ZN4vllm3moe17topkGatingSoftmaxItLi32ELi512ELi2ELi64ELb1ELi4ELNS0_23SharedExpertScoringFuncE1EEEvPKT_PKbPfiPiS9_iiiiii,comdat
	.protected	_ZN4vllm3moe17topkGatingSoftmaxItLi32ELi512ELi2ELi64ELb1ELi4ELNS0_23SharedExpertScoringFuncE1EEEvPKT_PKbPfiPiS9_iiiiii ; -- Begin function _ZN4vllm3moe17topkGatingSoftmaxItLi32ELi512ELi2ELi64ELb1ELi4ELNS0_23SharedExpertScoringFuncE1EEEvPKT_PKbPfiPiS9_iiiiii
	.globl	_ZN4vllm3moe17topkGatingSoftmaxItLi32ELi512ELi2ELi64ELb1ELi4ELNS0_23SharedExpertScoringFuncE1EEEvPKT_PKbPfiPiS9_iiiiii
	.p2align	8
	.type	_ZN4vllm3moe17topkGatingSoftmaxItLi32ELi512ELi2ELi64ELb1ELi4ELNS0_23SharedExpertScoringFuncE1EEEvPKT_PKbPfiPiS9_iiiiii,@function
_ZN4vllm3moe17topkGatingSoftmaxItLi32ELi512ELi2ELi64ELb1ELi4ELNS0_23SharedExpertScoringFuncE1EEEvPKT_PKbPfiPiS9_iiiiii: ; @_ZN4vllm3moe17topkGatingSoftmaxItLi32ELi512ELi2ELi64ELb1ELi4ELNS0_23SharedExpertScoringFuncE1EEEvPKT_PKbPfiPiS9_iiiiii
; %bb.0:
	s_load_b32 s16, s[0:1], 0x18
	v_bfe_u32 v1, v0, 10, 10
	v_and_b32_e32 v0, 0x3ff, v0
	s_lshl_b32 s18, s15, 2
	s_mov_b32 s2, exec_lo
	s_delay_alu instid0(VALU_DEP_2) | instskip(NEXT) | instid1(VALU_DEP_2)
	v_lshlrev_b32_e32 v28, 1, v1
	v_lshrrev_b32_e32 v29, 4, v0
	s_delay_alu instid0(VALU_DEP_1) | instskip(SKIP_1) | instid1(VALU_DEP_1)
	v_add3_u32 v24, s18, v28, v29
	s_waitcnt lgkmcnt(0)
	v_cmpx_gt_i32_e64 s16, v24
	s_cbranch_execz .LBB304_22
; %bb.1:
	s_clause 0x1
	s_load_b128 s[4:7], s[0:1], 0x0
	s_load_b64 s[12:13], s[0:1], 0x10
	s_waitcnt lgkmcnt(0)
	s_cmp_eq_u64 s[6:7], 0
	s_cbranch_scc1 .LBB304_3
; %bb.2:
	v_ashrrev_i32_e32 v2, 31, v24
	v_add_co_u32 v1, vcc_lo, s6, v24
	s_delay_alu instid0(VALU_DEP_2) | instskip(SKIP_3) | instid1(VALU_DEP_1)
	v_add_co_ci_u32_e32 v2, vcc_lo, s7, v2, vcc_lo
	global_load_u8 v1, v[1:2], off
	s_waitcnt vmcnt(0)
	v_and_b32_e32 v1, 1, v1
	v_cmp_eq_u32_e32 vcc_lo, 1, v1
	s_xor_b32 s2, vcc_lo, -1
	s_delay_alu instid0(SALU_CYCLE_1)
	s_or_not1_b32 s17, s2, exec_lo
	s_branch .LBB304_4
.LBB304_3:
	s_mov_b32 s17, -1
.LBB304_4:
	s_load_b64 s[14:15], s[0:1], 0x40
	v_and_b32_e32 v25, 15, v0
	s_delay_alu instid0(VALU_DEP_1) | instskip(SKIP_2) | instid1(VALU_DEP_1)
	v_dual_mov_b32 v27, 0 :: v_dual_lshlrev_b32 v26, 5, v25
	s_waitcnt lgkmcnt(0)
	v_mul_lo_u32 v1, v24, s15
	v_ashrrev_i32_e32 v2, 31, v1
	s_delay_alu instid0(VALU_DEP_1) | instskip(SKIP_1) | instid1(VALU_DEP_2)
	v_lshlrev_b64 v[0:1], 1, v[1:2]
	v_lshlrev_b32_e32 v2, 6, v25
	v_add_co_u32 v30, vcc_lo, s4, v0
	s_delay_alu instid0(VALU_DEP_3) | instskip(SKIP_1) | instid1(VALU_DEP_2)
	v_add_co_ci_u32_e32 v31, vcc_lo, s5, v1, vcc_lo
	s_load_b128 s[4:7], s[0:1], 0x30
	v_add_co_u32 v12, vcc_lo, v30, v2
	s_delay_alu instid0(VALU_DEP_2)
	v_add_co_ci_u32_e32 v13, vcc_lo, 0, v31, vcc_lo
	v_cmp_gt_u32_e32 vcc_lo, 4, v25
	s_clause 0x3
	global_load_b128 v[0:3], v[12:13], off
	global_load_b128 v[4:7], v[12:13], off offset:16
	global_load_b128 v[8:11], v[12:13], off offset:32
	;; [unrolled: 1-line block ×3, first 2 shown]
	s_waitcnt vmcnt(3)
	v_and_b32_e32 v16, 0xffff, v0
	v_lshrrev_b32_e32 v0, 16, v0
	v_and_b32_e32 v17, 0xffff, v1
	v_lshrrev_b32_e32 v1, 16, v1
	v_and_b32_e32 v18, 0xffff, v2
	v_lshrrev_b32_e32 v2, 16, v2
	v_and_b32_e32 v19, 0xffff, v3
	v_lshrrev_b32_e32 v3, 16, v3
	s_waitcnt vmcnt(2)
	v_and_b32_e32 v32, 0xffff, v4
	v_lshrrev_b32_e32 v4, 16, v4
	v_and_b32_e32 v33, 0xffff, v5
	v_lshrrev_b32_e32 v5, 16, v5
	v_and_b32_e32 v34, 0xffff, v6
	v_lshrrev_b32_e32 v6, 16, v6
	v_and_b32_e32 v35, 0xffff, v7
	v_lshrrev_b32_e32 v40, 16, v7
	;; [unrolled: 9-line block ×4, first 2 shown]
	v_cvt_f32_u32_e32 v20, v16
	v_cvt_f32_u32_e32 v21, v0
	;; [unrolled: 1-line block ×32, first 2 shown]
	s_clause 0x7
	scratch_store_b128 off, v[36:39], off offset:112
	scratch_store_b128 off, v[32:35], off offset:96
	;; [unrolled: 1-line block ×7, first 2 shown]
	scratch_store_b128 off, v[20:23], off
	s_and_saveexec_b32 s2, vcc_lo
	s_cbranch_execz .LBB304_6
; %bb.5:
	v_lshlrev_b32_e32 v1, 1, v25
	s_delay_alu instid0(VALU_DEP_1) | instskip(SKIP_4) | instid1(VALU_DEP_1)
	v_add_co_u32 v1, vcc_lo, v30, v1
	v_add_co_ci_u32_e32 v2, vcc_lo, 0, v31, vcc_lo
	global_load_u16 v1, v[1:2], off offset:1024
	s_waitcnt vmcnt(0)
	v_cvt_f32_u32_e32 v1, v1
	v_mul_f32_e32 v2, 0xbfb8aa3b, v1
	v_cmp_nlt_f32_e32 vcc_lo, 0x42ce8ed0, v1
	s_delay_alu instid0(VALU_DEP_2) | instskip(SKIP_1) | instid1(VALU_DEP_1)
	v_fma_f32 v3, 0xbfb8aa3b, v1, -v2
	v_rndne_f32_e32 v30, v2
	v_dual_fmamk_f32 v3, v1, 0xb2a5705f, v3 :: v_dual_sub_f32 v2, v2, v30
	s_delay_alu instid0(VALU_DEP_1) | instskip(SKIP_1) | instid1(VALU_DEP_2)
	v_add_f32_e32 v2, v2, v3
	v_cvt_i32_f32_e32 v3, v30
	v_exp_f32_e32 v2, v2
	s_waitcnt_depctr 0xfff
	v_ldexp_f32 v2, v2, v3
	s_delay_alu instid0(VALU_DEP_1) | instskip(SKIP_1) | instid1(VALU_DEP_2)
	v_cndmask_b32_e32 v2, 0, v2, vcc_lo
	v_cmp_ngt_f32_e32 vcc_lo, 0xc2b17218, v1
	v_cndmask_b32_e32 v1, 0x7f800000, v2, vcc_lo
	s_delay_alu instid0(VALU_DEP_1) | instskip(NEXT) | instid1(VALU_DEP_1)
	v_add_f32_e32 v3, 1.0, v1
	v_div_scale_f32 v2, null, v3, v3, 1.0
	v_div_scale_f32 v31, vcc_lo, 1.0, v3, 1.0
	s_delay_alu instid0(VALU_DEP_2) | instskip(SKIP_2) | instid1(VALU_DEP_1)
	v_rcp_f32_e32 v30, v2
	s_waitcnt_depctr 0xfff
	v_fma_f32 v1, -v2, v30, 1.0
	v_fmac_f32_e32 v30, v1, v30
	s_waitcnt lgkmcnt(0)
	v_mul_lo_u32 v1, v24, s7
	s_delay_alu instid0(VALU_DEP_2) | instskip(NEXT) | instid1(VALU_DEP_2)
	v_mul_f32_e32 v32, v31, v30
	v_add3_u32 v1, v1, s4, v25
	s_delay_alu instid0(VALU_DEP_2) | instskip(NEXT) | instid1(VALU_DEP_1)
	v_fma_f32 v33, -v2, v32, v31
	v_fmac_f32_e32 v32, v33, v30
	s_delay_alu instid0(VALU_DEP_1) | instskip(NEXT) | instid1(VALU_DEP_4)
	v_fma_f32 v31, -v2, v32, v31
	v_ashrrev_i32_e32 v2, 31, v1
	s_delay_alu instid0(VALU_DEP_2) | instskip(NEXT) | instid1(VALU_DEP_2)
	v_div_fmas_f32 v30, v31, v30, v32
	v_lshlrev_b64 v[1:2], 2, v[1:2]
	s_delay_alu instid0(VALU_DEP_2) | instskip(NEXT) | instid1(VALU_DEP_2)
	v_div_fixup_f32 v3, v30, v3, 1.0
	v_add_co_u32 v1, vcc_lo, s12, v1
	s_delay_alu instid0(VALU_DEP_3)
	v_add_co_ci_u32_e32 v2, vcc_lo, s13, v2, vcc_lo
	global_store_b32 v[1:2], v3, off
.LBB304_6:
	s_or_b32 exec_lo, exec_lo, s2
	s_clause 0x2
	scratch_load_b128 v[34:37], off, off offset:84
	scratch_load_b128 v[38:41], off, off offset:100
	scratch_load_b96 v[1:3], off, off offset:116
	v_cmp_lt_f32_e32 vcc_lo, v20, v21
	v_or_b32_e32 v30, 1, v26
	v_or_b32_e32 v33, 21, v26
	;; [unrolled: 1-line block ×4, first 2 shown]
	v_cndmask_b32_e32 v21, v20, v21, vcc_lo
	v_cndmask_b32_e32 v31, v26, v30, vcc_lo
	v_or_b32_e32 v20, 2, v26
	s_delay_alu instid0(VALU_DEP_3) | instskip(NEXT) | instid1(VALU_DEP_2)
	v_cmp_lt_f32_e32 vcc_lo, v21, v22
	v_dual_cndmask_b32 v31, v31, v20 :: v_dual_cndmask_b32 v22, v21, v22
	v_or_b32_e32 v21, 3, v26
	s_delay_alu instid0(VALU_DEP_2) | instskip(SKIP_1) | instid1(VALU_DEP_3)
	v_cmp_lt_f32_e32 vcc_lo, v22, v23
	v_cndmask_b32_e32 v23, v22, v23, vcc_lo
	v_cndmask_b32_e32 v31, v31, v21, vcc_lo
	v_or_b32_e32 v22, 4, v26
	s_delay_alu instid0(VALU_DEP_3) | instskip(SKIP_1) | instid1(VALU_DEP_3)
	v_cmp_lt_f32_e32 vcc_lo, v23, v16
	v_cndmask_b32_e32 v23, v23, v16, vcc_lo
	v_cndmask_b32_e32 v31, v31, v22, vcc_lo
	v_or_b32_e32 v16, 5, v26
	s_delay_alu instid0(VALU_DEP_3) | instskip(SKIP_1) | instid1(VALU_DEP_3)
	;; [unrolled: 5-line block ×15, first 2 shown]
	v_cmp_lt_f32_e32 vcc_lo, v4, v6
	v_cndmask_b32_e32 v4, v4, v6, vcc_lo
	v_cndmask_b32_e32 v5, v32, v31, vcc_lo
	v_or_b32_e32 v32, 19, v26
	s_delay_alu instid0(VALU_DEP_3) | instskip(NEXT) | instid1(VALU_DEP_2)
	v_cmp_lt_f32_e32 vcc_lo, v4, v7
	v_dual_cndmask_b32 v4, v4, v7 :: v_dual_cndmask_b32 v5, v5, v32
	v_or_b32_e32 v7, 20, v26
	s_delay_alu instid0(VALU_DEP_2) | instskip(NEXT) | instid1(VALU_DEP_2)
	v_cmp_lt_f32_e32 vcc_lo, v4, v0
	v_dual_cndmask_b32 v0, v4, v0 :: v_dual_cndmask_b32 v5, v5, v7
	s_waitcnt vmcnt(2)
	s_delay_alu instid0(VALU_DEP_1) | instskip(SKIP_1) | instid1(VALU_DEP_3)
	v_cmp_lt_f32_e32 vcc_lo, v0, v34
	v_cndmask_b32_e32 v0, v0, v34, vcc_lo
	v_cndmask_b32_e32 v4, v5, v33, vcc_lo
	v_or_b32_e32 v34, 22, v26
	s_delay_alu instid0(VALU_DEP_3) | instskip(SKIP_1) | instid1(VALU_DEP_3)
	v_cmp_lt_f32_e32 vcc_lo, v0, v35
	v_cndmask_b32_e32 v0, v0, v35, vcc_lo
	v_cndmask_b32_e32 v4, v4, v34, vcc_lo
	v_or_b32_e32 v35, 23, v26
	s_delay_alu instid0(VALU_DEP_3) | instskip(SKIP_1) | instid1(VALU_DEP_3)
	;; [unrolled: 5-line block ×3, first 2 shown]
	v_cmp_lt_f32_e32 vcc_lo, v0, v37
	v_cndmask_b32_e32 v0, v0, v37, vcc_lo
	v_cndmask_b32_e32 v4, v4, v36, vcc_lo
	v_or_b32_e32 v37, 25, v26
	s_waitcnt vmcnt(1)
	s_delay_alu instid0(VALU_DEP_3) | instskip(SKIP_1) | instid1(VALU_DEP_3)
	v_cmp_lt_f32_e32 vcc_lo, v0, v38
	v_cndmask_b32_e32 v0, v0, v38, vcc_lo
	v_cndmask_b32_e32 v4, v4, v37, vcc_lo
	v_or_b32_e32 v38, 26, v26
	s_delay_alu instid0(VALU_DEP_3) | instskip(SKIP_1) | instid1(VALU_DEP_3)
	v_cmp_lt_f32_e32 vcc_lo, v0, v39
	v_cndmask_b32_e32 v0, v0, v39, vcc_lo
	v_cndmask_b32_e32 v4, v4, v38, vcc_lo
	v_or_b32_e32 v39, 27, v26
	;; [unrolled: 5-line block ×4, first 2 shown]
	s_waitcnt vmcnt(0)
	s_delay_alu instid0(VALU_DEP_3) | instskip(SKIP_1) | instid1(VALU_DEP_3)
	v_cmp_lt_f32_e32 vcc_lo, v0, v1
	v_cndmask_b32_e32 v0, v0, v1, vcc_lo
	v_cndmask_b32_e32 v4, v4, v41, vcc_lo
	s_delay_alu instid0(VALU_DEP_2) | instskip(SKIP_1) | instid1(VALU_DEP_3)
	v_cmp_lt_f32_e32 vcc_lo, v0, v2
	v_cndmask_b32_e32 v0, v0, v2, vcc_lo
	v_cndmask_b32_e32 v1, v4, v42, vcc_lo
	s_delay_alu instid0(VALU_DEP_2) | instskip(NEXT) | instid1(VALU_DEP_2)
	v_cmp_lt_f32_e32 vcc_lo, v0, v3
	v_cndmask_b32_e32 v1, v1, v43, vcc_lo
	v_cndmask_b32_e32 v0, v0, v3, vcc_lo
	s_delay_alu instid0(VALU_DEP_2) | instskip(NEXT) | instid1(VALU_DEP_2)
	v_mov_b32_dpp v2, v1 quad_perm:[1,0,3,2] row_mask:0xf bank_mask:0xf
	v_mov_b32_dpp v3, v0 quad_perm:[1,0,3,2] row_mask:0xf bank_mask:0xf
	s_delay_alu instid0(VALU_DEP_2) | instskip(NEXT) | instid1(VALU_DEP_2)
	v_cmp_lt_i32_e32 vcc_lo, v2, v1
	v_cmp_eq_f32_e64 s2, v0, v3
	v_cmp_lt_f32_e64 s3, v0, v3
	s_delay_alu instid0(VALU_DEP_2)
	s_and_b32 s2, s2, vcc_lo
	s_delay_alu instid0(VALU_DEP_1) | instid1(SALU_CYCLE_1)
	s_or_b32 vcc_lo, s3, s2
	v_dual_cndmask_b32 v0, v0, v3 :: v_dual_cndmask_b32 v1, v1, v2
	s_delay_alu instid0(VALU_DEP_1) | instskip(NEXT) | instid1(VALU_DEP_2)
	v_mov_b32_dpp v2, v0 quad_perm:[2,3,0,1] row_mask:0xf bank_mask:0xf
	v_mov_b32_dpp v3, v1 quad_perm:[2,3,0,1] row_mask:0xf bank_mask:0xf
	s_delay_alu instid0(VALU_DEP_2) | instskip(NEXT) | instid1(VALU_DEP_2)
	v_cmp_eq_f32_e32 vcc_lo, v0, v2
	v_cmp_lt_i32_e64 s2, v3, v1
	v_cmp_lt_f32_e64 s3, v0, v2
	s_delay_alu instid0(VALU_DEP_2)
	s_and_b32 s2, vcc_lo, s2
	s_delay_alu instid0(VALU_DEP_1) | instid1(SALU_CYCLE_1)
	s_or_b32 vcc_lo, s3, s2
	v_dual_cndmask_b32 v0, v0, v2 :: v_dual_cndmask_b32 v1, v1, v3
	s_delay_alu instid0(VALU_DEP_1) | instskip(NEXT) | instid1(VALU_DEP_2)
	v_mov_b32_dpp v2, v0 row_half_mirror row_mask:0xf bank_mask:0xf
	v_mov_b32_dpp v3, v1 row_half_mirror row_mask:0xf bank_mask:0xf
	s_delay_alu instid0(VALU_DEP_2) | instskip(NEXT) | instid1(VALU_DEP_2)
	v_cmp_eq_f32_e32 vcc_lo, v0, v2
	v_cmp_lt_i32_e64 s2, v3, v1
	v_cmp_lt_f32_e64 s3, v0, v2
	s_delay_alu instid0(VALU_DEP_2)
	s_and_b32 s2, vcc_lo, s2
	s_delay_alu instid0(VALU_DEP_1) | instid1(SALU_CYCLE_1)
	s_or_b32 vcc_lo, s3, s2
	s_waitcnt lgkmcnt(0)
	s_cmp_gt_i32 s4, 0
	v_cndmask_b32_e32 v2, v0, v2, vcc_lo
	v_cndmask_b32_e32 v0, v1, v3, vcc_lo
	v_cmp_eq_u32_e32 vcc_lo, 0, v25
	s_cselect_b32 s3, -1, 0
	s_cmp_lt_i32 s4, 1
	v_mov_b32_dpp v4, v2 row_mirror row_mask:0xf bank_mask:0xf
	v_mov_b32_dpp v6, v0 row_mirror row_mask:0xf bank_mask:0xf
	s_cbranch_scc1 .LBB304_18
; %bb.7:
	s_load_b128 s[8:11], s[0:1], 0x20
	s_delay_alu instid0(VALU_DEP_2) | instskip(NEXT) | instid1(VALU_DEP_2)
	v_cmp_eq_f32_e64 s0, v2, v4
	v_cmp_lt_i32_e64 s1, v6, v0
	v_cmp_lt_f32_e64 s2, v2, v4
	v_mul_lo_u32 v1, v24, s7
	v_mul_lo_u32 v3, v24, s14
	;; [unrolled: 1-line block ×3, first 2 shown]
	s_and_b32 s0, s0, s1
	v_mov_b32_e32 v27, 0
	s_or_b32 s0, s2, s0
	s_delay_alu instid0(SALU_CYCLE_1)
	v_cndmask_b32_e64 v0, v0, v6, s0
	v_cndmask_b32_e64 v44, v2, v4, s0
	s_and_saveexec_b32 s2, vcc_lo
	s_cbranch_execz .LBB304_9
; %bb.8:
	s_delay_alu instid0(VALU_DEP_1)
	v_sub_f32_e32 v27, v44, v44
	v_cmp_le_i32_e64 s0, s5, v0
	v_cmp_gt_i32_e64 s1, s6, v0
	v_subrev_nc_u32_e32 v51, s5, v0
	v_ashrrev_i32_e32 v6, 31, v5
	v_mul_f32_e32 v2, 0x3fb8aa3b, v27
	s_delay_alu instid0(VALU_DEP_4) | instskip(NEXT) | instid1(SALU_CYCLE_1)
	s_and_b32 s0, s0, s1
	s_and_b32 s0, s17, s0
	s_delay_alu instid0(VALU_DEP_1) | instskip(SKIP_2) | instid1(VALU_DEP_3)
	v_rndne_f32_e32 v47, v2
	v_fma_f32 v4, 0x3fb8aa3b, v27, -v2
	v_lshlrev_b64 v[49:50], 2, v[5:6]
	v_sub_f32_e32 v2, v2, v47
	s_delay_alu instid0(VALU_DEP_3) | instskip(NEXT) | instid1(VALU_DEP_1)
	v_fmamk_f32 v4, v27, 0x32a5705f, v4
	v_add_f32_e32 v4, v2, v4
	v_ashrrev_i32_e32 v2, 31, v1
	s_delay_alu instid0(VALU_DEP_2) | instskip(NEXT) | instid1(VALU_DEP_1)
	v_exp_f32_e32 v52, v4
	v_lshlrev_b64 v[45:46], 2, v[1:2]
	v_ashrrev_i32_e32 v4, 31, v3
	v_cvt_i32_f32_e32 v2, v47
	s_delay_alu instid0(VALU_DEP_2) | instskip(SKIP_2) | instid1(VALU_DEP_1)
	v_lshlrev_b64 v[47:48], 2, v[3:4]
	v_cndmask_b32_e64 v4, 0x200, v51, s0
	v_add_co_u32 v45, s0, s12, v45
	v_add_co_ci_u32_e64 v46, s0, s13, v46, s0
	s_delay_alu instid0(TRANS32_DEP_1) | instskip(SKIP_1) | instid1(VALU_DEP_1)
	v_ldexp_f32 v2, v52, v2
	v_cmp_ngt_f32_e64 s0, 0xc2ce8ed0, v27
	v_cndmask_b32_e64 v2, 0, v2, s0
	s_waitcnt lgkmcnt(0)
	v_add_co_u32 v47, s0, s8, v47
	s_delay_alu instid0(VALU_DEP_1) | instskip(SKIP_1) | instid1(VALU_DEP_1)
	v_add_co_ci_u32_e64 v48, s0, s9, v48, s0
	v_cmp_nlt_f32_e64 s0, 0x42b17218, v27
	v_cndmask_b32_e64 v27, 0x7f800000, v2, s0
	v_add_co_u32 v49, s0, s10, v49
	s_delay_alu instid0(VALU_DEP_1)
	v_add_co_ci_u32_e64 v50, s0, s11, v50, s0
	global_store_b32 v[47:48], v4, off
	global_store_b32 v[45:46], v27, off
	global_store_b32 v[49:50], v24, off
.LBB304_9:
	s_or_b32 exec_lo, exec_lo, s2
	v_ashrrev_i32_e32 v4, 31, v0
	s_mov_b32 s1, exec_lo
	s_delay_alu instid0(VALU_DEP_1) | instskip(NEXT) | instid1(VALU_DEP_1)
	v_lshrrev_b32_e32 v2, 27, v4
	v_add_nc_u32_e32 v2, v0, v2
	s_delay_alu instid0(VALU_DEP_1) | instskip(NEXT) | instid1(VALU_DEP_1)
	v_ashrrev_i32_e32 v2, 5, v2
	v_lshrrev_b32_e32 v6, 28, v2
	s_delay_alu instid0(VALU_DEP_1) | instskip(NEXT) | instid1(VALU_DEP_1)
	v_add_nc_u32_e32 v6, v2, v6
	v_and_b32_e32 v6, -16, v6
	s_delay_alu instid0(VALU_DEP_1) | instskip(NEXT) | instid1(VALU_DEP_1)
	v_sub_nc_u32_e32 v6, v2, v6
	v_cmpx_eq_u32_e64 v25, v6
	s_cbranch_execz .LBB304_11
; %bb.10:
	v_lshrrev_b32_e32 v4, 23, v4
	v_lshlrev_b32_e32 v2, 5, v2
	s_delay_alu instid0(VALU_DEP_2) | instskip(NEXT) | instid1(VALU_DEP_2)
	v_add_nc_u32_e32 v4, v0, v4
	v_sub_nc_u32_e32 v0, v0, v2
	s_delay_alu instid0(VALU_DEP_2) | instskip(NEXT) | instid1(VALU_DEP_1)
	v_ashrrev_i32_e32 v2, 9, v4
	v_lshl_add_u32 v0, v2, 5, v0
	v_mov_b32_e32 v2, 0xff800000
	s_delay_alu instid0(VALU_DEP_2)
	v_lshl_add_u32 v0, v0, 2, 0
	scratch_store_b32 v0, v2, off
.LBB304_11:
	s_or_b32 exec_lo, exec_lo, s1
	s_cmp_eq_u32 s4, 1
	s_cbranch_scc1 .LBB304_18
; %bb.12:
	s_add_i32 s18, s18, s16
	v_add_nc_u32_e32 v0, 1, v5
	v_add3_u32 v6, s18, v29, v28
	v_add_nc_u32_e32 v2, 1, v3
	v_add_nc_u32_e32 v4, 1, v1
	v_mov_b32_e32 v28, 0xff800000
	s_add_i32 s14, s4, -1
	s_branch .LBB304_14
.LBB304_13:                             ;   in Loop: Header=BB304_14 Depth=1
	s_or_b32 exec_lo, exec_lo, s1
	v_add_nc_u32_e32 v6, s16, v6
	v_add_nc_u32_e32 v0, 1, v0
	;; [unrolled: 1-line block ×4, first 2 shown]
	s_add_i32 s14, s14, -1
	s_delay_alu instid0(SALU_CYCLE_1)
	s_cmp_eq_u32 s14, 0
	s_cbranch_scc1 .LBB304_18
.LBB304_14:                             ; =>This Inner Loop Header: Depth=1
	s_clause 0x7
	scratch_load_b128 v[45:48], off, off
	scratch_load_b128 v[49:52], off, off offset:16
	scratch_load_b128 v[53:56], off, off offset:32
	;; [unrolled: 1-line block ×7, first 2 shown]
	s_waitcnt vmcnt(7)
	v_cmp_gt_f32_e64 s0, v46, v45
	s_delay_alu instid0(VALU_DEP_1) | instskip(SKIP_1) | instid1(VALU_DEP_2)
	v_cndmask_b32_e64 v3, v45, v46, s0
	v_cndmask_b32_e64 v1, v26, v30, s0
	v_cmp_gt_f32_e64 s0, v47, v3
	s_delay_alu instid0(VALU_DEP_1) | instskip(NEXT) | instid1(VALU_DEP_3)
	v_cndmask_b32_e64 v3, v3, v47, s0
	v_cndmask_b32_e64 v1, v1, v20, s0
	s_delay_alu instid0(VALU_DEP_2) | instskip(NEXT) | instid1(VALU_DEP_1)
	v_cmp_gt_f32_e64 s0, v48, v3
	v_cndmask_b32_e64 v3, v3, v48, s0
	s_delay_alu instid0(VALU_DEP_3) | instskip(SKIP_1) | instid1(VALU_DEP_2)
	v_cndmask_b32_e64 v1, v1, v21, s0
	s_waitcnt vmcnt(6)
	v_cmp_gt_f32_e64 s0, v49, v3
	s_delay_alu instid0(VALU_DEP_1) | instskip(NEXT) | instid1(VALU_DEP_3)
	v_cndmask_b32_e64 v3, v3, v49, s0
	v_cndmask_b32_e64 v1, v1, v22, s0
	s_delay_alu instid0(VALU_DEP_2) | instskip(NEXT) | instid1(VALU_DEP_1)
	v_cmp_gt_f32_e64 s0, v50, v3
	v_cndmask_b32_e64 v3, v3, v50, s0
	s_delay_alu instid0(VALU_DEP_3) | instskip(NEXT) | instid1(VALU_DEP_2)
	v_cndmask_b32_e64 v1, v1, v16, s0
	v_cmp_gt_f32_e64 s0, v51, v3
	s_delay_alu instid0(VALU_DEP_1) | instskip(NEXT) | instid1(VALU_DEP_3)
	v_cndmask_b32_e64 v3, v3, v51, s0
	v_cndmask_b32_e64 v1, v1, v17, s0
	s_delay_alu instid0(VALU_DEP_2) | instskip(NEXT) | instid1(VALU_DEP_1)
	v_cmp_gt_f32_e64 s0, v52, v3
	v_cndmask_b32_e64 v3, v3, v52, s0
	s_delay_alu instid0(VALU_DEP_3) | instskip(SKIP_1) | instid1(VALU_DEP_2)
	v_cndmask_b32_e64 v1, v1, v18, s0
	s_waitcnt vmcnt(5)
	v_cmp_gt_f32_e64 s0, v53, v3
	s_delay_alu instid0(VALU_DEP_1) | instskip(NEXT) | instid1(VALU_DEP_3)
	v_cndmask_b32_e64 v3, v3, v53, s0
	v_cndmask_b32_e64 v1, v1, v19, s0
	s_delay_alu instid0(VALU_DEP_2) | instskip(NEXT) | instid1(VALU_DEP_1)
	v_cmp_gt_f32_e64 s0, v54, v3
	v_cndmask_b32_e64 v3, v3, v54, s0
	s_delay_alu instid0(VALU_DEP_3) | instskip(NEXT) | instid1(VALU_DEP_2)
	;; [unrolled: 19-line block ×7, first 2 shown]
	v_cndmask_b32_e64 v1, v1, v41, s0
	v_cmp_gt_f32_e64 s0, v75, v3
	s_delay_alu instid0(VALU_DEP_1) | instskip(NEXT) | instid1(VALU_DEP_3)
	v_cndmask_b32_e64 v3, v3, v75, s0
	v_cndmask_b32_e64 v1, v1, v42, s0
	s_delay_alu instid0(VALU_DEP_2) | instskip(NEXT) | instid1(VALU_DEP_1)
	v_cmp_gt_f32_e64 s0, v76, v3
	v_cndmask_b32_e64 v1, v1, v43, s0
	v_cndmask_b32_e64 v3, v3, v76, s0
	s_delay_alu instid0(VALU_DEP_2) | instskip(NEXT) | instid1(VALU_DEP_2)
	v_mov_b32_dpp v5, v1 quad_perm:[1,0,3,2] row_mask:0xf bank_mask:0xf
	v_mov_b32_dpp v29, v3 quad_perm:[1,0,3,2] row_mask:0xf bank_mask:0xf
	s_delay_alu instid0(VALU_DEP_2) | instskip(NEXT) | instid1(VALU_DEP_2)
	v_cmp_lt_i32_e64 s0, v5, v1
	v_cmp_eq_f32_e64 s1, v3, v29
	v_cmp_lt_f32_e64 s2, v3, v29
	s_delay_alu instid0(VALU_DEP_2)
	s_and_b32 s0, s1, s0
	s_delay_alu instid0(VALU_DEP_1) | instid1(SALU_CYCLE_1)
	s_or_b32 s0, s2, s0
	s_delay_alu instid0(SALU_CYCLE_1) | instskip(SKIP_1) | instid1(VALU_DEP_2)
	v_cndmask_b32_e64 v3, v3, v29, s0
	v_cndmask_b32_e64 v1, v1, v5, s0
	v_mov_b32_dpp v5, v3 quad_perm:[2,3,0,1] row_mask:0xf bank_mask:0xf
	s_delay_alu instid0(VALU_DEP_2) | instskip(NEXT) | instid1(VALU_DEP_2)
	v_mov_b32_dpp v29, v1 quad_perm:[2,3,0,1] row_mask:0xf bank_mask:0xf
	v_cmp_eq_f32_e64 s0, v3, v5
	s_delay_alu instid0(VALU_DEP_2) | instskip(SKIP_1) | instid1(VALU_DEP_2)
	v_cmp_lt_i32_e64 s1, v29, v1
	v_cmp_lt_f32_e64 s2, v3, v5
	s_and_b32 s0, s0, s1
	s_delay_alu instid0(VALU_DEP_1) | instid1(SALU_CYCLE_1)
	s_or_b32 s0, s2, s0
	s_delay_alu instid0(SALU_CYCLE_1) | instskip(SKIP_1) | instid1(VALU_DEP_2)
	v_cndmask_b32_e64 v3, v3, v5, s0
	v_cndmask_b32_e64 v5, v1, v29, s0
	v_mov_b32_dpp v1, v3 row_half_mirror row_mask:0xf bank_mask:0xf
	s_delay_alu instid0(VALU_DEP_2) | instskip(NEXT) | instid1(VALU_DEP_2)
	v_mov_b32_dpp v29, v5 row_half_mirror row_mask:0xf bank_mask:0xf
	v_cmp_eq_f32_e64 s0, v3, v1
	s_delay_alu instid0(VALU_DEP_2) | instskip(SKIP_1) | instid1(VALU_DEP_2)
	v_cmp_lt_i32_e64 s1, v29, v5
	v_cmp_lt_f32_e64 s2, v3, v1
	s_and_b32 s0, s0, s1
	s_delay_alu instid0(VALU_DEP_1) | instid1(SALU_CYCLE_1)
	s_or_b32 s0, s2, s0
	s_delay_alu instid0(SALU_CYCLE_1) | instskip(SKIP_1) | instid1(VALU_DEP_2)
	v_cndmask_b32_e64 v1, v3, v1, s0
	v_cndmask_b32_e64 v5, v5, v29, s0
	v_mov_b32_dpp v3, v1 row_mirror row_mask:0xf bank_mask:0xf
	s_delay_alu instid0(VALU_DEP_2) | instskip(NEXT) | instid1(VALU_DEP_2)
	v_mov_b32_dpp v29, v5 row_mirror row_mask:0xf bank_mask:0xf
	v_cmp_eq_f32_e64 s0, v1, v3
	s_delay_alu instid0(VALU_DEP_2) | instskip(SKIP_1) | instid1(VALU_DEP_2)
	v_cmp_lt_i32_e64 s1, v29, v5
	v_cmp_lt_f32_e64 s2, v1, v3
	s_and_b32 s0, s0, s1
	s_delay_alu instid0(VALU_DEP_1) | instid1(SALU_CYCLE_1)
	s_or_b32 s0, s2, s0
	s_delay_alu instid0(SALU_CYCLE_1)
	v_cndmask_b32_e64 v29, v5, v29, s0
	s_and_saveexec_b32 s2, vcc_lo
	s_cbranch_execz .LBB304_16
; %bb.15:                               ;   in Loop: Header=BB304_14 Depth=1
	v_cndmask_b32_e64 v1, v1, v3, s0
	s_delay_alu instid0(VALU_DEP_2) | instskip(SKIP_4) | instid1(VALU_DEP_4)
	v_cmp_le_i32_e64 s0, s5, v29
	v_cmp_gt_i32_e64 s1, s6, v29
	v_ashrrev_i32_e32 v5, 31, v4
	v_subrev_nc_u32_e32 v52, s5, v29
	v_sub_f32_e32 v51, v1, v44
	s_and_b32 s0, s0, s1
	s_delay_alu instid0(SALU_CYCLE_1) | instskip(NEXT) | instid1(VALU_DEP_1)
	s_and_b32 s0, s17, s0
	v_mul_f32_e32 v1, 0x3fb8aa3b, v51
	s_delay_alu instid0(VALU_DEP_1) | instskip(SKIP_1) | instid1(VALU_DEP_2)
	v_fma_f32 v3, 0x3fb8aa3b, v51, -v1
	v_rndne_f32_e32 v45, v1
	v_fmac_f32_e32 v3, 0x32a5705f, v51
	s_delay_alu instid0(VALU_DEP_2) | instskip(SKIP_2) | instid1(VALU_DEP_3)
	v_sub_f32_e32 v1, v1, v45
	v_cvt_i32_f32_e32 v50, v45
	v_lshlrev_b64 v[45:46], 2, v[4:5]
	v_add_f32_e32 v1, v1, v3
	v_ashrrev_i32_e32 v3, 31, v2
	s_delay_alu instid0(VALU_DEP_2) | instskip(SKIP_1) | instid1(VALU_DEP_2)
	v_exp_f32_e32 v49, v1
	v_ashrrev_i32_e32 v1, 31, v0
	v_lshlrev_b64 v[47:48], 2, v[2:3]
	s_waitcnt_depctr 0xfff
	v_ldexp_f32 v3, v49, v50
	v_lshlrev_b64 v[49:50], 2, v[0:1]
	v_cndmask_b32_e64 v1, 0x200, v52, s0
	v_cmp_ngt_f32_e64 s0, 0xc2ce8ed0, v51
	s_delay_alu instid0(VALU_DEP_1) | instskip(SKIP_1) | instid1(VALU_DEP_1)
	v_cndmask_b32_e64 v3, 0, v3, s0
	v_add_co_u32 v45, s0, s12, v45
	v_add_co_ci_u32_e64 v46, s0, s13, v46, s0
	v_cmp_nlt_f32_e64 s0, 0x42b17218, v51
	s_delay_alu instid0(VALU_DEP_1) | instskip(SKIP_2) | instid1(VALU_DEP_1)
	v_cndmask_b32_e64 v3, 0x7f800000, v3, s0
	s_waitcnt lgkmcnt(0)
	v_add_co_u32 v47, s0, s8, v47
	v_add_co_ci_u32_e64 v48, s0, s9, v48, s0
	v_add_co_u32 v49, s0, s10, v49
	v_add_f32_e32 v27, v27, v3
	v_add_co_ci_u32_e64 v50, s0, s11, v50, s0
	global_store_b32 v[45:46], v3, off
	global_store_b32 v[47:48], v1, off
	;; [unrolled: 1-line block ×3, first 2 shown]
.LBB304_16:                             ;   in Loop: Header=BB304_14 Depth=1
	s_or_b32 exec_lo, exec_lo, s2
	s_delay_alu instid0(VALU_DEP_1) | instskip(SKIP_1) | instid1(VALU_DEP_1)
	v_ashrrev_i32_e32 v3, 31, v29
	s_mov_b32 s1, exec_lo
	v_lshrrev_b32_e32 v1, 27, v3
	s_delay_alu instid0(VALU_DEP_1) | instskip(NEXT) | instid1(VALU_DEP_1)
	v_add_nc_u32_e32 v1, v29, v1
	v_ashrrev_i32_e32 v1, 5, v1
	s_delay_alu instid0(VALU_DEP_1) | instskip(NEXT) | instid1(VALU_DEP_1)
	v_lshrrev_b32_e32 v5, 28, v1
	v_add_nc_u32_e32 v5, v1, v5
	s_delay_alu instid0(VALU_DEP_1) | instskip(NEXT) | instid1(VALU_DEP_1)
	v_and_b32_e32 v5, -16, v5
	v_sub_nc_u32_e32 v5, v1, v5
	s_delay_alu instid0(VALU_DEP_1)
	v_cmpx_eq_u32_e64 v25, v5
	s_cbranch_execz .LBB304_13
; %bb.17:                               ;   in Loop: Header=BB304_14 Depth=1
	v_lshrrev_b32_e32 v3, 23, v3
	v_lshlrev_b32_e32 v1, 5, v1
	s_delay_alu instid0(VALU_DEP_2) | instskip(NEXT) | instid1(VALU_DEP_2)
	v_add_nc_u32_e32 v3, v29, v3
	v_sub_nc_u32_e32 v1, v29, v1
	s_delay_alu instid0(VALU_DEP_2) | instskip(NEXT) | instid1(VALU_DEP_1)
	v_ashrrev_i32_e32 v3, 9, v3
	v_lshl_add_u32 v1, v3, 5, v1
	s_delay_alu instid0(VALU_DEP_1)
	v_lshl_add_u32 v1, v1, 2, 0
	scratch_store_b32 v1, v28, off
	s_branch .LBB304_13
.LBB304_18:
	v_cmp_eq_u32_e32 vcc_lo, 0, v25
	v_cmp_neq_f32_e64 s0, 0, v27
	s_delay_alu instid0(VALU_DEP_1) | instskip(NEXT) | instid1(SALU_CYCLE_1)
	s_and_b32 s0, vcc_lo, s0
	s_and_b32 exec_lo, exec_lo, s0
	s_cbranch_execz .LBB304_22
; %bb.19:
	s_and_not1_b32 vcc_lo, exec_lo, s3
	s_cbranch_vccnz .LBB304_22
; %bb.20:
	v_div_scale_f32 v1, null, v27, v27, 1.0
	v_div_scale_f32 v3, vcc_lo, 1.0, v27, 1.0
	s_delay_alu instid0(VALU_DEP_2) | instskip(SKIP_2) | instid1(VALU_DEP_1)
	v_rcp_f32_e32 v2, v1
	s_waitcnt_depctr 0xfff
	v_fma_f32 v0, -v1, v2, 1.0
	v_fmac_f32_e32 v2, v0, v2
	v_mul_lo_u32 v0, v24, s7
	s_delay_alu instid0(VALU_DEP_2) | instskip(NEXT) | instid1(VALU_DEP_1)
	v_mul_f32_e32 v4, v3, v2
	v_fma_f32 v5, -v1, v4, v3
	s_delay_alu instid0(VALU_DEP_1) | instskip(NEXT) | instid1(VALU_DEP_1)
	v_fmac_f32_e32 v4, v5, v2
	v_fma_f32 v3, -v1, v4, v3
	v_ashrrev_i32_e32 v1, 31, v0
	s_delay_alu instid0(VALU_DEP_2) | instskip(NEXT) | instid1(VALU_DEP_2)
	v_div_fmas_f32 v2, v3, v2, v4
	v_lshlrev_b64 v[0:1], 2, v[0:1]
	s_delay_alu instid0(VALU_DEP_2) | instskip(NEXT) | instid1(VALU_DEP_2)
	v_div_fixup_f32 v2, v2, v27, 1.0
	v_add_co_u32 v0, vcc_lo, s12, v0
	s_delay_alu instid0(VALU_DEP_3)
	v_add_co_ci_u32_e32 v1, vcc_lo, s13, v1, vcc_lo
.LBB304_21:                             ; =>This Inner Loop Header: Depth=1
	global_load_b32 v3, v[0:1], off
	s_add_i32 s4, s4, -1
	s_delay_alu instid0(SALU_CYCLE_1)
	s_cmp_lg_u32 s4, 0
	s_waitcnt vmcnt(0)
	v_mul_f32_e32 v3, v2, v3
	global_store_b32 v[0:1], v3, off
	v_add_co_u32 v0, vcc_lo, v0, 4
	v_add_co_ci_u32_e32 v1, vcc_lo, 0, v1, vcc_lo
	s_cbranch_scc1 .LBB304_21
.LBB304_22:
	s_endpgm
	.section	.rodata,"a",@progbits
	.p2align	6, 0x0
	.amdhsa_kernel _ZN4vllm3moe17topkGatingSoftmaxItLi32ELi512ELi2ELi64ELb1ELi4ELNS0_23SharedExpertScoringFuncE1EEEvPKT_PKbPfiPiS9_iiiiii
		.amdhsa_group_segment_fixed_size 0
		.amdhsa_private_segment_fixed_size 144
		.amdhsa_kernarg_size 72
		.amdhsa_user_sgpr_count 15
		.amdhsa_user_sgpr_dispatch_ptr 0
		.amdhsa_user_sgpr_queue_ptr 0
		.amdhsa_user_sgpr_kernarg_segment_ptr 1
		.amdhsa_user_sgpr_dispatch_id 0
		.amdhsa_user_sgpr_private_segment_size 0
		.amdhsa_wavefront_size32 1
		.amdhsa_uses_dynamic_stack 0
		.amdhsa_enable_private_segment 1
		.amdhsa_system_sgpr_workgroup_id_x 1
		.amdhsa_system_sgpr_workgroup_id_y 0
		.amdhsa_system_sgpr_workgroup_id_z 0
		.amdhsa_system_sgpr_workgroup_info 0
		.amdhsa_system_vgpr_workitem_id 1
		.amdhsa_next_free_vgpr 77
		.amdhsa_next_free_sgpr 19
		.amdhsa_reserve_vcc 1
		.amdhsa_float_round_mode_32 0
		.amdhsa_float_round_mode_16_64 0
		.amdhsa_float_denorm_mode_32 3
		.amdhsa_float_denorm_mode_16_64 3
		.amdhsa_dx10_clamp 1
		.amdhsa_ieee_mode 1
		.amdhsa_fp16_overflow 0
		.amdhsa_workgroup_processor_mode 1
		.amdhsa_memory_ordered 1
		.amdhsa_forward_progress 0
		.amdhsa_shared_vgpr_count 0
		.amdhsa_exception_fp_ieee_invalid_op 0
		.amdhsa_exception_fp_denorm_src 0
		.amdhsa_exception_fp_ieee_div_zero 0
		.amdhsa_exception_fp_ieee_overflow 0
		.amdhsa_exception_fp_ieee_underflow 0
		.amdhsa_exception_fp_ieee_inexact 0
		.amdhsa_exception_int_div_zero 0
	.end_amdhsa_kernel
	.section	.text._ZN4vllm3moe17topkGatingSoftmaxItLi32ELi512ELi2ELi64ELb1ELi4ELNS0_23SharedExpertScoringFuncE1EEEvPKT_PKbPfiPiS9_iiiiii,"axG",@progbits,_ZN4vllm3moe17topkGatingSoftmaxItLi32ELi512ELi2ELi64ELb1ELi4ELNS0_23SharedExpertScoringFuncE1EEEvPKT_PKbPfiPiS9_iiiiii,comdat
.Lfunc_end304:
	.size	_ZN4vllm3moe17topkGatingSoftmaxItLi32ELi512ELi2ELi64ELb1ELi4ELNS0_23SharedExpertScoringFuncE1EEEvPKT_PKbPfiPiS9_iiiiii, .Lfunc_end304-_ZN4vllm3moe17topkGatingSoftmaxItLi32ELi512ELi2ELi64ELb1ELi4ELNS0_23SharedExpertScoringFuncE1EEEvPKT_PKbPfiPiS9_iiiiii
                                        ; -- End function
	.section	.AMDGPU.csdata,"",@progbits
; Kernel info:
; codeLenInByte = 4532
; NumSgprs: 21
; NumVgprs: 77
; ScratchSize: 144
; MemoryBound: 0
; FloatMode: 240
; IeeeMode: 1
; LDSByteSize: 0 bytes/workgroup (compile time only)
; SGPRBlocks: 2
; VGPRBlocks: 9
; NumSGPRsForWavesPerEU: 21
; NumVGPRsForWavesPerEU: 77
; Occupancy: 16
; WaveLimiterHint : 0
; COMPUTE_PGM_RSRC2:SCRATCH_EN: 1
; COMPUTE_PGM_RSRC2:USER_SGPR: 15
; COMPUTE_PGM_RSRC2:TRAP_HANDLER: 0
; COMPUTE_PGM_RSRC2:TGID_X_EN: 1
; COMPUTE_PGM_RSRC2:TGID_Y_EN: 0
; COMPUTE_PGM_RSRC2:TGID_Z_EN: 0
; COMPUTE_PGM_RSRC2:TIDIG_COMP_CNT: 1
	.section	.text._ZN4vllm3moe17topkGatingSoftmaxItLi32ELi512ELi2ELi64ELb0ELi4ELNS0_23SharedExpertScoringFuncE1EEEvPKT_PKbPfiPiS9_iiiiii,"axG",@progbits,_ZN4vllm3moe17topkGatingSoftmaxItLi32ELi512ELi2ELi64ELb0ELi4ELNS0_23SharedExpertScoringFuncE1EEEvPKT_PKbPfiPiS9_iiiiii,comdat
	.protected	_ZN4vllm3moe17topkGatingSoftmaxItLi32ELi512ELi2ELi64ELb0ELi4ELNS0_23SharedExpertScoringFuncE1EEEvPKT_PKbPfiPiS9_iiiiii ; -- Begin function _ZN4vllm3moe17topkGatingSoftmaxItLi32ELi512ELi2ELi64ELb0ELi4ELNS0_23SharedExpertScoringFuncE1EEEvPKT_PKbPfiPiS9_iiiiii
	.globl	_ZN4vllm3moe17topkGatingSoftmaxItLi32ELi512ELi2ELi64ELb0ELi4ELNS0_23SharedExpertScoringFuncE1EEEvPKT_PKbPfiPiS9_iiiiii
	.p2align	8
	.type	_ZN4vllm3moe17topkGatingSoftmaxItLi32ELi512ELi2ELi64ELb0ELi4ELNS0_23SharedExpertScoringFuncE1EEEvPKT_PKbPfiPiS9_iiiiii,@function
_ZN4vllm3moe17topkGatingSoftmaxItLi32ELi512ELi2ELi64ELb0ELi4ELNS0_23SharedExpertScoringFuncE1EEEvPKT_PKbPfiPiS9_iiiiii: ; @_ZN4vllm3moe17topkGatingSoftmaxItLi32ELi512ELi2ELi64ELb0ELi4ELNS0_23SharedExpertScoringFuncE1EEEvPKT_PKbPfiPiS9_iiiiii
; %bb.0:
	s_load_b32 s16, s[0:1], 0x18
	v_bfe_u32 v1, v0, 10, 10
	v_and_b32_e32 v0, 0x3ff, v0
	s_lshl_b32 s18, s15, 2
	s_mov_b32 s2, exec_lo
	s_delay_alu instid0(VALU_DEP_2) | instskip(NEXT) | instid1(VALU_DEP_2)
	v_lshlrev_b32_e32 v32, 1, v1
	v_lshrrev_b32_e32 v33, 4, v0
	s_delay_alu instid0(VALU_DEP_1) | instskip(SKIP_1) | instid1(VALU_DEP_1)
	v_add3_u32 v28, s18, v32, v33
	s_waitcnt lgkmcnt(0)
	v_cmpx_gt_i32_e64 s16, v28
	s_cbranch_execz .LBB305_24
; %bb.1:
	s_clause 0x1
	s_load_b128 s[4:7], s[0:1], 0x0
	s_load_b64 s[12:13], s[0:1], 0x10
	s_waitcnt lgkmcnt(0)
	s_cmp_eq_u64 s[6:7], 0
	s_cbranch_scc1 .LBB305_3
; %bb.2:
	v_ashrrev_i32_e32 v2, 31, v28
	v_add_co_u32 v1, vcc_lo, s6, v28
	s_delay_alu instid0(VALU_DEP_2) | instskip(SKIP_3) | instid1(VALU_DEP_1)
	v_add_co_ci_u32_e32 v2, vcc_lo, s7, v2, vcc_lo
	global_load_u8 v1, v[1:2], off
	s_waitcnt vmcnt(0)
	v_and_b32_e32 v1, 1, v1
	v_cmp_eq_u32_e32 vcc_lo, 1, v1
	s_xor_b32 s2, vcc_lo, -1
	s_delay_alu instid0(SALU_CYCLE_1)
	s_or_not1_b32 s17, s2, exec_lo
	s_branch .LBB305_4
.LBB305_3:
	s_mov_b32 s17, -1
.LBB305_4:
	s_load_b64 s[14:15], s[0:1], 0x40
	v_dual_mov_b32 v30, 0 :: v_dual_and_b32 v29, 15, v0
	s_delay_alu instid0(VALU_DEP_1) | instskip(SKIP_2) | instid1(VALU_DEP_1)
	v_lshlrev_b32_e32 v31, 5, v29
	s_waitcnt lgkmcnt(0)
	v_mul_lo_u32 v1, v28, s15
	v_ashrrev_i32_e32 v2, 31, v1
	s_delay_alu instid0(VALU_DEP_1) | instskip(SKIP_1) | instid1(VALU_DEP_2)
	v_lshlrev_b64 v[0:1], 1, v[1:2]
	v_lshlrev_b32_e32 v2, 6, v29
	v_add_co_u32 v0, vcc_lo, s4, v0
	s_delay_alu instid0(VALU_DEP_3) | instskip(SKIP_1) | instid1(VALU_DEP_2)
	v_add_co_ci_u32_e32 v1, vcc_lo, s5, v1, vcc_lo
	s_load_b128 s[4:7], s[0:1], 0x30
	v_add_co_u32 v14, vcc_lo, v0, v2
	s_delay_alu instid0(VALU_DEP_2)
	v_add_co_ci_u32_e32 v15, vcc_lo, 0, v1, vcc_lo
	v_cmp_gt_u32_e32 vcc_lo, 4, v29
	s_clause 0x3
	global_load_b128 v[2:5], v[14:15], off
	global_load_b128 v[6:9], v[14:15], off offset:16
	global_load_b128 v[10:13], v[14:15], off offset:32
	;; [unrolled: 1-line block ×3, first 2 shown]
	s_waitcnt vmcnt(3)
	v_and_b32_e32 v18, 0xffff, v2
	v_lshrrev_b32_e32 v2, 16, v2
	v_and_b32_e32 v19, 0xffff, v3
	v_lshrrev_b32_e32 v3, 16, v3
	;; [unrolled: 2-line block ×4, first 2 shown]
	s_waitcnt vmcnt(2)
	v_and_b32_e32 v34, 0xffff, v6
	v_lshrrev_b32_e32 v6, 16, v6
	v_and_b32_e32 v35, 0xffff, v7
	v_lshrrev_b32_e32 v7, 16, v7
	;; [unrolled: 2-line block ×4, first 2 shown]
	s_waitcnt vmcnt(1)
	v_and_b32_e32 v9, 0xffff, v10
	v_lshrrev_b32_e32 v10, 16, v10
	v_and_b32_e32 v38, 0xffff, v11
	v_lshrrev_b32_e32 v11, 16, v11
	;; [unrolled: 2-line block ×3, first 2 shown]
	v_and_b32_e32 v41, 0xffff, v13
	s_waitcnt vmcnt(0)
	v_and_b32_e32 v46, 0xffff, v15
	v_lshrrev_b32_e32 v15, 16, v15
	v_and_b32_e32 v47, 0xffff, v16
	v_lshrrev_b32_e32 v48, 16, v16
	;; [unrolled: 2-line block ×4, first 2 shown]
	v_lshrrev_b32_e32 v43, 16, v13
	v_cvt_f32_u32_e32 v24, v18
	v_cvt_f32_u32_e32 v25, v2
	;; [unrolled: 1-line block ×32, first 2 shown]
	s_clause 0x7
	scratch_store_b128 off, v[38:41], off offset:112
	scratch_store_b128 off, v[34:37], off offset:96
	;; [unrolled: 1-line block ×7, first 2 shown]
	scratch_store_b128 off, v[24:27], off
	s_and_saveexec_b32 s2, vcc_lo
	s_cbranch_execz .LBB305_6
; %bb.5:
	v_lshlrev_b32_e32 v2, 1, v29
	s_delay_alu instid0(VALU_DEP_1) | instskip(SKIP_4) | instid1(VALU_DEP_1)
	v_add_co_u32 v0, vcc_lo, v0, v2
	v_add_co_ci_u32_e32 v1, vcc_lo, 0, v1, vcc_lo
	global_load_u16 v0, v[0:1], off offset:1024
	s_waitcnt vmcnt(0)
	v_cvt_f32_u32_e32 v0, v0
	v_mul_f32_e32 v1, 0xbfb8aa3b, v0
	v_cmp_nlt_f32_e32 vcc_lo, 0x42ce8ed0, v0
	s_delay_alu instid0(VALU_DEP_2) | instskip(SKIP_1) | instid1(VALU_DEP_1)
	v_fma_f32 v2, 0xbfb8aa3b, v0, -v1
	v_rndne_f32_e32 v3, v1
	v_dual_fmamk_f32 v2, v0, 0xb2a5705f, v2 :: v_dual_sub_f32 v1, v1, v3
	s_delay_alu instid0(VALU_DEP_1) | instskip(SKIP_1) | instid1(VALU_DEP_2)
	v_add_f32_e32 v1, v1, v2
	v_cvt_i32_f32_e32 v2, v3
	v_exp_f32_e32 v1, v1
	s_waitcnt_depctr 0xfff
	v_ldexp_f32 v1, v1, v2
	s_delay_alu instid0(VALU_DEP_1) | instskip(SKIP_1) | instid1(VALU_DEP_2)
	v_cndmask_b32_e32 v1, 0, v1, vcc_lo
	v_cmp_ngt_f32_e32 vcc_lo, 0xc2b17218, v0
	v_cndmask_b32_e32 v0, 0x7f800000, v1, vcc_lo
	s_delay_alu instid0(VALU_DEP_1) | instskip(NEXT) | instid1(VALU_DEP_1)
	v_add_f32_e32 v2, 1.0, v0
	v_div_scale_f32 v1, null, v2, v2, 1.0
	v_div_scale_f32 v5, vcc_lo, 1.0, v2, 1.0
	s_delay_alu instid0(VALU_DEP_2) | instskip(SKIP_2) | instid1(VALU_DEP_1)
	v_rcp_f32_e32 v3, v1
	s_waitcnt_depctr 0xfff
	v_fma_f32 v0, -v1, v3, 1.0
	v_fmac_f32_e32 v3, v0, v3
	s_waitcnt lgkmcnt(0)
	v_mul_lo_u32 v0, v28, s7
	s_delay_alu instid0(VALU_DEP_2) | instskip(NEXT) | instid1(VALU_DEP_2)
	v_mul_f32_e32 v6, v5, v3
	v_add3_u32 v0, v0, s4, v29
	s_delay_alu instid0(VALU_DEP_2) | instskip(NEXT) | instid1(VALU_DEP_1)
	v_fma_f32 v7, -v1, v6, v5
	v_fmac_f32_e32 v6, v7, v3
	s_delay_alu instid0(VALU_DEP_1) | instskip(NEXT) | instid1(VALU_DEP_4)
	v_fma_f32 v5, -v1, v6, v5
	v_ashrrev_i32_e32 v1, 31, v0
	s_delay_alu instid0(VALU_DEP_2) | instskip(NEXT) | instid1(VALU_DEP_2)
	v_div_fmas_f32 v3, v5, v3, v6
	v_lshlrev_b64 v[0:1], 2, v[0:1]
	s_delay_alu instid0(VALU_DEP_2) | instskip(NEXT) | instid1(VALU_DEP_2)
	v_div_fixup_f32 v2, v3, v2, 1.0
	v_add_co_u32 v0, vcc_lo, s12, v0
	s_delay_alu instid0(VALU_DEP_3)
	v_add_co_ci_u32_e32 v1, vcc_lo, s13, v1, vcc_lo
	global_store_b32 v[0:1], v2, off
.LBB305_6:
	s_or_b32 exec_lo, exec_lo, s2
	s_clause 0x2
	scratch_load_b128 v[0:3], off, off offset:84
	scratch_load_b128 v[39:42], off, off offset:100
	scratch_load_b96 v[5:7], off, off offset:116
	v_cmp_lt_f32_e32 vcc_lo, v24, v25
	v_or_b32_e32 v34, 1, v31
	v_or_b32_e32 v37, 24, v31
	;; [unrolled: 1-line block ×4, first 2 shown]
	v_cndmask_b32_e32 v25, v24, v25, vcc_lo
	v_cndmask_b32_e32 v35, v31, v34, vcc_lo
	v_or_b32_e32 v24, 2, v31
	v_or_b32_e32 v44, 31, v31
	s_delay_alu instid0(VALU_DEP_4) | instskip(NEXT) | instid1(VALU_DEP_3)
	v_cmp_lt_f32_e32 vcc_lo, v25, v26
	v_dual_cndmask_b32 v35, v35, v24 :: v_dual_cndmask_b32 v26, v25, v26
	v_or_b32_e32 v25, 3, v31
	s_delay_alu instid0(VALU_DEP_2) | instskip(SKIP_1) | instid1(VALU_DEP_3)
	v_cmp_lt_f32_e32 vcc_lo, v26, v27
	v_cndmask_b32_e32 v27, v26, v27, vcc_lo
	v_cndmask_b32_e32 v35, v35, v25, vcc_lo
	v_or_b32_e32 v26, 4, v31
	s_delay_alu instid0(VALU_DEP_3) | instskip(SKIP_1) | instid1(VALU_DEP_3)
	v_cmp_lt_f32_e32 vcc_lo, v27, v20
	v_cndmask_b32_e32 v27, v27, v20, vcc_lo
	v_cndmask_b32_e32 v35, v35, v26, vcc_lo
	v_or_b32_e32 v20, 5, v31
	s_delay_alu instid0(VALU_DEP_3) | instskip(SKIP_1) | instid1(VALU_DEP_3)
	;; [unrolled: 5-line block ×17, first 2 shown]
	v_cmp_lt_f32_e32 vcc_lo, v27, v4
	v_cndmask_b32_e32 v4, v27, v4, vcc_lo
	v_cndmask_b32_e32 v35, v35, v11, vcc_lo
	v_or_b32_e32 v27, 21, v31
	s_waitcnt vmcnt(2)
	s_delay_alu instid0(VALU_DEP_3) | instskip(SKIP_1) | instid1(VALU_DEP_3)
	v_cmp_lt_f32_e32 vcc_lo, v4, v0
	v_cndmask_b32_e32 v0, v4, v0, vcc_lo
	v_cndmask_b32_e32 v36, v35, v27, vcc_lo
	v_or_b32_e32 v35, 22, v31
	s_delay_alu instid0(VALU_DEP_3) | instskip(SKIP_1) | instid1(VALU_DEP_3)
	v_cmp_lt_f32_e32 vcc_lo, v0, v1
	v_cndmask_b32_e32 v0, v0, v1, vcc_lo
	v_cndmask_b32_e32 v4, v36, v35, vcc_lo
	v_or_b32_e32 v36, 23, v31
	s_delay_alu instid0(VALU_DEP_3) | instskip(SKIP_1) | instid1(VALU_DEP_3)
	v_cmp_lt_f32_e32 vcc_lo, v0, v2
	v_cndmask_b32_e32 v0, v0, v2, vcc_lo
	v_cndmask_b32_e32 v1, v4, v36, vcc_lo
	s_delay_alu instid0(VALU_DEP_2) | instskip(NEXT) | instid1(VALU_DEP_2)
	v_cmp_lt_f32_e32 vcc_lo, v0, v3
	v_dual_cndmask_b32 v1, v1, v37 :: v_dual_cndmask_b32 v0, v0, v3
	s_waitcnt vmcnt(1)
	s_delay_alu instid0(VALU_DEP_1) | instskip(NEXT) | instid1(VALU_DEP_2)
	v_cmp_lt_f32_e32 vcc_lo, v0, v39
	v_dual_cndmask_b32 v0, v0, v39 :: v_dual_cndmask_b32 v1, v1, v38
	v_or_b32_e32 v39, 26, v31
	s_delay_alu instid0(VALU_DEP_2) | instskip(NEXT) | instid1(VALU_DEP_2)
	v_cmp_lt_f32_e32 vcc_lo, v0, v40
	v_dual_cndmask_b32 v0, v0, v40 :: v_dual_cndmask_b32 v1, v1, v39
	v_or_b32_e32 v40, 27, v31
	s_delay_alu instid0(VALU_DEP_2) | instskip(NEXT) | instid1(VALU_DEP_2)
	;; [unrolled: 4-line block ×3, first 2 shown]
	v_cmp_lt_f32_e32 vcc_lo, v0, v42
	v_dual_cndmask_b32 v0, v0, v42 :: v_dual_cndmask_b32 v1, v1, v41
	v_or_b32_e32 v42, 29, v31
	s_waitcnt vmcnt(0)
	s_delay_alu instid0(VALU_DEP_2) | instskip(NEXT) | instid1(VALU_DEP_2)
	v_cmp_lt_f32_e32 vcc_lo, v0, v5
	v_dual_cndmask_b32 v0, v0, v5 :: v_dual_cndmask_b32 v1, v1, v42
	s_delay_alu instid0(VALU_DEP_1) | instskip(NEXT) | instid1(VALU_DEP_2)
	v_cmp_lt_f32_e32 vcc_lo, v0, v6
	v_dual_cndmask_b32 v0, v0, v6 :: v_dual_cndmask_b32 v1, v1, v43
	s_delay_alu instid0(VALU_DEP_1) | instskip(NEXT) | instid1(VALU_DEP_2)
	;; [unrolled: 3-line block ×3, first 2 shown]
	v_mov_b32_dpp v4, v1 quad_perm:[1,0,3,2] row_mask:0xf bank_mask:0xf
	v_mov_b32_dpp v5, v0 quad_perm:[1,0,3,2] row_mask:0xf bank_mask:0xf
	s_delay_alu instid0(VALU_DEP_2) | instskip(NEXT) | instid1(VALU_DEP_2)
	v_cmp_lt_i32_e32 vcc_lo, v4, v1
	v_cmp_eq_f32_e64 s2, v0, v5
	v_cmp_lt_f32_e64 s3, v0, v5
	s_delay_alu instid0(VALU_DEP_2)
	s_and_b32 s2, s2, vcc_lo
	s_delay_alu instid0(VALU_DEP_1) | instid1(SALU_CYCLE_1)
	s_or_b32 vcc_lo, s3, s2
	v_dual_cndmask_b32 v0, v0, v5 :: v_dual_cndmask_b32 v1, v1, v4
	s_delay_alu instid0(VALU_DEP_1) | instskip(NEXT) | instid1(VALU_DEP_2)
	v_mov_b32_dpp v4, v0 quad_perm:[2,3,0,1] row_mask:0xf bank_mask:0xf
	v_mov_b32_dpp v5, v1 quad_perm:[2,3,0,1] row_mask:0xf bank_mask:0xf
	s_delay_alu instid0(VALU_DEP_2) | instskip(NEXT) | instid1(VALU_DEP_2)
	v_cmp_eq_f32_e32 vcc_lo, v0, v4
	v_cmp_lt_i32_e64 s2, v5, v1
	v_cmp_lt_f32_e64 s3, v0, v4
	s_delay_alu instid0(VALU_DEP_2)
	s_and_b32 s2, vcc_lo, s2
	s_delay_alu instid0(VALU_DEP_1) | instid1(SALU_CYCLE_1)
	s_or_b32 vcc_lo, s3, s2
	v_dual_cndmask_b32 v0, v0, v4 :: v_dual_cndmask_b32 v1, v1, v5
	s_delay_alu instid0(VALU_DEP_1) | instskip(NEXT) | instid1(VALU_DEP_2)
	v_mov_b32_dpp v4, v0 row_half_mirror row_mask:0xf bank_mask:0xf
	v_mov_b32_dpp v5, v1 row_half_mirror row_mask:0xf bank_mask:0xf
	s_delay_alu instid0(VALU_DEP_2) | instskip(NEXT) | instid1(VALU_DEP_2)
	v_cmp_eq_f32_e32 vcc_lo, v0, v4
	v_cmp_lt_i32_e64 s2, v5, v1
	v_cmp_lt_f32_e64 s3, v0, v4
	s_delay_alu instid0(VALU_DEP_2)
	s_and_b32 s2, vcc_lo, s2
	s_delay_alu instid0(VALU_DEP_1) | instid1(SALU_CYCLE_1)
	s_or_b32 vcc_lo, s3, s2
	v_cndmask_b32_e32 v6, v0, v4, vcc_lo
	v_cndmask_b32_e32 v0, v1, v5, vcc_lo
	s_delay_alu instid0(VALU_DEP_2) | instskip(NEXT) | instid1(VALU_DEP_2)
	v_mov_b32_dpp v1, v6 row_mirror row_mask:0xf bank_mask:0xf
	v_mov_b32_dpp v4, v0 row_mirror row_mask:0xf bank_mask:0xf
	s_delay_alu instid0(VALU_DEP_2) | instskip(NEXT) | instid1(VALU_DEP_2)
	v_cmp_eq_f32_e32 vcc_lo, v6, v1
	v_cmp_lt_i32_e64 s2, v4, v0
	v_cmp_lt_f32_e64 s3, v6, v1
	s_delay_alu instid0(VALU_DEP_2) | instskip(SKIP_1) | instid1(VALU_DEP_2)
	s_and_b32 s2, vcc_lo, s2
	v_cmp_eq_u32_e32 vcc_lo, 0, v29
	s_or_b32 s2, s3, s2
	s_waitcnt lgkmcnt(0)
	s_cmp_gt_i32 s4, 0
	v_cndmask_b32_e64 v7, v6, v1, s2
	s_cselect_b32 s3, -1, 0
	s_cmp_lt_i32 s4, 1
	s_cbranch_scc1 .LBB305_19
; %bb.7:
	s_load_b128 s[8:11], s[0:1], 0x20
	v_mul_lo_u32 v1, v28, s7
	v_mul_lo_u32 v3, v28, s14
	;; [unrolled: 1-line block ×3, first 2 shown]
	v_cndmask_b32_e64 v0, v0, v4, s2
	v_mov_b32_e32 v30, 0
	s_and_saveexec_b32 s2, vcc_lo
	s_cbranch_execz .LBB305_9
; %bb.8:
	v_sub_f32_e32 v30, v7, v7
	v_cmp_le_i32_e64 s0, s5, v0
	v_cmp_gt_i32_e64 s1, s6, v0
	v_subrev_nc_u32_e32 v51, s5, v0
	v_ashrrev_i32_e32 v6, 31, v5
	v_mul_f32_e32 v2, 0x3fb8aa3b, v30
	s_delay_alu instid0(VALU_DEP_4) | instskip(NEXT) | instid1(SALU_CYCLE_1)
	s_and_b32 s0, s0, s1
	s_and_b32 s0, s17, s0
	s_delay_alu instid0(VALU_DEP_1) | instskip(SKIP_2) | instid1(VALU_DEP_3)
	v_rndne_f32_e32 v47, v2
	v_fma_f32 v4, 0x3fb8aa3b, v30, -v2
	v_lshlrev_b64 v[49:50], 2, v[5:6]
	v_sub_f32_e32 v2, v2, v47
	s_delay_alu instid0(VALU_DEP_3) | instskip(NEXT) | instid1(VALU_DEP_1)
	v_fmamk_f32 v4, v30, 0x32a5705f, v4
	v_add_f32_e32 v4, v2, v4
	v_ashrrev_i32_e32 v2, 31, v1
	s_delay_alu instid0(VALU_DEP_2) | instskip(NEXT) | instid1(VALU_DEP_1)
	v_exp_f32_e32 v52, v4
	v_lshlrev_b64 v[45:46], 2, v[1:2]
	v_ashrrev_i32_e32 v4, 31, v3
	v_cvt_i32_f32_e32 v2, v47
	s_delay_alu instid0(VALU_DEP_2) | instskip(SKIP_2) | instid1(VALU_DEP_1)
	v_lshlrev_b64 v[47:48], 2, v[3:4]
	v_cndmask_b32_e64 v4, 0x200, v51, s0
	v_add_co_u32 v45, s0, s12, v45
	v_add_co_ci_u32_e64 v46, s0, s13, v46, s0
	s_delay_alu instid0(TRANS32_DEP_1) | instskip(SKIP_1) | instid1(VALU_DEP_1)
	v_ldexp_f32 v2, v52, v2
	v_cmp_ngt_f32_e64 s0, 0xc2ce8ed0, v30
	v_cndmask_b32_e64 v2, 0, v2, s0
	s_waitcnt lgkmcnt(0)
	v_add_co_u32 v47, s0, s8, v47
	s_delay_alu instid0(VALU_DEP_1) | instskip(SKIP_1) | instid1(VALU_DEP_1)
	v_add_co_ci_u32_e64 v48, s0, s9, v48, s0
	v_cmp_nlt_f32_e64 s0, 0x42b17218, v30
	v_cndmask_b32_e64 v30, 0x7f800000, v2, s0
	v_add_co_u32 v49, s0, s10, v49
	s_delay_alu instid0(VALU_DEP_1)
	v_add_co_ci_u32_e64 v50, s0, s11, v50, s0
	global_store_b32 v[47:48], v4, off
	global_store_b32 v[45:46], v30, off
	;; [unrolled: 1-line block ×3, first 2 shown]
.LBB305_9:
	s_or_b32 exec_lo, exec_lo, s2
	v_ashrrev_i32_e32 v4, 31, v0
	s_mov_b32 s1, exec_lo
	s_delay_alu instid0(VALU_DEP_1) | instskip(NEXT) | instid1(VALU_DEP_1)
	v_lshrrev_b32_e32 v2, 27, v4
	v_add_nc_u32_e32 v2, v0, v2
	s_delay_alu instid0(VALU_DEP_1) | instskip(NEXT) | instid1(VALU_DEP_1)
	v_ashrrev_i32_e32 v2, 5, v2
	v_lshrrev_b32_e32 v6, 28, v2
	s_delay_alu instid0(VALU_DEP_1) | instskip(NEXT) | instid1(VALU_DEP_1)
	v_add_nc_u32_e32 v6, v2, v6
	v_and_b32_e32 v6, -16, v6
	s_delay_alu instid0(VALU_DEP_1) | instskip(NEXT) | instid1(VALU_DEP_1)
	v_sub_nc_u32_e32 v6, v2, v6
	v_cmpx_eq_u32_e64 v29, v6
	s_cbranch_execz .LBB305_11
; %bb.10:
	v_lshrrev_b32_e32 v4, 23, v4
	v_lshlrev_b32_e32 v2, 5, v2
	s_delay_alu instid0(VALU_DEP_2) | instskip(NEXT) | instid1(VALU_DEP_2)
	v_add_nc_u32_e32 v4, v0, v4
	v_sub_nc_u32_e32 v0, v0, v2
	s_delay_alu instid0(VALU_DEP_2) | instskip(NEXT) | instid1(VALU_DEP_1)
	v_ashrrev_i32_e32 v2, 9, v4
	v_lshl_add_u32 v0, v2, 5, v0
	v_mov_b32_e32 v2, 0xff800000
	s_delay_alu instid0(VALU_DEP_2)
	v_lshl_add_u32 v0, v0, 2, 0
	scratch_store_b32 v0, v2, off
.LBB305_11:
	s_or_b32 exec_lo, exec_lo, s1
	s_cmp_eq_u32 s4, 1
	s_cbranch_scc1 .LBB305_18
; %bb.12:
	s_add_i32 s18, s18, s16
	v_add_nc_u32_e32 v0, 1, v5
	v_add3_u32 v6, s18, v33, v32
	v_add_nc_u32_e32 v2, 1, v3
	v_add_nc_u32_e32 v4, 1, v1
	v_mov_b32_e32 v32, 0xff800000
	s_add_i32 s14, s4, -1
	s_branch .LBB305_14
.LBB305_13:                             ;   in Loop: Header=BB305_14 Depth=1
	s_or_b32 exec_lo, exec_lo, s1
	v_add_nc_u32_e32 v6, s16, v6
	v_add_nc_u32_e32 v0, 1, v0
	v_add_nc_u32_e32 v2, 1, v2
	v_add_nc_u32_e32 v4, 1, v4
	s_add_i32 s14, s14, -1
	s_delay_alu instid0(SALU_CYCLE_1)
	s_cmp_eq_u32 s14, 0
	s_cbranch_scc1 .LBB305_18
.LBB305_14:                             ; =>This Inner Loop Header: Depth=1
	s_clause 0x7
	scratch_load_b128 v[45:48], off, off
	scratch_load_b128 v[49:52], off, off offset:16
	scratch_load_b128 v[53:56], off, off offset:32
	scratch_load_b128 v[57:60], off, off offset:48
	scratch_load_b128 v[61:64], off, off offset:64
	scratch_load_b128 v[65:68], off, off offset:80
	scratch_load_b128 v[69:72], off, off offset:96
	scratch_load_b128 v[73:76], off, off offset:112
	s_waitcnt vmcnt(7)
	v_cmp_gt_f32_e64 s0, v46, v45
	s_delay_alu instid0(VALU_DEP_1) | instskip(SKIP_1) | instid1(VALU_DEP_2)
	v_cndmask_b32_e64 v3, v45, v46, s0
	v_cndmask_b32_e64 v1, v31, v34, s0
	v_cmp_gt_f32_e64 s0, v47, v3
	s_delay_alu instid0(VALU_DEP_1) | instskip(NEXT) | instid1(VALU_DEP_3)
	v_cndmask_b32_e64 v3, v3, v47, s0
	v_cndmask_b32_e64 v1, v1, v24, s0
	s_delay_alu instid0(VALU_DEP_2) | instskip(NEXT) | instid1(VALU_DEP_1)
	v_cmp_gt_f32_e64 s0, v48, v3
	v_cndmask_b32_e64 v3, v3, v48, s0
	s_delay_alu instid0(VALU_DEP_3) | instskip(SKIP_1) | instid1(VALU_DEP_2)
	v_cndmask_b32_e64 v1, v1, v25, s0
	s_waitcnt vmcnt(6)
	v_cmp_gt_f32_e64 s0, v49, v3
	s_delay_alu instid0(VALU_DEP_1) | instskip(NEXT) | instid1(VALU_DEP_3)
	v_cndmask_b32_e64 v3, v3, v49, s0
	v_cndmask_b32_e64 v1, v1, v26, s0
	s_delay_alu instid0(VALU_DEP_2) | instskip(NEXT) | instid1(VALU_DEP_1)
	v_cmp_gt_f32_e64 s0, v50, v3
	v_cndmask_b32_e64 v3, v3, v50, s0
	s_delay_alu instid0(VALU_DEP_3) | instskip(NEXT) | instid1(VALU_DEP_2)
	v_cndmask_b32_e64 v1, v1, v20, s0
	v_cmp_gt_f32_e64 s0, v51, v3
	s_delay_alu instid0(VALU_DEP_1) | instskip(NEXT) | instid1(VALU_DEP_3)
	v_cndmask_b32_e64 v3, v3, v51, s0
	v_cndmask_b32_e64 v1, v1, v21, s0
	s_delay_alu instid0(VALU_DEP_2) | instskip(NEXT) | instid1(VALU_DEP_1)
	v_cmp_gt_f32_e64 s0, v52, v3
	v_cndmask_b32_e64 v3, v3, v52, s0
	s_delay_alu instid0(VALU_DEP_3) | instskip(SKIP_1) | instid1(VALU_DEP_2)
	v_cndmask_b32_e64 v1, v1, v22, s0
	s_waitcnt vmcnt(5)
	v_cmp_gt_f32_e64 s0, v53, v3
	s_delay_alu instid0(VALU_DEP_1) | instskip(NEXT) | instid1(VALU_DEP_3)
	v_cndmask_b32_e64 v3, v3, v53, s0
	v_cndmask_b32_e64 v1, v1, v23, s0
	s_delay_alu instid0(VALU_DEP_2) | instskip(NEXT) | instid1(VALU_DEP_1)
	v_cmp_gt_f32_e64 s0, v54, v3
	v_cndmask_b32_e64 v3, v3, v54, s0
	s_delay_alu instid0(VALU_DEP_3) | instskip(NEXT) | instid1(VALU_DEP_2)
	v_cndmask_b32_e64 v1, v1, v16, s0
	v_cmp_gt_f32_e64 s0, v55, v3
	s_delay_alu instid0(VALU_DEP_1) | instskip(NEXT) | instid1(VALU_DEP_3)
	v_cndmask_b32_e64 v3, v3, v55, s0
	v_cndmask_b32_e64 v1, v1, v17, s0
	s_delay_alu instid0(VALU_DEP_2) | instskip(NEXT) | instid1(VALU_DEP_1)
	v_cmp_gt_f32_e64 s0, v56, v3
	v_cndmask_b32_e64 v3, v3, v56, s0
	s_delay_alu instid0(VALU_DEP_3) | instskip(SKIP_1) | instid1(VALU_DEP_2)
	v_cndmask_b32_e64 v1, v1, v18, s0
	s_waitcnt vmcnt(4)
	v_cmp_gt_f32_e64 s0, v57, v3
	s_delay_alu instid0(VALU_DEP_1) | instskip(NEXT) | instid1(VALU_DEP_3)
	v_cndmask_b32_e64 v3, v3, v57, s0
	v_cndmask_b32_e64 v1, v1, v19, s0
	s_delay_alu instid0(VALU_DEP_2) | instskip(NEXT) | instid1(VALU_DEP_1)
	v_cmp_gt_f32_e64 s0, v58, v3
	v_cndmask_b32_e64 v3, v3, v58, s0
	s_delay_alu instid0(VALU_DEP_3) | instskip(NEXT) | instid1(VALU_DEP_2)
	v_cndmask_b32_e64 v1, v1, v12, s0
	v_cmp_gt_f32_e64 s0, v59, v3
	s_delay_alu instid0(VALU_DEP_1) | instskip(NEXT) | instid1(VALU_DEP_3)
	v_cndmask_b32_e64 v3, v3, v59, s0
	v_cndmask_b32_e64 v1, v1, v13, s0
	s_delay_alu instid0(VALU_DEP_2) | instskip(NEXT) | instid1(VALU_DEP_1)
	v_cmp_gt_f32_e64 s0, v60, v3
	v_cndmask_b32_e64 v3, v3, v60, s0
	s_delay_alu instid0(VALU_DEP_3) | instskip(SKIP_1) | instid1(VALU_DEP_2)
	v_cndmask_b32_e64 v1, v1, v14, s0
	s_waitcnt vmcnt(3)
	v_cmp_gt_f32_e64 s0, v61, v3
	s_delay_alu instid0(VALU_DEP_1) | instskip(NEXT) | instid1(VALU_DEP_3)
	v_cndmask_b32_e64 v3, v3, v61, s0
	v_cndmask_b32_e64 v1, v1, v15, s0
	s_delay_alu instid0(VALU_DEP_2) | instskip(NEXT) | instid1(VALU_DEP_1)
	v_cmp_gt_f32_e64 s0, v62, v3
	v_cndmask_b32_e64 v3, v3, v62, s0
	s_delay_alu instid0(VALU_DEP_3) | instskip(NEXT) | instid1(VALU_DEP_2)
	v_cndmask_b32_e64 v1, v1, v8, s0
	v_cmp_gt_f32_e64 s0, v63, v3
	s_delay_alu instid0(VALU_DEP_1) | instskip(NEXT) | instid1(VALU_DEP_3)
	v_cndmask_b32_e64 v3, v3, v63, s0
	v_cndmask_b32_e64 v1, v1, v9, s0
	s_delay_alu instid0(VALU_DEP_2) | instskip(NEXT) | instid1(VALU_DEP_1)
	v_cmp_gt_f32_e64 s0, v64, v3
	v_cndmask_b32_e64 v3, v3, v64, s0
	s_delay_alu instid0(VALU_DEP_3) | instskip(SKIP_1) | instid1(VALU_DEP_2)
	v_cndmask_b32_e64 v1, v1, v10, s0
	s_waitcnt vmcnt(2)
	v_cmp_gt_f32_e64 s0, v65, v3
	s_delay_alu instid0(VALU_DEP_1) | instskip(NEXT) | instid1(VALU_DEP_3)
	v_cndmask_b32_e64 v3, v3, v65, s0
	v_cndmask_b32_e64 v1, v1, v11, s0
	s_delay_alu instid0(VALU_DEP_2) | instskip(NEXT) | instid1(VALU_DEP_1)
	v_cmp_gt_f32_e64 s0, v66, v3
	v_cndmask_b32_e64 v3, v3, v66, s0
	s_delay_alu instid0(VALU_DEP_3) | instskip(NEXT) | instid1(VALU_DEP_2)
	v_cndmask_b32_e64 v1, v1, v27, s0
	v_cmp_gt_f32_e64 s0, v67, v3
	s_delay_alu instid0(VALU_DEP_1) | instskip(NEXT) | instid1(VALU_DEP_3)
	v_cndmask_b32_e64 v3, v3, v67, s0
	v_cndmask_b32_e64 v1, v1, v35, s0
	s_delay_alu instid0(VALU_DEP_2) | instskip(NEXT) | instid1(VALU_DEP_1)
	v_cmp_gt_f32_e64 s0, v68, v3
	v_cndmask_b32_e64 v3, v3, v68, s0
	s_delay_alu instid0(VALU_DEP_3) | instskip(SKIP_1) | instid1(VALU_DEP_2)
	v_cndmask_b32_e64 v1, v1, v36, s0
	s_waitcnt vmcnt(1)
	v_cmp_gt_f32_e64 s0, v69, v3
	s_delay_alu instid0(VALU_DEP_1) | instskip(NEXT) | instid1(VALU_DEP_3)
	v_cndmask_b32_e64 v3, v3, v69, s0
	v_cndmask_b32_e64 v1, v1, v37, s0
	s_delay_alu instid0(VALU_DEP_2) | instskip(NEXT) | instid1(VALU_DEP_1)
	v_cmp_gt_f32_e64 s0, v70, v3
	v_cndmask_b32_e64 v3, v3, v70, s0
	s_delay_alu instid0(VALU_DEP_3) | instskip(NEXT) | instid1(VALU_DEP_2)
	v_cndmask_b32_e64 v1, v1, v38, s0
	v_cmp_gt_f32_e64 s0, v71, v3
	s_delay_alu instid0(VALU_DEP_1) | instskip(NEXT) | instid1(VALU_DEP_3)
	v_cndmask_b32_e64 v3, v3, v71, s0
	v_cndmask_b32_e64 v1, v1, v39, s0
	s_delay_alu instid0(VALU_DEP_2) | instskip(NEXT) | instid1(VALU_DEP_1)
	v_cmp_gt_f32_e64 s0, v72, v3
	v_cndmask_b32_e64 v3, v3, v72, s0
	s_delay_alu instid0(VALU_DEP_3) | instskip(SKIP_1) | instid1(VALU_DEP_2)
	v_cndmask_b32_e64 v1, v1, v40, s0
	s_waitcnt vmcnt(0)
	v_cmp_gt_f32_e64 s0, v73, v3
	s_delay_alu instid0(VALU_DEP_1) | instskip(NEXT) | instid1(VALU_DEP_3)
	v_cndmask_b32_e64 v3, v3, v73, s0
	v_cndmask_b32_e64 v1, v1, v41, s0
	s_delay_alu instid0(VALU_DEP_2) | instskip(NEXT) | instid1(VALU_DEP_1)
	v_cmp_gt_f32_e64 s0, v74, v3
	v_cndmask_b32_e64 v3, v3, v74, s0
	s_delay_alu instid0(VALU_DEP_3) | instskip(NEXT) | instid1(VALU_DEP_2)
	v_cndmask_b32_e64 v1, v1, v42, s0
	v_cmp_gt_f32_e64 s0, v75, v3
	s_delay_alu instid0(VALU_DEP_1) | instskip(NEXT) | instid1(VALU_DEP_3)
	v_cndmask_b32_e64 v3, v3, v75, s0
	v_cndmask_b32_e64 v1, v1, v43, s0
	s_delay_alu instid0(VALU_DEP_2) | instskip(NEXT) | instid1(VALU_DEP_1)
	v_cmp_gt_f32_e64 s0, v76, v3
	v_cndmask_b32_e64 v1, v1, v44, s0
	v_cndmask_b32_e64 v3, v3, v76, s0
	s_delay_alu instid0(VALU_DEP_2) | instskip(NEXT) | instid1(VALU_DEP_2)
	v_mov_b32_dpp v5, v1 quad_perm:[1,0,3,2] row_mask:0xf bank_mask:0xf
	v_mov_b32_dpp v33, v3 quad_perm:[1,0,3,2] row_mask:0xf bank_mask:0xf
	s_delay_alu instid0(VALU_DEP_2) | instskip(NEXT) | instid1(VALU_DEP_2)
	v_cmp_lt_i32_e64 s0, v5, v1
	v_cmp_eq_f32_e64 s1, v3, v33
	v_cmp_lt_f32_e64 s2, v3, v33
	s_delay_alu instid0(VALU_DEP_2)
	s_and_b32 s0, s1, s0
	s_delay_alu instid0(VALU_DEP_1) | instid1(SALU_CYCLE_1)
	s_or_b32 s0, s2, s0
	s_delay_alu instid0(SALU_CYCLE_1) | instskip(SKIP_1) | instid1(VALU_DEP_2)
	v_cndmask_b32_e64 v3, v3, v33, s0
	v_cndmask_b32_e64 v1, v1, v5, s0
	v_mov_b32_dpp v5, v3 quad_perm:[2,3,0,1] row_mask:0xf bank_mask:0xf
	s_delay_alu instid0(VALU_DEP_2) | instskip(NEXT) | instid1(VALU_DEP_2)
	v_mov_b32_dpp v33, v1 quad_perm:[2,3,0,1] row_mask:0xf bank_mask:0xf
	v_cmp_eq_f32_e64 s0, v3, v5
	s_delay_alu instid0(VALU_DEP_2) | instskip(SKIP_1) | instid1(VALU_DEP_2)
	v_cmp_lt_i32_e64 s1, v33, v1
	v_cmp_lt_f32_e64 s2, v3, v5
	s_and_b32 s0, s0, s1
	s_delay_alu instid0(VALU_DEP_1) | instid1(SALU_CYCLE_1)
	s_or_b32 s0, s2, s0
	s_delay_alu instid0(SALU_CYCLE_1) | instskip(SKIP_1) | instid1(VALU_DEP_2)
	v_cndmask_b32_e64 v3, v3, v5, s0
	v_cndmask_b32_e64 v5, v1, v33, s0
	v_mov_b32_dpp v1, v3 row_half_mirror row_mask:0xf bank_mask:0xf
	s_delay_alu instid0(VALU_DEP_2) | instskip(NEXT) | instid1(VALU_DEP_2)
	v_mov_b32_dpp v33, v5 row_half_mirror row_mask:0xf bank_mask:0xf
	v_cmp_eq_f32_e64 s0, v3, v1
	s_delay_alu instid0(VALU_DEP_2) | instskip(SKIP_1) | instid1(VALU_DEP_2)
	v_cmp_lt_i32_e64 s1, v33, v5
	v_cmp_lt_f32_e64 s2, v3, v1
	s_and_b32 s0, s0, s1
	s_delay_alu instid0(VALU_DEP_1) | instid1(SALU_CYCLE_1)
	s_or_b32 s0, s2, s0
	s_delay_alu instid0(SALU_CYCLE_1) | instskip(SKIP_1) | instid1(VALU_DEP_2)
	v_cndmask_b32_e64 v1, v3, v1, s0
	v_cndmask_b32_e64 v5, v5, v33, s0
	v_mov_b32_dpp v3, v1 row_mirror row_mask:0xf bank_mask:0xf
	s_delay_alu instid0(VALU_DEP_2) | instskip(NEXT) | instid1(VALU_DEP_2)
	v_mov_b32_dpp v33, v5 row_mirror row_mask:0xf bank_mask:0xf
	v_cmp_eq_f32_e64 s0, v1, v3
	s_delay_alu instid0(VALU_DEP_2) | instskip(SKIP_1) | instid1(VALU_DEP_2)
	v_cmp_lt_i32_e64 s1, v33, v5
	v_cmp_lt_f32_e64 s2, v1, v3
	s_and_b32 s0, s0, s1
	s_delay_alu instid0(VALU_DEP_1) | instid1(SALU_CYCLE_1)
	s_or_b32 s0, s2, s0
	s_delay_alu instid0(SALU_CYCLE_1)
	v_cndmask_b32_e64 v33, v5, v33, s0
	s_and_saveexec_b32 s2, vcc_lo
	s_cbranch_execz .LBB305_16
; %bb.15:                               ;   in Loop: Header=BB305_14 Depth=1
	v_cndmask_b32_e64 v1, v1, v3, s0
	s_delay_alu instid0(VALU_DEP_2) | instskip(SKIP_4) | instid1(VALU_DEP_4)
	v_cmp_le_i32_e64 s0, s5, v33
	v_cmp_gt_i32_e64 s1, s6, v33
	v_ashrrev_i32_e32 v5, 31, v4
	v_subrev_nc_u32_e32 v52, s5, v33
	v_sub_f32_e32 v51, v1, v7
	s_and_b32 s0, s0, s1
	s_delay_alu instid0(SALU_CYCLE_1) | instskip(NEXT) | instid1(VALU_DEP_1)
	s_and_b32 s0, s17, s0
	v_mul_f32_e32 v1, 0x3fb8aa3b, v51
	s_delay_alu instid0(VALU_DEP_1) | instskip(SKIP_1) | instid1(VALU_DEP_2)
	v_fma_f32 v3, 0x3fb8aa3b, v51, -v1
	v_rndne_f32_e32 v45, v1
	v_fmac_f32_e32 v3, 0x32a5705f, v51
	s_delay_alu instid0(VALU_DEP_2) | instskip(SKIP_2) | instid1(VALU_DEP_3)
	v_sub_f32_e32 v1, v1, v45
	v_cvt_i32_f32_e32 v50, v45
	v_lshlrev_b64 v[45:46], 2, v[4:5]
	v_add_f32_e32 v1, v1, v3
	v_ashrrev_i32_e32 v3, 31, v2
	s_delay_alu instid0(VALU_DEP_2) | instskip(SKIP_1) | instid1(VALU_DEP_2)
	v_exp_f32_e32 v49, v1
	v_ashrrev_i32_e32 v1, 31, v0
	v_lshlrev_b64 v[47:48], 2, v[2:3]
	s_waitcnt_depctr 0xfff
	v_ldexp_f32 v3, v49, v50
	v_lshlrev_b64 v[49:50], 2, v[0:1]
	v_cndmask_b32_e64 v1, 0x200, v52, s0
	v_cmp_ngt_f32_e64 s0, 0xc2ce8ed0, v51
	s_delay_alu instid0(VALU_DEP_1) | instskip(SKIP_1) | instid1(VALU_DEP_1)
	v_cndmask_b32_e64 v3, 0, v3, s0
	v_add_co_u32 v45, s0, s12, v45
	v_add_co_ci_u32_e64 v46, s0, s13, v46, s0
	v_cmp_nlt_f32_e64 s0, 0x42b17218, v51
	s_delay_alu instid0(VALU_DEP_1) | instskip(SKIP_2) | instid1(VALU_DEP_1)
	v_cndmask_b32_e64 v3, 0x7f800000, v3, s0
	s_waitcnt lgkmcnt(0)
	v_add_co_u32 v47, s0, s8, v47
	v_add_co_ci_u32_e64 v48, s0, s9, v48, s0
	s_delay_alu instid0(VALU_DEP_3) | instskip(SKIP_1) | instid1(VALU_DEP_1)
	v_add_f32_e32 v30, v30, v3
	v_add_co_u32 v49, s0, s10, v49
	v_add_co_ci_u32_e64 v50, s0, s11, v50, s0
	global_store_b32 v[45:46], v3, off
	global_store_b32 v[47:48], v1, off
	;; [unrolled: 1-line block ×3, first 2 shown]
.LBB305_16:                             ;   in Loop: Header=BB305_14 Depth=1
	s_or_b32 exec_lo, exec_lo, s2
	s_delay_alu instid0(VALU_DEP_1) | instskip(SKIP_1) | instid1(VALU_DEP_1)
	v_ashrrev_i32_e32 v3, 31, v33
	s_mov_b32 s1, exec_lo
	v_lshrrev_b32_e32 v1, 27, v3
	s_delay_alu instid0(VALU_DEP_1) | instskip(NEXT) | instid1(VALU_DEP_1)
	v_add_nc_u32_e32 v1, v33, v1
	v_ashrrev_i32_e32 v1, 5, v1
	s_delay_alu instid0(VALU_DEP_1) | instskip(NEXT) | instid1(VALU_DEP_1)
	v_lshrrev_b32_e32 v5, 28, v1
	v_add_nc_u32_e32 v5, v1, v5
	s_delay_alu instid0(VALU_DEP_1) | instskip(NEXT) | instid1(VALU_DEP_1)
	v_and_b32_e32 v5, -16, v5
	v_sub_nc_u32_e32 v5, v1, v5
	s_delay_alu instid0(VALU_DEP_1)
	v_cmpx_eq_u32_e64 v29, v5
	s_cbranch_execz .LBB305_13
; %bb.17:                               ;   in Loop: Header=BB305_14 Depth=1
	v_lshrrev_b32_e32 v3, 23, v3
	v_lshlrev_b32_e32 v1, 5, v1
	s_delay_alu instid0(VALU_DEP_2) | instskip(NEXT) | instid1(VALU_DEP_2)
	v_add_nc_u32_e32 v3, v33, v3
	v_sub_nc_u32_e32 v1, v33, v1
	s_delay_alu instid0(VALU_DEP_2) | instskip(NEXT) | instid1(VALU_DEP_1)
	v_ashrrev_i32_e32 v3, 9, v3
	v_lshl_add_u32 v1, v3, 5, v1
	s_delay_alu instid0(VALU_DEP_1)
	v_lshl_add_u32 v1, v1, 2, 0
	scratch_store_b32 v1, v32, off
	s_branch .LBB305_13
.LBB305_18:
	scratch_load_b64 v[2:3], off, off offset:92
.LBB305_19:
	scratch_load_b128 v[8:11], off, off
	s_waitcnt vmcnt(0)
	v_sub_f32_e32 v0, v8, v7
	s_delay_alu instid0(VALU_DEP_1) | instskip(NEXT) | instid1(VALU_DEP_1)
	v_mul_f32_e32 v1, 0x3fb8aa3b, v0
	v_fma_f32 v4, 0x3fb8aa3b, v0, -v1
	v_rndne_f32_e32 v5, v1
	s_delay_alu instid0(VALU_DEP_1) | instskip(SKIP_1) | instid1(VALU_DEP_4)
	v_sub_f32_e32 v1, v1, v5
	v_cmp_ngt_f32_e32 vcc_lo, 0xc2ce8ed0, v0
	v_fmac_f32_e32 v4, 0x32a5705f, v0
	s_delay_alu instid0(VALU_DEP_1) | instskip(SKIP_1) | instid1(VALU_DEP_2)
	v_add_f32_e32 v1, v1, v4
	v_cvt_i32_f32_e32 v4, v5
	v_exp_f32_e32 v1, v1
	s_waitcnt_depctr 0xfff
	v_ldexp_f32 v1, v1, v4
	s_delay_alu instid0(VALU_DEP_1) | instskip(SKIP_1) | instid1(VALU_DEP_2)
	v_cndmask_b32_e32 v1, 0, v1, vcc_lo
	v_cmp_nlt_f32_e32 vcc_lo, 0x42b17218, v0
	v_dual_cndmask_b32 v0, 0x7f800000, v1 :: v_dual_sub_f32 v1, v9, v7
	s_delay_alu instid0(VALU_DEP_1) | instskip(SKIP_1) | instid1(VALU_DEP_2)
	v_mul_f32_e32 v4, 0x3fb8aa3b, v1
	v_cmp_ngt_f32_e32 vcc_lo, 0xc2ce8ed0, v1
	v_fma_f32 v5, 0x3fb8aa3b, v1, -v4
	v_rndne_f32_e32 v6, v4
	s_delay_alu instid0(VALU_DEP_1) | instskip(NEXT) | instid1(VALU_DEP_1)
	v_dual_fmac_f32 v5, 0x32a5705f, v1 :: v_dual_sub_f32 v4, v4, v6
	v_add_f32_e32 v4, v4, v5
	v_cvt_i32_f32_e32 v5, v6
	s_delay_alu instid0(VALU_DEP_2) | instskip(SKIP_2) | instid1(VALU_DEP_1)
	v_exp_f32_e32 v4, v4
	s_waitcnt_depctr 0xfff
	v_ldexp_f32 v4, v4, v5
	v_cndmask_b32_e32 v4, 0, v4, vcc_lo
	v_cmp_nlt_f32_e32 vcc_lo, 0x42b17218, v1
	s_delay_alu instid0(VALU_DEP_2) | instskip(NEXT) | instid1(VALU_DEP_1)
	v_cndmask_b32_e32 v1, 0x7f800000, v4, vcc_lo
	v_dual_add_f32 v0, v0, v1 :: v_dual_sub_f32 v1, v10, v7
	s_delay_alu instid0(VALU_DEP_1) | instskip(SKIP_1) | instid1(VALU_DEP_2)
	v_mul_f32_e32 v4, 0x3fb8aa3b, v1
	v_cmp_ngt_f32_e32 vcc_lo, 0xc2ce8ed0, v1
	v_fma_f32 v5, 0x3fb8aa3b, v1, -v4
	v_rndne_f32_e32 v6, v4
	s_delay_alu instid0(VALU_DEP_1) | instskip(NEXT) | instid1(VALU_DEP_1)
	v_dual_fmac_f32 v5, 0x32a5705f, v1 :: v_dual_sub_f32 v4, v4, v6
	v_add_f32_e32 v4, v4, v5
	v_cvt_i32_f32_e32 v5, v6
	s_delay_alu instid0(VALU_DEP_2) | instskip(SKIP_2) | instid1(VALU_DEP_1)
	v_exp_f32_e32 v4, v4
	s_waitcnt_depctr 0xfff
	v_ldexp_f32 v4, v4, v5
	v_cndmask_b32_e32 v4, 0, v4, vcc_lo
	v_cmp_nlt_f32_e32 vcc_lo, 0x42b17218, v1
	s_delay_alu instid0(VALU_DEP_2) | instskip(NEXT) | instid1(VALU_DEP_1)
	v_cndmask_b32_e32 v1, 0x7f800000, v4, vcc_lo
	v_dual_add_f32 v0, v0, v1 :: v_dual_sub_f32 v1, v11, v7
	scratch_load_b128 v[8:11], off, off offset:16
	v_mul_f32_e32 v4, 0x3fb8aa3b, v1
	v_cmp_ngt_f32_e32 vcc_lo, 0xc2ce8ed0, v1
	s_delay_alu instid0(VALU_DEP_2) | instskip(SKIP_1) | instid1(VALU_DEP_1)
	v_fma_f32 v5, 0x3fb8aa3b, v1, -v4
	v_rndne_f32_e32 v6, v4
	v_dual_fmac_f32 v5, 0x32a5705f, v1 :: v_dual_sub_f32 v4, v4, v6
	s_delay_alu instid0(VALU_DEP_1) | instskip(SKIP_1) | instid1(VALU_DEP_2)
	v_add_f32_e32 v4, v4, v5
	v_cvt_i32_f32_e32 v5, v6
	v_exp_f32_e32 v4, v4
	s_waitcnt_depctr 0xfff
	v_ldexp_f32 v4, v4, v5
	s_delay_alu instid0(VALU_DEP_1) | instskip(SKIP_1) | instid1(VALU_DEP_2)
	v_cndmask_b32_e32 v4, 0, v4, vcc_lo
	v_cmp_nlt_f32_e32 vcc_lo, 0x42b17218, v1
	v_cndmask_b32_e32 v1, 0x7f800000, v4, vcc_lo
	s_delay_alu instid0(VALU_DEP_1) | instskip(SKIP_2) | instid1(VALU_DEP_1)
	v_add_f32_e32 v0, v0, v1
	s_waitcnt vmcnt(0)
	v_sub_f32_e32 v1, v8, v7
	v_mul_f32_e32 v4, 0x3fb8aa3b, v1
	v_cmp_ngt_f32_e32 vcc_lo, 0xc2ce8ed0, v1
	s_delay_alu instid0(VALU_DEP_2) | instskip(SKIP_1) | instid1(VALU_DEP_1)
	v_fma_f32 v5, 0x3fb8aa3b, v1, -v4
	v_rndne_f32_e32 v6, v4
	v_dual_fmac_f32 v5, 0x32a5705f, v1 :: v_dual_sub_f32 v4, v4, v6
	s_delay_alu instid0(VALU_DEP_1) | instskip(SKIP_1) | instid1(VALU_DEP_2)
	v_add_f32_e32 v4, v4, v5
	v_cvt_i32_f32_e32 v5, v6
	v_exp_f32_e32 v4, v4
	s_waitcnt_depctr 0xfff
	v_ldexp_f32 v4, v4, v5
	s_delay_alu instid0(VALU_DEP_1) | instskip(SKIP_1) | instid1(VALU_DEP_2)
	v_cndmask_b32_e32 v4, 0, v4, vcc_lo
	v_cmp_nlt_f32_e32 vcc_lo, 0x42b17218, v1
	v_cndmask_b32_e32 v1, 0x7f800000, v4, vcc_lo
	s_delay_alu instid0(VALU_DEP_1) | instskip(NEXT) | instid1(VALU_DEP_1)
	v_dual_add_f32 v0, v0, v1 :: v_dual_sub_f32 v1, v9, v7
	v_mul_f32_e32 v4, 0x3fb8aa3b, v1
	v_cmp_ngt_f32_e32 vcc_lo, 0xc2ce8ed0, v1
	s_delay_alu instid0(VALU_DEP_2) | instskip(SKIP_1) | instid1(VALU_DEP_1)
	v_fma_f32 v5, 0x3fb8aa3b, v1, -v4
	v_rndne_f32_e32 v6, v4
	v_dual_fmac_f32 v5, 0x32a5705f, v1 :: v_dual_sub_f32 v4, v4, v6
	s_delay_alu instid0(VALU_DEP_1) | instskip(SKIP_1) | instid1(VALU_DEP_2)
	v_add_f32_e32 v4, v4, v5
	v_cvt_i32_f32_e32 v5, v6
	v_exp_f32_e32 v4, v4
	s_waitcnt_depctr 0xfff
	v_ldexp_f32 v4, v4, v5
	s_delay_alu instid0(VALU_DEP_1) | instskip(SKIP_1) | instid1(VALU_DEP_2)
	v_cndmask_b32_e32 v4, 0, v4, vcc_lo
	v_cmp_nlt_f32_e32 vcc_lo, 0x42b17218, v1
	v_cndmask_b32_e32 v1, 0x7f800000, v4, vcc_lo
	s_delay_alu instid0(VALU_DEP_1) | instskip(NEXT) | instid1(VALU_DEP_1)
	v_dual_add_f32 v0, v0, v1 :: v_dual_sub_f32 v1, v10, v7
	v_mul_f32_e32 v4, 0x3fb8aa3b, v1
	v_cmp_ngt_f32_e32 vcc_lo, 0xc2ce8ed0, v1
	s_delay_alu instid0(VALU_DEP_2) | instskip(SKIP_1) | instid1(VALU_DEP_1)
	v_fma_f32 v5, 0x3fb8aa3b, v1, -v4
	v_rndne_f32_e32 v6, v4
	v_dual_fmac_f32 v5, 0x32a5705f, v1 :: v_dual_sub_f32 v4, v4, v6
	s_delay_alu instid0(VALU_DEP_1) | instskip(SKIP_1) | instid1(VALU_DEP_2)
	v_add_f32_e32 v4, v4, v5
	v_cvt_i32_f32_e32 v5, v6
	v_exp_f32_e32 v4, v4
	s_waitcnt_depctr 0xfff
	v_ldexp_f32 v4, v4, v5
	s_delay_alu instid0(VALU_DEP_1) | instskip(SKIP_1) | instid1(VALU_DEP_2)
	v_cndmask_b32_e32 v4, 0, v4, vcc_lo
	v_cmp_nlt_f32_e32 vcc_lo, 0x42b17218, v1
	v_cndmask_b32_e32 v1, 0x7f800000, v4, vcc_lo
	s_delay_alu instid0(VALU_DEP_1) | instskip(SKIP_3) | instid1(VALU_DEP_2)
	v_dual_add_f32 v0, v0, v1 :: v_dual_sub_f32 v1, v11, v7
	scratch_load_b128 v[8:11], off, off offset:32
	v_mul_f32_e32 v4, 0x3fb8aa3b, v1
	v_cmp_ngt_f32_e32 vcc_lo, 0xc2ce8ed0, v1
	v_fma_f32 v5, 0x3fb8aa3b, v1, -v4
	v_rndne_f32_e32 v6, v4
	s_delay_alu instid0(VALU_DEP_1) | instskip(NEXT) | instid1(VALU_DEP_1)
	v_dual_fmac_f32 v5, 0x32a5705f, v1 :: v_dual_sub_f32 v4, v4, v6
	v_add_f32_e32 v4, v4, v5
	v_cvt_i32_f32_e32 v5, v6
	s_delay_alu instid0(VALU_DEP_2) | instskip(SKIP_2) | instid1(VALU_DEP_1)
	v_exp_f32_e32 v4, v4
	s_waitcnt_depctr 0xfff
	v_ldexp_f32 v4, v4, v5
	v_cndmask_b32_e32 v4, 0, v4, vcc_lo
	v_cmp_nlt_f32_e32 vcc_lo, 0x42b17218, v1
	s_delay_alu instid0(VALU_DEP_2) | instskip(NEXT) | instid1(VALU_DEP_1)
	v_cndmask_b32_e32 v1, 0x7f800000, v4, vcc_lo
	v_add_f32_e32 v0, v0, v1
	s_waitcnt vmcnt(0)
	v_sub_f32_e32 v1, v8, v7
	s_delay_alu instid0(VALU_DEP_1) | instskip(SKIP_1) | instid1(VALU_DEP_2)
	v_mul_f32_e32 v4, 0x3fb8aa3b, v1
	v_cmp_ngt_f32_e32 vcc_lo, 0xc2ce8ed0, v1
	v_fma_f32 v5, 0x3fb8aa3b, v1, -v4
	v_rndne_f32_e32 v6, v4
	s_delay_alu instid0(VALU_DEP_1) | instskip(NEXT) | instid1(VALU_DEP_1)
	v_dual_fmac_f32 v5, 0x32a5705f, v1 :: v_dual_sub_f32 v4, v4, v6
	v_add_f32_e32 v4, v4, v5
	v_cvt_i32_f32_e32 v5, v6
	s_delay_alu instid0(VALU_DEP_2) | instskip(SKIP_2) | instid1(VALU_DEP_1)
	v_exp_f32_e32 v4, v4
	s_waitcnt_depctr 0xfff
	v_ldexp_f32 v4, v4, v5
	v_cndmask_b32_e32 v4, 0, v4, vcc_lo
	v_cmp_nlt_f32_e32 vcc_lo, 0x42b17218, v1
	s_delay_alu instid0(VALU_DEP_2) | instskip(NEXT) | instid1(VALU_DEP_1)
	v_cndmask_b32_e32 v1, 0x7f800000, v4, vcc_lo
	v_dual_add_f32 v0, v0, v1 :: v_dual_sub_f32 v1, v9, v7
	s_delay_alu instid0(VALU_DEP_1) | instskip(SKIP_1) | instid1(VALU_DEP_2)
	v_mul_f32_e32 v4, 0x3fb8aa3b, v1
	v_cmp_ngt_f32_e32 vcc_lo, 0xc2ce8ed0, v1
	v_fma_f32 v5, 0x3fb8aa3b, v1, -v4
	v_rndne_f32_e32 v6, v4
	s_delay_alu instid0(VALU_DEP_1) | instskip(NEXT) | instid1(VALU_DEP_1)
	v_dual_fmac_f32 v5, 0x32a5705f, v1 :: v_dual_sub_f32 v4, v4, v6
	v_add_f32_e32 v4, v4, v5
	v_cvt_i32_f32_e32 v5, v6
	s_delay_alu instid0(VALU_DEP_2) | instskip(SKIP_2) | instid1(VALU_DEP_1)
	v_exp_f32_e32 v4, v4
	s_waitcnt_depctr 0xfff
	v_ldexp_f32 v4, v4, v5
	v_cndmask_b32_e32 v4, 0, v4, vcc_lo
	v_cmp_nlt_f32_e32 vcc_lo, 0x42b17218, v1
	s_delay_alu instid0(VALU_DEP_2) | instskip(NEXT) | instid1(VALU_DEP_1)
	v_cndmask_b32_e32 v1, 0x7f800000, v4, vcc_lo
	v_dual_add_f32 v0, v0, v1 :: v_dual_sub_f32 v1, v10, v7
	;; [unrolled: 18-line block ×3, first 2 shown]
	scratch_load_b128 v[8:11], off, off offset:48
	v_mul_f32_e32 v4, 0x3fb8aa3b, v1
	v_cmp_ngt_f32_e32 vcc_lo, 0xc2ce8ed0, v1
	s_delay_alu instid0(VALU_DEP_2) | instskip(SKIP_1) | instid1(VALU_DEP_1)
	v_fma_f32 v5, 0x3fb8aa3b, v1, -v4
	v_rndne_f32_e32 v6, v4
	v_dual_fmac_f32 v5, 0x32a5705f, v1 :: v_dual_sub_f32 v4, v4, v6
	s_delay_alu instid0(VALU_DEP_1) | instskip(SKIP_1) | instid1(VALU_DEP_2)
	v_add_f32_e32 v4, v4, v5
	v_cvt_i32_f32_e32 v5, v6
	v_exp_f32_e32 v4, v4
	s_waitcnt_depctr 0xfff
	v_ldexp_f32 v4, v4, v5
	s_delay_alu instid0(VALU_DEP_1) | instskip(SKIP_1) | instid1(VALU_DEP_2)
	v_cndmask_b32_e32 v4, 0, v4, vcc_lo
	v_cmp_nlt_f32_e32 vcc_lo, 0x42b17218, v1
	v_cndmask_b32_e32 v1, 0x7f800000, v4, vcc_lo
	s_delay_alu instid0(VALU_DEP_1) | instskip(SKIP_2) | instid1(VALU_DEP_1)
	v_add_f32_e32 v0, v0, v1
	s_waitcnt vmcnt(0)
	v_sub_f32_e32 v1, v8, v7
	v_mul_f32_e32 v4, 0x3fb8aa3b, v1
	v_cmp_ngt_f32_e32 vcc_lo, 0xc2ce8ed0, v1
	s_delay_alu instid0(VALU_DEP_2) | instskip(SKIP_1) | instid1(VALU_DEP_1)
	v_fma_f32 v5, 0x3fb8aa3b, v1, -v4
	v_rndne_f32_e32 v6, v4
	v_dual_fmac_f32 v5, 0x32a5705f, v1 :: v_dual_sub_f32 v4, v4, v6
	s_delay_alu instid0(VALU_DEP_1) | instskip(SKIP_1) | instid1(VALU_DEP_2)
	v_add_f32_e32 v4, v4, v5
	v_cvt_i32_f32_e32 v5, v6
	v_exp_f32_e32 v4, v4
	s_waitcnt_depctr 0xfff
	v_ldexp_f32 v4, v4, v5
	s_delay_alu instid0(VALU_DEP_1) | instskip(SKIP_1) | instid1(VALU_DEP_2)
	v_cndmask_b32_e32 v4, 0, v4, vcc_lo
	v_cmp_nlt_f32_e32 vcc_lo, 0x42b17218, v1
	v_cndmask_b32_e32 v1, 0x7f800000, v4, vcc_lo
	s_delay_alu instid0(VALU_DEP_1) | instskip(NEXT) | instid1(VALU_DEP_1)
	v_dual_add_f32 v0, v0, v1 :: v_dual_sub_f32 v1, v9, v7
	v_mul_f32_e32 v4, 0x3fb8aa3b, v1
	v_cmp_ngt_f32_e32 vcc_lo, 0xc2ce8ed0, v1
	s_delay_alu instid0(VALU_DEP_2) | instskip(SKIP_1) | instid1(VALU_DEP_1)
	v_fma_f32 v5, 0x3fb8aa3b, v1, -v4
	v_rndne_f32_e32 v6, v4
	v_dual_fmac_f32 v5, 0x32a5705f, v1 :: v_dual_sub_f32 v4, v4, v6
	s_delay_alu instid0(VALU_DEP_1) | instskip(SKIP_1) | instid1(VALU_DEP_2)
	v_add_f32_e32 v4, v4, v5
	v_cvt_i32_f32_e32 v5, v6
	v_exp_f32_e32 v4, v4
	s_waitcnt_depctr 0xfff
	v_ldexp_f32 v4, v4, v5
	s_delay_alu instid0(VALU_DEP_1) | instskip(SKIP_1) | instid1(VALU_DEP_2)
	v_cndmask_b32_e32 v4, 0, v4, vcc_lo
	v_cmp_nlt_f32_e32 vcc_lo, 0x42b17218, v1
	v_cndmask_b32_e32 v1, 0x7f800000, v4, vcc_lo
	s_delay_alu instid0(VALU_DEP_1) | instskip(NEXT) | instid1(VALU_DEP_1)
	v_dual_add_f32 v0, v0, v1 :: v_dual_sub_f32 v1, v10, v7
	v_mul_f32_e32 v4, 0x3fb8aa3b, v1
	v_cmp_ngt_f32_e32 vcc_lo, 0xc2ce8ed0, v1
	s_delay_alu instid0(VALU_DEP_2) | instskip(SKIP_1) | instid1(VALU_DEP_1)
	v_fma_f32 v5, 0x3fb8aa3b, v1, -v4
	v_rndne_f32_e32 v6, v4
	v_dual_fmac_f32 v5, 0x32a5705f, v1 :: v_dual_sub_f32 v4, v4, v6
	s_delay_alu instid0(VALU_DEP_1) | instskip(SKIP_1) | instid1(VALU_DEP_2)
	v_add_f32_e32 v4, v4, v5
	v_cvt_i32_f32_e32 v5, v6
	v_exp_f32_e32 v4, v4
	s_waitcnt_depctr 0xfff
	v_ldexp_f32 v4, v4, v5
	s_delay_alu instid0(VALU_DEP_1) | instskip(SKIP_1) | instid1(VALU_DEP_2)
	v_cndmask_b32_e32 v4, 0, v4, vcc_lo
	v_cmp_nlt_f32_e32 vcc_lo, 0x42b17218, v1
	v_cndmask_b32_e32 v1, 0x7f800000, v4, vcc_lo
	s_delay_alu instid0(VALU_DEP_1) | instskip(SKIP_3) | instid1(VALU_DEP_2)
	v_dual_add_f32 v0, v0, v1 :: v_dual_sub_f32 v1, v11, v7
	scratch_load_b128 v[8:11], off, off offset:64
	v_mul_f32_e32 v4, 0x3fb8aa3b, v1
	v_cmp_ngt_f32_e32 vcc_lo, 0xc2ce8ed0, v1
	v_fma_f32 v5, 0x3fb8aa3b, v1, -v4
	v_rndne_f32_e32 v6, v4
	s_delay_alu instid0(VALU_DEP_1) | instskip(NEXT) | instid1(VALU_DEP_1)
	v_dual_fmac_f32 v5, 0x32a5705f, v1 :: v_dual_sub_f32 v4, v4, v6
	v_add_f32_e32 v4, v4, v5
	v_cvt_i32_f32_e32 v5, v6
	s_delay_alu instid0(VALU_DEP_2) | instskip(SKIP_2) | instid1(VALU_DEP_1)
	v_exp_f32_e32 v4, v4
	s_waitcnt_depctr 0xfff
	v_ldexp_f32 v4, v4, v5
	v_cndmask_b32_e32 v4, 0, v4, vcc_lo
	v_cmp_nlt_f32_e32 vcc_lo, 0x42b17218, v1
	s_delay_alu instid0(VALU_DEP_2) | instskip(NEXT) | instid1(VALU_DEP_1)
	v_cndmask_b32_e32 v1, 0x7f800000, v4, vcc_lo
	v_add_f32_e32 v0, v0, v1
	s_waitcnt vmcnt(0)
	v_sub_f32_e32 v1, v8, v7
	s_delay_alu instid0(VALU_DEP_1) | instskip(SKIP_1) | instid1(VALU_DEP_2)
	v_mul_f32_e32 v4, 0x3fb8aa3b, v1
	v_cmp_ngt_f32_e32 vcc_lo, 0xc2ce8ed0, v1
	v_fma_f32 v5, 0x3fb8aa3b, v1, -v4
	v_rndne_f32_e32 v6, v4
	s_delay_alu instid0(VALU_DEP_1) | instskip(NEXT) | instid1(VALU_DEP_1)
	v_dual_fmac_f32 v5, 0x32a5705f, v1 :: v_dual_sub_f32 v4, v4, v6
	v_add_f32_e32 v4, v4, v5
	v_cvt_i32_f32_e32 v5, v6
	s_delay_alu instid0(VALU_DEP_2) | instskip(SKIP_2) | instid1(VALU_DEP_1)
	v_exp_f32_e32 v4, v4
	s_waitcnt_depctr 0xfff
	v_ldexp_f32 v4, v4, v5
	v_cndmask_b32_e32 v4, 0, v4, vcc_lo
	v_cmp_nlt_f32_e32 vcc_lo, 0x42b17218, v1
	s_delay_alu instid0(VALU_DEP_2) | instskip(NEXT) | instid1(VALU_DEP_1)
	v_cndmask_b32_e32 v1, 0x7f800000, v4, vcc_lo
	v_dual_add_f32 v0, v0, v1 :: v_dual_sub_f32 v1, v9, v7
	s_delay_alu instid0(VALU_DEP_1) | instskip(SKIP_1) | instid1(VALU_DEP_2)
	v_mul_f32_e32 v4, 0x3fb8aa3b, v1
	v_cmp_ngt_f32_e32 vcc_lo, 0xc2ce8ed0, v1
	v_fma_f32 v5, 0x3fb8aa3b, v1, -v4
	v_rndne_f32_e32 v6, v4
	s_delay_alu instid0(VALU_DEP_1) | instskip(NEXT) | instid1(VALU_DEP_1)
	v_dual_fmac_f32 v5, 0x32a5705f, v1 :: v_dual_sub_f32 v4, v4, v6
	v_add_f32_e32 v4, v4, v5
	v_cvt_i32_f32_e32 v5, v6
	s_delay_alu instid0(VALU_DEP_2) | instskip(SKIP_2) | instid1(VALU_DEP_1)
	v_exp_f32_e32 v4, v4
	s_waitcnt_depctr 0xfff
	v_ldexp_f32 v4, v4, v5
	v_cndmask_b32_e32 v4, 0, v4, vcc_lo
	v_cmp_nlt_f32_e32 vcc_lo, 0x42b17218, v1
	s_delay_alu instid0(VALU_DEP_2) | instskip(NEXT) | instid1(VALU_DEP_1)
	v_cndmask_b32_e32 v1, 0x7f800000, v4, vcc_lo
	v_dual_add_f32 v0, v0, v1 :: v_dual_sub_f32 v1, v10, v7
	;; [unrolled: 18-line block ×3, first 2 shown]
	s_delay_alu instid0(VALU_DEP_1) | instskip(SKIP_1) | instid1(VALU_DEP_2)
	v_mul_f32_e32 v4, 0x3fb8aa3b, v1
	v_cmp_ngt_f32_e32 vcc_lo, 0xc2ce8ed0, v1
	v_fma_f32 v5, 0x3fb8aa3b, v1, -v4
	v_rndne_f32_e32 v6, v4
	s_delay_alu instid0(VALU_DEP_1) | instskip(NEXT) | instid1(VALU_DEP_1)
	v_dual_fmac_f32 v5, 0x32a5705f, v1 :: v_dual_sub_f32 v4, v4, v6
	v_add_f32_e32 v4, v4, v5
	v_cvt_i32_f32_e32 v5, v6
	s_delay_alu instid0(VALU_DEP_2) | instskip(SKIP_2) | instid1(VALU_DEP_1)
	v_exp_f32_e32 v4, v4
	s_waitcnt_depctr 0xfff
	v_ldexp_f32 v4, v4, v5
	v_cndmask_b32_e32 v4, 0, v4, vcc_lo
	v_cmp_nlt_f32_e32 vcc_lo, 0x42b17218, v1
	s_delay_alu instid0(VALU_DEP_2) | instskip(SKIP_4) | instid1(VALU_DEP_1)
	v_cndmask_b32_e32 v1, 0x7f800000, v4, vcc_lo
	scratch_load_b96 v[4:6], off, off offset:80
	v_add_f32_e32 v0, v0, v1
	s_waitcnt vmcnt(0)
	v_sub_f32_e32 v1, v4, v7
	v_mul_f32_e32 v4, 0x3fb8aa3b, v1
	v_cmp_ngt_f32_e32 vcc_lo, 0xc2ce8ed0, v1
	s_delay_alu instid0(VALU_DEP_2) | instskip(SKIP_1) | instid1(VALU_DEP_2)
	v_fma_f32 v8, 0x3fb8aa3b, v1, -v4
	v_rndne_f32_e32 v9, v4
	v_fmac_f32_e32 v8, 0x32a5705f, v1
	s_delay_alu instid0(VALU_DEP_2) | instskip(NEXT) | instid1(VALU_DEP_1)
	v_sub_f32_e32 v4, v4, v9
	v_add_f32_e32 v4, v4, v8
	v_cvt_i32_f32_e32 v8, v9
	s_delay_alu instid0(VALU_DEP_2) | instskip(SKIP_2) | instid1(VALU_DEP_1)
	v_exp_f32_e32 v4, v4
	s_waitcnt_depctr 0xfff
	v_ldexp_f32 v4, v4, v8
	v_cndmask_b32_e32 v4, 0, v4, vcc_lo
	v_cmp_nlt_f32_e32 vcc_lo, 0x42b17218, v1
	s_delay_alu instid0(VALU_DEP_2) | instskip(NEXT) | instid1(VALU_DEP_1)
	v_cndmask_b32_e32 v1, 0x7f800000, v4, vcc_lo
	v_dual_add_f32 v0, v0, v1 :: v_dual_sub_f32 v1, v5, v7
	s_delay_alu instid0(VALU_DEP_1) | instskip(SKIP_1) | instid1(VALU_DEP_2)
	v_mul_f32_e32 v4, 0x3fb8aa3b, v1
	v_cmp_ngt_f32_e32 vcc_lo, 0xc2ce8ed0, v1
	v_fma_f32 v5, 0x3fb8aa3b, v1, -v4
	v_rndne_f32_e32 v8, v4
	s_delay_alu instid0(VALU_DEP_1) | instskip(NEXT) | instid1(VALU_DEP_1)
	v_dual_fmac_f32 v5, 0x32a5705f, v1 :: v_dual_sub_f32 v4, v4, v8
	v_add_f32_e32 v4, v4, v5
	v_cvt_i32_f32_e32 v5, v8
	s_delay_alu instid0(VALU_DEP_2) | instskip(SKIP_2) | instid1(VALU_DEP_1)
	v_exp_f32_e32 v4, v4
	s_waitcnt_depctr 0xfff
	v_ldexp_f32 v4, v4, v5
	v_cndmask_b32_e32 v4, 0, v4, vcc_lo
	v_cmp_nlt_f32_e32 vcc_lo, 0x42b17218, v1
	s_delay_alu instid0(VALU_DEP_2) | instskip(NEXT) | instid1(VALU_DEP_1)
	v_cndmask_b32_e32 v1, 0x7f800000, v4, vcc_lo
	v_dual_add_f32 v0, v0, v1 :: v_dual_sub_f32 v1, v6, v7
	s_delay_alu instid0(VALU_DEP_1) | instskip(SKIP_1) | instid1(VALU_DEP_2)
	v_mul_f32_e32 v4, 0x3fb8aa3b, v1
	v_cmp_ngt_f32_e32 vcc_lo, 0xc2ce8ed0, v1
	v_fma_f32 v5, 0x3fb8aa3b, v1, -v4
	v_rndne_f32_e32 v6, v4
	s_delay_alu instid0(VALU_DEP_1) | instskip(NEXT) | instid1(VALU_DEP_1)
	v_dual_fmac_f32 v5, 0x32a5705f, v1 :: v_dual_sub_f32 v4, v4, v6
	v_add_f32_e32 v4, v4, v5
	v_cvt_i32_f32_e32 v5, v6
	s_delay_alu instid0(VALU_DEP_2) | instskip(SKIP_2) | instid1(VALU_DEP_1)
	v_exp_f32_e32 v4, v4
	s_waitcnt_depctr 0xfff
	v_ldexp_f32 v4, v4, v5
	v_cndmask_b32_e32 v4, 0, v4, vcc_lo
	v_cmp_nlt_f32_e32 vcc_lo, 0x42b17218, v1
	s_delay_alu instid0(VALU_DEP_2) | instskip(NEXT) | instid1(VALU_DEP_1)
	v_cndmask_b32_e32 v1, 0x7f800000, v4, vcc_lo
	v_dual_add_f32 v0, v0, v1 :: v_dual_sub_f32 v1, v2, v7
	s_delay_alu instid0(VALU_DEP_1) | instskip(SKIP_1) | instid1(VALU_DEP_2)
	v_mul_f32_e32 v2, 0x3fb8aa3b, v1
	v_cmp_ngt_f32_e32 vcc_lo, 0xc2ce8ed0, v1
	v_fma_f32 v4, 0x3fb8aa3b, v1, -v2
	v_rndne_f32_e32 v5, v2
	s_delay_alu instid0(VALU_DEP_2) | instskip(NEXT) | instid1(VALU_DEP_2)
	v_fmac_f32_e32 v4, 0x32a5705f, v1
	v_sub_f32_e32 v2, v2, v5
	s_delay_alu instid0(VALU_DEP_1) | instskip(SKIP_1) | instid1(VALU_DEP_2)
	v_add_f32_e32 v2, v2, v4
	v_cvt_i32_f32_e32 v4, v5
	v_exp_f32_e32 v2, v2
	s_waitcnt_depctr 0xfff
	v_ldexp_f32 v2, v2, v4
	s_delay_alu instid0(VALU_DEP_1) | instskip(SKIP_1) | instid1(VALU_DEP_2)
	v_cndmask_b32_e32 v2, 0, v2, vcc_lo
	v_cmp_nlt_f32_e32 vcc_lo, 0x42b17218, v1
	v_cndmask_b32_e32 v1, 0x7f800000, v2, vcc_lo
	s_delay_alu instid0(VALU_DEP_1) | instskip(NEXT) | instid1(VALU_DEP_1)
	v_dual_add_f32 v0, v0, v1 :: v_dual_sub_f32 v1, v3, v7
	v_mul_f32_e32 v2, 0x3fb8aa3b, v1
	v_cmp_ngt_f32_e32 vcc_lo, 0xc2ce8ed0, v1
	s_delay_alu instid0(VALU_DEP_2) | instskip(SKIP_1) | instid1(VALU_DEP_1)
	v_fma_f32 v3, 0x3fb8aa3b, v1, -v2
	v_rndne_f32_e32 v4, v2
	v_dual_fmac_f32 v3, 0x32a5705f, v1 :: v_dual_sub_f32 v2, v2, v4
	s_delay_alu instid0(VALU_DEP_1) | instskip(SKIP_1) | instid1(VALU_DEP_2)
	v_add_f32_e32 v2, v2, v3
	v_cvt_i32_f32_e32 v3, v4
	v_exp_f32_e32 v2, v2
	s_waitcnt_depctr 0xfff
	v_ldexp_f32 v2, v2, v3
	s_delay_alu instid0(VALU_DEP_1) | instskip(SKIP_1) | instid1(VALU_DEP_2)
	v_cndmask_b32_e32 v2, 0, v2, vcc_lo
	v_cmp_nlt_f32_e32 vcc_lo, 0x42b17218, v1
	v_cndmask_b32_e32 v1, 0x7f800000, v2, vcc_lo
	s_delay_alu instid0(VALU_DEP_1) | instskip(SKIP_4) | instid1(VALU_DEP_2)
	v_add_f32_e32 v4, v0, v1
	scratch_load_b128 v[0:3], off, off offset:100
	s_waitcnt vmcnt(0)
	v_sub_f32_e32 v0, v0, v7
	v_sub_f32_e32 v1, v1, v7
	v_mul_f32_e32 v5, 0x3fb8aa3b, v0
	v_cmp_ngt_f32_e32 vcc_lo, 0xc2ce8ed0, v0
	s_delay_alu instid0(VALU_DEP_2) | instskip(SKIP_1) | instid1(VALU_DEP_2)
	v_fma_f32 v6, 0x3fb8aa3b, v0, -v5
	v_rndne_f32_e32 v8, v5
	v_fmac_f32_e32 v6, 0x32a5705f, v0
	s_delay_alu instid0(VALU_DEP_2) | instskip(NEXT) | instid1(VALU_DEP_1)
	v_sub_f32_e32 v5, v5, v8
	v_add_f32_e32 v5, v5, v6
	v_cvt_i32_f32_e32 v6, v8
	s_delay_alu instid0(VALU_DEP_2) | instskip(SKIP_2) | instid1(VALU_DEP_1)
	v_exp_f32_e32 v5, v5
	s_waitcnt_depctr 0xfff
	v_ldexp_f32 v5, v5, v6
	v_cndmask_b32_e32 v5, 0, v5, vcc_lo
	v_cmp_nlt_f32_e32 vcc_lo, 0x42b17218, v0
	s_delay_alu instid0(VALU_DEP_2) | instskip(SKIP_1) | instid1(VALU_DEP_2)
	v_cndmask_b32_e32 v0, 0x7f800000, v5, vcc_lo
	v_cmp_ngt_f32_e32 vcc_lo, 0xc2ce8ed0, v1
	v_add_f32_e32 v0, v4, v0
	v_mul_f32_e32 v4, 0x3fb8aa3b, v1
	s_delay_alu instid0(VALU_DEP_1) | instskip(SKIP_1) | instid1(VALU_DEP_1)
	v_fma_f32 v5, 0x3fb8aa3b, v1, -v4
	v_rndne_f32_e32 v6, v4
	v_dual_fmac_f32 v5, 0x32a5705f, v1 :: v_dual_sub_f32 v4, v4, v6
	s_delay_alu instid0(VALU_DEP_1) | instskip(SKIP_1) | instid1(VALU_DEP_2)
	v_add_f32_e32 v4, v4, v5
	v_cvt_i32_f32_e32 v5, v6
	v_exp_f32_e32 v4, v4
	s_waitcnt_depctr 0xfff
	v_ldexp_f32 v4, v4, v5
	s_delay_alu instid0(VALU_DEP_1) | instskip(SKIP_1) | instid1(VALU_DEP_2)
	v_cndmask_b32_e32 v4, 0, v4, vcc_lo
	v_cmp_nlt_f32_e32 vcc_lo, 0x42b17218, v1
	v_cndmask_b32_e32 v1, 0x7f800000, v4, vcc_lo
	s_delay_alu instid0(VALU_DEP_1) | instskip(NEXT) | instid1(VALU_DEP_1)
	v_dual_add_f32 v0, v0, v1 :: v_dual_sub_f32 v1, v2, v7
	v_mul_f32_e32 v2, 0x3fb8aa3b, v1
	v_cmp_ngt_f32_e32 vcc_lo, 0xc2ce8ed0, v1
	s_delay_alu instid0(VALU_DEP_2) | instskip(SKIP_1) | instid1(VALU_DEP_2)
	v_fma_f32 v4, 0x3fb8aa3b, v1, -v2
	v_rndne_f32_e32 v5, v2
	v_fmac_f32_e32 v4, 0x32a5705f, v1
	s_delay_alu instid0(VALU_DEP_2) | instskip(NEXT) | instid1(VALU_DEP_1)
	v_sub_f32_e32 v2, v2, v5
	v_add_f32_e32 v2, v2, v4
	v_cvt_i32_f32_e32 v4, v5
	s_delay_alu instid0(VALU_DEP_2) | instskip(SKIP_2) | instid1(VALU_DEP_1)
	v_exp_f32_e32 v2, v2
	s_waitcnt_depctr 0xfff
	v_ldexp_f32 v2, v2, v4
	v_cndmask_b32_e32 v2, 0, v2, vcc_lo
	v_cmp_nlt_f32_e32 vcc_lo, 0x42b17218, v1
	s_delay_alu instid0(VALU_DEP_2) | instskip(NEXT) | instid1(VALU_DEP_1)
	v_cndmask_b32_e32 v1, 0x7f800000, v2, vcc_lo
	v_dual_add_f32 v0, v0, v1 :: v_dual_sub_f32 v1, v3, v7
	s_delay_alu instid0(VALU_DEP_1) | instskip(SKIP_1) | instid1(VALU_DEP_2)
	v_mul_f32_e32 v2, 0x3fb8aa3b, v1
	v_cmp_ngt_f32_e32 vcc_lo, 0xc2ce8ed0, v1
	v_fma_f32 v3, 0x3fb8aa3b, v1, -v2
	v_rndne_f32_e32 v4, v2
	s_delay_alu instid0(VALU_DEP_1) | instskip(NEXT) | instid1(VALU_DEP_1)
	v_dual_fmac_f32 v3, 0x32a5705f, v1 :: v_dual_sub_f32 v2, v2, v4
	v_add_f32_e32 v2, v2, v3
	v_cvt_i32_f32_e32 v3, v4
	s_delay_alu instid0(VALU_DEP_2) | instskip(SKIP_2) | instid1(VALU_DEP_1)
	v_exp_f32_e32 v2, v2
	s_waitcnt_depctr 0xfff
	v_ldexp_f32 v2, v2, v3
	v_cndmask_b32_e32 v2, 0, v2, vcc_lo
	v_cmp_nlt_f32_e32 vcc_lo, 0x42b17218, v1
	s_delay_alu instid0(VALU_DEP_2) | instskip(NEXT) | instid1(VALU_DEP_1)
	v_cndmask_b32_e32 v1, 0x7f800000, v2, vcc_lo
	v_add_f32_e32 v3, v0, v1
	scratch_load_b96 v[0:2], off, off offset:116
	s_waitcnt vmcnt(0)
	v_sub_f32_e32 v0, v0, v7
	s_delay_alu instid0(VALU_DEP_1) | instskip(SKIP_1) | instid1(VALU_DEP_2)
	v_dual_sub_f32 v1, v1, v7 :: v_dual_mul_f32 v4, 0x3fb8aa3b, v0
	v_cmp_ngt_f32_e32 vcc_lo, 0xc2ce8ed0, v0
	v_fma_f32 v5, 0x3fb8aa3b, v0, -v4
	v_rndne_f32_e32 v6, v4
	s_delay_alu instid0(VALU_DEP_1) | instskip(NEXT) | instid1(VALU_DEP_1)
	v_dual_fmac_f32 v5, 0x32a5705f, v0 :: v_dual_sub_f32 v4, v4, v6
	v_add_f32_e32 v4, v4, v5
	v_cvt_i32_f32_e32 v5, v6
	s_delay_alu instid0(VALU_DEP_2) | instskip(SKIP_2) | instid1(VALU_DEP_1)
	v_exp_f32_e32 v4, v4
	s_waitcnt_depctr 0xfff
	v_ldexp_f32 v4, v4, v5
	v_cndmask_b32_e32 v4, 0, v4, vcc_lo
	v_cmp_nlt_f32_e32 vcc_lo, 0x42b17218, v0
	s_delay_alu instid0(VALU_DEP_2) | instskip(SKIP_1) | instid1(VALU_DEP_2)
	v_cndmask_b32_e32 v0, 0x7f800000, v4, vcc_lo
	v_cmp_ngt_f32_e32 vcc_lo, 0xc2ce8ed0, v1
	v_dual_add_f32 v0, v3, v0 :: v_dual_mul_f32 v3, 0x3fb8aa3b, v1
	s_delay_alu instid0(VALU_DEP_1) | instskip(SKIP_1) | instid1(VALU_DEP_2)
	v_fma_f32 v4, 0x3fb8aa3b, v1, -v3
	v_rndne_f32_e32 v5, v3
	v_fmac_f32_e32 v4, 0x32a5705f, v1
	s_delay_alu instid0(VALU_DEP_2) | instskip(NEXT) | instid1(VALU_DEP_1)
	v_sub_f32_e32 v3, v3, v5
	v_add_f32_e32 v3, v3, v4
	v_cvt_i32_f32_e32 v4, v5
	s_delay_alu instid0(VALU_DEP_2) | instskip(SKIP_2) | instid1(VALU_DEP_1)
	v_exp_f32_e32 v3, v3
	s_waitcnt_depctr 0xfff
	v_ldexp_f32 v3, v3, v4
	v_cndmask_b32_e32 v3, 0, v3, vcc_lo
	v_cmp_nlt_f32_e32 vcc_lo, 0x42b17218, v1
	s_delay_alu instid0(VALU_DEP_2) | instskip(NEXT) | instid1(VALU_DEP_1)
	v_cndmask_b32_e32 v1, 0x7f800000, v3, vcc_lo
	v_dual_add_f32 v0, v0, v1 :: v_dual_sub_f32 v1, v2, v7
	s_delay_alu instid0(VALU_DEP_1) | instskip(SKIP_1) | instid1(VALU_DEP_2)
	v_mul_f32_e32 v2, 0x3fb8aa3b, v1
	v_cmp_ngt_f32_e32 vcc_lo, 0xc2ce8ed0, v1
	v_fma_f32 v3, 0x3fb8aa3b, v1, -v2
	v_rndne_f32_e32 v4, v2
	s_delay_alu instid0(VALU_DEP_1) | instskip(NEXT) | instid1(VALU_DEP_1)
	v_dual_fmac_f32 v3, 0x32a5705f, v1 :: v_dual_sub_f32 v2, v2, v4
	v_add_f32_e32 v2, v2, v3
	v_cvt_i32_f32_e32 v3, v4
	s_delay_alu instid0(VALU_DEP_2) | instskip(SKIP_2) | instid1(VALU_DEP_1)
	v_exp_f32_e32 v2, v2
	s_waitcnt_depctr 0xfff
	v_ldexp_f32 v2, v2, v3
	v_cndmask_b32_e32 v2, 0, v2, vcc_lo
	v_cmp_nlt_f32_e32 vcc_lo, 0x42b17218, v1
	s_delay_alu instid0(VALU_DEP_2) | instskip(SKIP_1) | instid1(VALU_DEP_2)
	v_cndmask_b32_e32 v1, 0x7f800000, v2, vcc_lo
	v_cmp_eq_u32_e32 vcc_lo, 0, v29
	v_add_f32_e32 v0, v0, v1
	s_delay_alu instid0(VALU_DEP_1) | instskip(NEXT) | instid1(VALU_DEP_1)
	v_mov_b32_dpp v1, v0 quad_perm:[1,0,3,2] row_mask:0xf bank_mask:0xf
	v_add_f32_e32 v0, v0, v1
	s_delay_alu instid0(VALU_DEP_1) | instskip(NEXT) | instid1(VALU_DEP_1)
	v_mov_b32_dpp v1, v0 quad_perm:[2,3,0,1] row_mask:0xf bank_mask:0xf
	v_add_f32_e32 v0, v0, v1
	s_delay_alu instid0(VALU_DEP_1) | instskip(NEXT) | instid1(VALU_DEP_1)
	v_mov_b32_dpp v1, v0 row_half_mirror row_mask:0xf bank_mask:0xf
	v_add_f32_e32 v0, v0, v1
	s_delay_alu instid0(VALU_DEP_1)
	v_mov_b32_dpp v1, v0 row_mirror row_mask:0xf bank_mask:0xf
	s_and_b32 exec_lo, exec_lo, vcc_lo
	s_cbranch_execz .LBB305_24
; %bb.20:
	s_delay_alu instid0(VALU_DEP_1) | instskip(NEXT) | instid1(VALU_DEP_1)
	v_add_f32_e32 v0, v0, v1
	v_add_f32_e32 v0, v30, v0
	s_delay_alu instid0(VALU_DEP_1)
	v_cmp_neq_f32_e32 vcc_lo, 0, v0
	s_and_b32 exec_lo, exec_lo, vcc_lo
	s_cbranch_execz .LBB305_24
; %bb.21:
	s_and_not1_b32 vcc_lo, exec_lo, s3
	s_cbranch_vccnz .LBB305_24
; %bb.22:
	v_div_scale_f32 v2, null, v0, v0, 1.0
	v_div_scale_f32 v4, vcc_lo, 1.0, v0, 1.0
	s_delay_alu instid0(VALU_DEP_2) | instskip(SKIP_2) | instid1(VALU_DEP_1)
	v_rcp_f32_e32 v3, v2
	s_waitcnt_depctr 0xfff
	v_fma_f32 v1, -v2, v3, 1.0
	v_fmac_f32_e32 v3, v1, v3
	v_mul_lo_u32 v1, v28, s7
	s_delay_alu instid0(VALU_DEP_2) | instskip(NEXT) | instid1(VALU_DEP_1)
	v_mul_f32_e32 v5, v4, v3
	v_fma_f32 v6, -v2, v5, v4
	s_delay_alu instid0(VALU_DEP_1) | instskip(NEXT) | instid1(VALU_DEP_1)
	v_fmac_f32_e32 v5, v6, v3
	v_fma_f32 v4, -v2, v5, v4
	v_ashrrev_i32_e32 v2, 31, v1
	s_delay_alu instid0(VALU_DEP_2) | instskip(NEXT) | instid1(VALU_DEP_2)
	v_div_fmas_f32 v5, v4, v3, v5
	v_lshlrev_b64 v[3:4], 2, v[1:2]
	s_delay_alu instid0(VALU_DEP_2) | instskip(NEXT) | instid1(VALU_DEP_2)
	v_div_fixup_f32 v2, v5, v0, 1.0
	v_add_co_u32 v0, vcc_lo, s12, v3
	s_delay_alu instid0(VALU_DEP_3)
	v_add_co_ci_u32_e32 v1, vcc_lo, s13, v4, vcc_lo
.LBB305_23:                             ; =>This Inner Loop Header: Depth=1
	global_load_b32 v3, v[0:1], off
	s_add_i32 s4, s4, -1
	s_delay_alu instid0(SALU_CYCLE_1)
	s_cmp_lg_u32 s4, 0
	s_waitcnt vmcnt(0)
	v_mul_f32_e32 v3, v2, v3
	global_store_b32 v[0:1], v3, off
	v_add_co_u32 v0, vcc_lo, v0, 4
	v_add_co_ci_u32_e32 v1, vcc_lo, 0, v1, vcc_lo
	s_cbranch_scc1 .LBB305_23
.LBB305_24:
	s_endpgm
	.section	.rodata,"a",@progbits
	.p2align	6, 0x0
	.amdhsa_kernel _ZN4vllm3moe17topkGatingSoftmaxItLi32ELi512ELi2ELi64ELb0ELi4ELNS0_23SharedExpertScoringFuncE1EEEvPKT_PKbPfiPiS9_iiiiii
		.amdhsa_group_segment_fixed_size 0
		.amdhsa_private_segment_fixed_size 144
		.amdhsa_kernarg_size 72
		.amdhsa_user_sgpr_count 15
		.amdhsa_user_sgpr_dispatch_ptr 0
		.amdhsa_user_sgpr_queue_ptr 0
		.amdhsa_user_sgpr_kernarg_segment_ptr 1
		.amdhsa_user_sgpr_dispatch_id 0
		.amdhsa_user_sgpr_private_segment_size 0
		.amdhsa_wavefront_size32 1
		.amdhsa_uses_dynamic_stack 0
		.amdhsa_enable_private_segment 1
		.amdhsa_system_sgpr_workgroup_id_x 1
		.amdhsa_system_sgpr_workgroup_id_y 0
		.amdhsa_system_sgpr_workgroup_id_z 0
		.amdhsa_system_sgpr_workgroup_info 0
		.amdhsa_system_vgpr_workitem_id 1
		.amdhsa_next_free_vgpr 77
		.amdhsa_next_free_sgpr 19
		.amdhsa_reserve_vcc 1
		.amdhsa_float_round_mode_32 0
		.amdhsa_float_round_mode_16_64 0
		.amdhsa_float_denorm_mode_32 3
		.amdhsa_float_denorm_mode_16_64 3
		.amdhsa_dx10_clamp 1
		.amdhsa_ieee_mode 1
		.amdhsa_fp16_overflow 0
		.amdhsa_workgroup_processor_mode 1
		.amdhsa_memory_ordered 1
		.amdhsa_forward_progress 0
		.amdhsa_shared_vgpr_count 0
		.amdhsa_exception_fp_ieee_invalid_op 0
		.amdhsa_exception_fp_denorm_src 0
		.amdhsa_exception_fp_ieee_div_zero 0
		.amdhsa_exception_fp_ieee_overflow 0
		.amdhsa_exception_fp_ieee_underflow 0
		.amdhsa_exception_fp_ieee_inexact 0
		.amdhsa_exception_int_div_zero 0
	.end_amdhsa_kernel
	.section	.text._ZN4vllm3moe17topkGatingSoftmaxItLi32ELi512ELi2ELi64ELb0ELi4ELNS0_23SharedExpertScoringFuncE1EEEvPKT_PKbPfiPiS9_iiiiii,"axG",@progbits,_ZN4vllm3moe17topkGatingSoftmaxItLi32ELi512ELi2ELi64ELb0ELi4ELNS0_23SharedExpertScoringFuncE1EEEvPKT_PKbPfiPiS9_iiiiii,comdat
.Lfunc_end305:
	.size	_ZN4vllm3moe17topkGatingSoftmaxItLi32ELi512ELi2ELi64ELb0ELi4ELNS0_23SharedExpertScoringFuncE1EEEvPKT_PKbPfiPiS9_iiiiii, .Lfunc_end305-_ZN4vllm3moe17topkGatingSoftmaxItLi32ELi512ELi2ELi64ELb0ELi4ELNS0_23SharedExpertScoringFuncE1EEEvPKT_PKbPfiPiS9_iiiiii
                                        ; -- End function
	.section	.AMDGPU.csdata,"",@progbits
; Kernel info:
; codeLenInByte = 8284
; NumSgprs: 21
; NumVgprs: 77
; ScratchSize: 144
; MemoryBound: 0
; FloatMode: 240
; IeeeMode: 1
; LDSByteSize: 0 bytes/workgroup (compile time only)
; SGPRBlocks: 2
; VGPRBlocks: 9
; NumSGPRsForWavesPerEU: 21
; NumVGPRsForWavesPerEU: 77
; Occupancy: 16
; WaveLimiterHint : 0
; COMPUTE_PGM_RSRC2:SCRATCH_EN: 1
; COMPUTE_PGM_RSRC2:USER_SGPR: 15
; COMPUTE_PGM_RSRC2:TRAP_HANDLER: 0
; COMPUTE_PGM_RSRC2:TGID_X_EN: 1
; COMPUTE_PGM_RSRC2:TGID_Y_EN: 0
; COMPUTE_PGM_RSRC2:TGID_Z_EN: 0
; COMPUTE_PGM_RSRC2:TIDIG_COMP_CNT: 1
	.section	.text._ZN4vllm3moe17topkGatingSoftmaxItLi32ELi512ELi2ELi64ELb1ELi8ELNS0_23SharedExpertScoringFuncE1EEEvPKT_PKbPfiPiS9_iiiiii,"axG",@progbits,_ZN4vllm3moe17topkGatingSoftmaxItLi32ELi512ELi2ELi64ELb1ELi8ELNS0_23SharedExpertScoringFuncE1EEEvPKT_PKbPfiPiS9_iiiiii,comdat
	.protected	_ZN4vllm3moe17topkGatingSoftmaxItLi32ELi512ELi2ELi64ELb1ELi8ELNS0_23SharedExpertScoringFuncE1EEEvPKT_PKbPfiPiS9_iiiiii ; -- Begin function _ZN4vllm3moe17topkGatingSoftmaxItLi32ELi512ELi2ELi64ELb1ELi8ELNS0_23SharedExpertScoringFuncE1EEEvPKT_PKbPfiPiS9_iiiiii
	.globl	_ZN4vllm3moe17topkGatingSoftmaxItLi32ELi512ELi2ELi64ELb1ELi8ELNS0_23SharedExpertScoringFuncE1EEEvPKT_PKbPfiPiS9_iiiiii
	.p2align	8
	.type	_ZN4vllm3moe17topkGatingSoftmaxItLi32ELi512ELi2ELi64ELb1ELi8ELNS0_23SharedExpertScoringFuncE1EEEvPKT_PKbPfiPiS9_iiiiii,@function
_ZN4vllm3moe17topkGatingSoftmaxItLi32ELi512ELi2ELi64ELb1ELi8ELNS0_23SharedExpertScoringFuncE1EEEvPKT_PKbPfiPiS9_iiiiii: ; @_ZN4vllm3moe17topkGatingSoftmaxItLi32ELi512ELi2ELi64ELb1ELi8ELNS0_23SharedExpertScoringFuncE1EEEvPKT_PKbPfiPiS9_iiiiii
; %bb.0:
	s_load_b32 s16, s[0:1], 0x18
	v_bfe_u32 v1, v0, 10, 10
	v_and_b32_e32 v0, 0x3ff, v0
	s_lshl_b32 s18, s15, 2
	s_mov_b32 s2, exec_lo
	s_delay_alu instid0(VALU_DEP_2) | instskip(NEXT) | instid1(VALU_DEP_2)
	v_lshlrev_b32_e32 v28, 1, v1
	v_lshrrev_b32_e32 v29, 4, v0
	s_delay_alu instid0(VALU_DEP_1) | instskip(SKIP_1) | instid1(VALU_DEP_1)
	v_add3_u32 v24, s18, v28, v29
	s_waitcnt lgkmcnt(0)
	v_cmpx_gt_i32_e64 s16, v24
	s_cbranch_execz .LBB306_22
; %bb.1:
	s_clause 0x1
	s_load_b128 s[4:7], s[0:1], 0x0
	s_load_b64 s[12:13], s[0:1], 0x10
	s_waitcnt lgkmcnt(0)
	s_cmp_eq_u64 s[6:7], 0
	s_cbranch_scc1 .LBB306_3
; %bb.2:
	v_ashrrev_i32_e32 v2, 31, v24
	v_add_co_u32 v1, vcc_lo, s6, v24
	s_delay_alu instid0(VALU_DEP_2) | instskip(SKIP_3) | instid1(VALU_DEP_1)
	v_add_co_ci_u32_e32 v2, vcc_lo, s7, v2, vcc_lo
	global_load_u8 v1, v[1:2], off
	s_waitcnt vmcnt(0)
	v_and_b32_e32 v1, 1, v1
	v_cmp_eq_u32_e32 vcc_lo, 1, v1
	s_xor_b32 s2, vcc_lo, -1
	s_delay_alu instid0(SALU_CYCLE_1)
	s_or_not1_b32 s17, s2, exec_lo
	s_branch .LBB306_4
.LBB306_3:
	s_mov_b32 s17, -1
.LBB306_4:
	s_load_b64 s[14:15], s[0:1], 0x40
	v_and_b32_e32 v25, 15, v0
	s_delay_alu instid0(VALU_DEP_1) | instskip(SKIP_2) | instid1(VALU_DEP_1)
	v_dual_mov_b32 v27, 0 :: v_dual_lshlrev_b32 v26, 5, v25
	s_waitcnt lgkmcnt(0)
	v_mul_lo_u32 v1, v24, s15
	v_ashrrev_i32_e32 v2, 31, v1
	s_delay_alu instid0(VALU_DEP_1) | instskip(SKIP_1) | instid1(VALU_DEP_2)
	v_lshlrev_b64 v[0:1], 1, v[1:2]
	v_lshlrev_b32_e32 v2, 6, v25
	v_add_co_u32 v30, vcc_lo, s4, v0
	s_delay_alu instid0(VALU_DEP_3) | instskip(SKIP_1) | instid1(VALU_DEP_2)
	v_add_co_ci_u32_e32 v31, vcc_lo, s5, v1, vcc_lo
	s_load_b128 s[4:7], s[0:1], 0x30
	v_add_co_u32 v12, vcc_lo, v30, v2
	s_delay_alu instid0(VALU_DEP_2)
	v_add_co_ci_u32_e32 v13, vcc_lo, 0, v31, vcc_lo
	v_cmp_gt_u32_e32 vcc_lo, 8, v25
	s_clause 0x3
	global_load_b128 v[0:3], v[12:13], off
	global_load_b128 v[4:7], v[12:13], off offset:16
	global_load_b128 v[8:11], v[12:13], off offset:32
	;; [unrolled: 1-line block ×3, first 2 shown]
	s_waitcnt vmcnt(3)
	v_and_b32_e32 v16, 0xffff, v0
	v_lshrrev_b32_e32 v0, 16, v0
	v_and_b32_e32 v17, 0xffff, v1
	v_lshrrev_b32_e32 v1, 16, v1
	v_and_b32_e32 v18, 0xffff, v2
	v_lshrrev_b32_e32 v2, 16, v2
	v_and_b32_e32 v19, 0xffff, v3
	v_lshrrev_b32_e32 v3, 16, v3
	s_waitcnt vmcnt(2)
	v_and_b32_e32 v32, 0xffff, v4
	v_lshrrev_b32_e32 v4, 16, v4
	v_and_b32_e32 v33, 0xffff, v5
	v_lshrrev_b32_e32 v5, 16, v5
	v_and_b32_e32 v34, 0xffff, v6
	v_lshrrev_b32_e32 v6, 16, v6
	v_and_b32_e32 v35, 0xffff, v7
	v_lshrrev_b32_e32 v40, 16, v7
	s_waitcnt vmcnt(1)
	v_and_b32_e32 v7, 0xffff, v8
	v_lshrrev_b32_e32 v36, 16, v8
	v_and_b32_e32 v37, 0xffff, v9
	v_lshrrev_b32_e32 v41, 16, v9
	v_and_b32_e32 v38, 0xffff, v10
	v_lshrrev_b32_e32 v39, 16, v10
	v_and_b32_e32 v42, 0xffff, v11
	v_lshrrev_b32_e32 v11, 16, v11
	s_waitcnt vmcnt(0)
	v_and_b32_e32 v47, 0xffff, v14
	v_lshrrev_b32_e32 v48, 16, v14
	v_and_b32_e32 v49, 0xffff, v15
	v_lshrrev_b32_e32 v50, 16, v15
	v_and_b32_e32 v43, 0xffff, v12
	v_lshrrev_b32_e32 v44, 16, v12
	v_and_b32_e32 v45, 0xffff, v13
	v_lshrrev_b32_e32 v46, 16, v13
	v_cvt_f32_u32_e32 v20, v16
	v_cvt_f32_u32_e32 v21, v0
	;; [unrolled: 1-line block ×32, first 2 shown]
	s_clause 0x7
	scratch_store_b128 off, v[36:39], off offset:112
	scratch_store_b128 off, v[32:35], off offset:96
	;; [unrolled: 1-line block ×7, first 2 shown]
	scratch_store_b128 off, v[20:23], off
	s_and_saveexec_b32 s2, vcc_lo
	s_cbranch_execz .LBB306_6
; %bb.5:
	v_lshlrev_b32_e32 v1, 1, v25
	s_delay_alu instid0(VALU_DEP_1) | instskip(SKIP_4) | instid1(VALU_DEP_1)
	v_add_co_u32 v1, vcc_lo, v30, v1
	v_add_co_ci_u32_e32 v2, vcc_lo, 0, v31, vcc_lo
	global_load_u16 v1, v[1:2], off offset:1024
	s_waitcnt vmcnt(0)
	v_cvt_f32_u32_e32 v1, v1
	v_mul_f32_e32 v2, 0xbfb8aa3b, v1
	v_cmp_nlt_f32_e32 vcc_lo, 0x42ce8ed0, v1
	s_delay_alu instid0(VALU_DEP_2) | instskip(SKIP_1) | instid1(VALU_DEP_1)
	v_fma_f32 v3, 0xbfb8aa3b, v1, -v2
	v_rndne_f32_e32 v30, v2
	v_dual_fmamk_f32 v3, v1, 0xb2a5705f, v3 :: v_dual_sub_f32 v2, v2, v30
	s_delay_alu instid0(VALU_DEP_1) | instskip(SKIP_1) | instid1(VALU_DEP_2)
	v_add_f32_e32 v2, v2, v3
	v_cvt_i32_f32_e32 v3, v30
	v_exp_f32_e32 v2, v2
	s_waitcnt_depctr 0xfff
	v_ldexp_f32 v2, v2, v3
	s_delay_alu instid0(VALU_DEP_1) | instskip(SKIP_1) | instid1(VALU_DEP_2)
	v_cndmask_b32_e32 v2, 0, v2, vcc_lo
	v_cmp_ngt_f32_e32 vcc_lo, 0xc2b17218, v1
	v_cndmask_b32_e32 v1, 0x7f800000, v2, vcc_lo
	s_delay_alu instid0(VALU_DEP_1) | instskip(NEXT) | instid1(VALU_DEP_1)
	v_add_f32_e32 v3, 1.0, v1
	v_div_scale_f32 v2, null, v3, v3, 1.0
	v_div_scale_f32 v31, vcc_lo, 1.0, v3, 1.0
	s_delay_alu instid0(VALU_DEP_2) | instskip(SKIP_2) | instid1(VALU_DEP_1)
	v_rcp_f32_e32 v30, v2
	s_waitcnt_depctr 0xfff
	v_fma_f32 v1, -v2, v30, 1.0
	v_fmac_f32_e32 v30, v1, v30
	s_waitcnt lgkmcnt(0)
	v_mul_lo_u32 v1, v24, s7
	s_delay_alu instid0(VALU_DEP_2) | instskip(NEXT) | instid1(VALU_DEP_2)
	v_mul_f32_e32 v32, v31, v30
	v_add3_u32 v1, v1, s4, v25
	s_delay_alu instid0(VALU_DEP_2) | instskip(NEXT) | instid1(VALU_DEP_1)
	v_fma_f32 v33, -v2, v32, v31
	v_fmac_f32_e32 v32, v33, v30
	s_delay_alu instid0(VALU_DEP_1) | instskip(NEXT) | instid1(VALU_DEP_4)
	v_fma_f32 v31, -v2, v32, v31
	v_ashrrev_i32_e32 v2, 31, v1
	s_delay_alu instid0(VALU_DEP_2) | instskip(NEXT) | instid1(VALU_DEP_2)
	v_div_fmas_f32 v30, v31, v30, v32
	v_lshlrev_b64 v[1:2], 2, v[1:2]
	s_delay_alu instid0(VALU_DEP_2) | instskip(NEXT) | instid1(VALU_DEP_2)
	v_div_fixup_f32 v3, v30, v3, 1.0
	v_add_co_u32 v1, vcc_lo, s12, v1
	s_delay_alu instid0(VALU_DEP_3)
	v_add_co_ci_u32_e32 v2, vcc_lo, s13, v2, vcc_lo
	global_store_b32 v[1:2], v3, off
.LBB306_6:
	s_or_b32 exec_lo, exec_lo, s2
	s_clause 0x2
	scratch_load_b128 v[34:37], off, off offset:84
	scratch_load_b128 v[38:41], off, off offset:100
	scratch_load_b96 v[1:3], off, off offset:116
	v_cmp_lt_f32_e32 vcc_lo, v20, v21
	v_or_b32_e32 v30, 1, v26
	v_or_b32_e32 v33, 21, v26
	;; [unrolled: 1-line block ×4, first 2 shown]
	v_cndmask_b32_e32 v21, v20, v21, vcc_lo
	v_cndmask_b32_e32 v31, v26, v30, vcc_lo
	v_or_b32_e32 v20, 2, v26
	s_delay_alu instid0(VALU_DEP_3) | instskip(NEXT) | instid1(VALU_DEP_2)
	v_cmp_lt_f32_e32 vcc_lo, v21, v22
	v_dual_cndmask_b32 v31, v31, v20 :: v_dual_cndmask_b32 v22, v21, v22
	v_or_b32_e32 v21, 3, v26
	s_delay_alu instid0(VALU_DEP_2) | instskip(SKIP_1) | instid1(VALU_DEP_3)
	v_cmp_lt_f32_e32 vcc_lo, v22, v23
	v_cndmask_b32_e32 v23, v22, v23, vcc_lo
	v_cndmask_b32_e32 v31, v31, v21, vcc_lo
	v_or_b32_e32 v22, 4, v26
	s_delay_alu instid0(VALU_DEP_3) | instskip(SKIP_1) | instid1(VALU_DEP_3)
	v_cmp_lt_f32_e32 vcc_lo, v23, v16
	v_cndmask_b32_e32 v23, v23, v16, vcc_lo
	v_cndmask_b32_e32 v31, v31, v22, vcc_lo
	v_or_b32_e32 v16, 5, v26
	s_delay_alu instid0(VALU_DEP_3) | instskip(SKIP_1) | instid1(VALU_DEP_3)
	;; [unrolled: 5-line block ×15, first 2 shown]
	v_cmp_lt_f32_e32 vcc_lo, v4, v6
	v_cndmask_b32_e32 v4, v4, v6, vcc_lo
	v_cndmask_b32_e32 v5, v32, v31, vcc_lo
	v_or_b32_e32 v32, 19, v26
	s_delay_alu instid0(VALU_DEP_3) | instskip(NEXT) | instid1(VALU_DEP_2)
	v_cmp_lt_f32_e32 vcc_lo, v4, v7
	v_dual_cndmask_b32 v4, v4, v7 :: v_dual_cndmask_b32 v5, v5, v32
	v_or_b32_e32 v7, 20, v26
	s_delay_alu instid0(VALU_DEP_2) | instskip(NEXT) | instid1(VALU_DEP_2)
	v_cmp_lt_f32_e32 vcc_lo, v4, v0
	v_dual_cndmask_b32 v0, v4, v0 :: v_dual_cndmask_b32 v5, v5, v7
	s_waitcnt vmcnt(2)
	s_delay_alu instid0(VALU_DEP_1) | instskip(SKIP_1) | instid1(VALU_DEP_3)
	v_cmp_lt_f32_e32 vcc_lo, v0, v34
	v_cndmask_b32_e32 v0, v0, v34, vcc_lo
	v_cndmask_b32_e32 v4, v5, v33, vcc_lo
	v_or_b32_e32 v34, 22, v26
	s_delay_alu instid0(VALU_DEP_3) | instskip(SKIP_1) | instid1(VALU_DEP_3)
	v_cmp_lt_f32_e32 vcc_lo, v0, v35
	v_cndmask_b32_e32 v0, v0, v35, vcc_lo
	v_cndmask_b32_e32 v4, v4, v34, vcc_lo
	v_or_b32_e32 v35, 23, v26
	s_delay_alu instid0(VALU_DEP_3) | instskip(SKIP_1) | instid1(VALU_DEP_3)
	;; [unrolled: 5-line block ×3, first 2 shown]
	v_cmp_lt_f32_e32 vcc_lo, v0, v37
	v_cndmask_b32_e32 v0, v0, v37, vcc_lo
	v_cndmask_b32_e32 v4, v4, v36, vcc_lo
	v_or_b32_e32 v37, 25, v26
	s_waitcnt vmcnt(1)
	s_delay_alu instid0(VALU_DEP_3) | instskip(SKIP_1) | instid1(VALU_DEP_3)
	v_cmp_lt_f32_e32 vcc_lo, v0, v38
	v_cndmask_b32_e32 v0, v0, v38, vcc_lo
	v_cndmask_b32_e32 v4, v4, v37, vcc_lo
	v_or_b32_e32 v38, 26, v26
	s_delay_alu instid0(VALU_DEP_3) | instskip(SKIP_1) | instid1(VALU_DEP_3)
	v_cmp_lt_f32_e32 vcc_lo, v0, v39
	v_cndmask_b32_e32 v0, v0, v39, vcc_lo
	v_cndmask_b32_e32 v4, v4, v38, vcc_lo
	v_or_b32_e32 v39, 27, v26
	;; [unrolled: 5-line block ×4, first 2 shown]
	s_waitcnt vmcnt(0)
	s_delay_alu instid0(VALU_DEP_3) | instskip(SKIP_1) | instid1(VALU_DEP_3)
	v_cmp_lt_f32_e32 vcc_lo, v0, v1
	v_cndmask_b32_e32 v0, v0, v1, vcc_lo
	v_cndmask_b32_e32 v4, v4, v41, vcc_lo
	s_delay_alu instid0(VALU_DEP_2) | instskip(SKIP_1) | instid1(VALU_DEP_3)
	v_cmp_lt_f32_e32 vcc_lo, v0, v2
	v_cndmask_b32_e32 v0, v0, v2, vcc_lo
	v_cndmask_b32_e32 v1, v4, v42, vcc_lo
	s_delay_alu instid0(VALU_DEP_2) | instskip(NEXT) | instid1(VALU_DEP_2)
	v_cmp_lt_f32_e32 vcc_lo, v0, v3
	v_cndmask_b32_e32 v1, v1, v43, vcc_lo
	v_cndmask_b32_e32 v0, v0, v3, vcc_lo
	s_delay_alu instid0(VALU_DEP_2) | instskip(NEXT) | instid1(VALU_DEP_2)
	v_mov_b32_dpp v2, v1 quad_perm:[1,0,3,2] row_mask:0xf bank_mask:0xf
	v_mov_b32_dpp v3, v0 quad_perm:[1,0,3,2] row_mask:0xf bank_mask:0xf
	s_delay_alu instid0(VALU_DEP_2) | instskip(NEXT) | instid1(VALU_DEP_2)
	v_cmp_lt_i32_e32 vcc_lo, v2, v1
	v_cmp_eq_f32_e64 s2, v0, v3
	v_cmp_lt_f32_e64 s3, v0, v3
	s_delay_alu instid0(VALU_DEP_2)
	s_and_b32 s2, s2, vcc_lo
	s_delay_alu instid0(VALU_DEP_1) | instid1(SALU_CYCLE_1)
	s_or_b32 vcc_lo, s3, s2
	v_dual_cndmask_b32 v0, v0, v3 :: v_dual_cndmask_b32 v1, v1, v2
	s_delay_alu instid0(VALU_DEP_1) | instskip(NEXT) | instid1(VALU_DEP_2)
	v_mov_b32_dpp v2, v0 quad_perm:[2,3,0,1] row_mask:0xf bank_mask:0xf
	v_mov_b32_dpp v3, v1 quad_perm:[2,3,0,1] row_mask:0xf bank_mask:0xf
	s_delay_alu instid0(VALU_DEP_2) | instskip(NEXT) | instid1(VALU_DEP_2)
	v_cmp_eq_f32_e32 vcc_lo, v0, v2
	v_cmp_lt_i32_e64 s2, v3, v1
	v_cmp_lt_f32_e64 s3, v0, v2
	s_delay_alu instid0(VALU_DEP_2)
	s_and_b32 s2, vcc_lo, s2
	s_delay_alu instid0(VALU_DEP_1) | instid1(SALU_CYCLE_1)
	s_or_b32 vcc_lo, s3, s2
	v_dual_cndmask_b32 v0, v0, v2 :: v_dual_cndmask_b32 v1, v1, v3
	s_delay_alu instid0(VALU_DEP_1) | instskip(NEXT) | instid1(VALU_DEP_2)
	v_mov_b32_dpp v2, v0 row_half_mirror row_mask:0xf bank_mask:0xf
	v_mov_b32_dpp v3, v1 row_half_mirror row_mask:0xf bank_mask:0xf
	s_delay_alu instid0(VALU_DEP_2) | instskip(NEXT) | instid1(VALU_DEP_2)
	v_cmp_eq_f32_e32 vcc_lo, v0, v2
	v_cmp_lt_i32_e64 s2, v3, v1
	v_cmp_lt_f32_e64 s3, v0, v2
	s_delay_alu instid0(VALU_DEP_2)
	s_and_b32 s2, vcc_lo, s2
	s_delay_alu instid0(VALU_DEP_1) | instid1(SALU_CYCLE_1)
	s_or_b32 vcc_lo, s3, s2
	s_waitcnt lgkmcnt(0)
	s_cmp_gt_i32 s4, 0
	v_cndmask_b32_e32 v2, v0, v2, vcc_lo
	v_cndmask_b32_e32 v0, v1, v3, vcc_lo
	v_cmp_eq_u32_e32 vcc_lo, 0, v25
	s_cselect_b32 s3, -1, 0
	s_cmp_lt_i32 s4, 1
	v_mov_b32_dpp v4, v2 row_mirror row_mask:0xf bank_mask:0xf
	v_mov_b32_dpp v6, v0 row_mirror row_mask:0xf bank_mask:0xf
	s_cbranch_scc1 .LBB306_18
; %bb.7:
	s_load_b128 s[8:11], s[0:1], 0x20
	s_delay_alu instid0(VALU_DEP_2) | instskip(NEXT) | instid1(VALU_DEP_2)
	v_cmp_eq_f32_e64 s0, v2, v4
	v_cmp_lt_i32_e64 s1, v6, v0
	v_cmp_lt_f32_e64 s2, v2, v4
	v_mul_lo_u32 v1, v24, s7
	v_mul_lo_u32 v3, v24, s14
	;; [unrolled: 1-line block ×3, first 2 shown]
	s_and_b32 s0, s0, s1
	v_mov_b32_e32 v27, 0
	s_or_b32 s0, s2, s0
	s_delay_alu instid0(SALU_CYCLE_1)
	v_cndmask_b32_e64 v0, v0, v6, s0
	v_cndmask_b32_e64 v44, v2, v4, s0
	s_and_saveexec_b32 s2, vcc_lo
	s_cbranch_execz .LBB306_9
; %bb.8:
	s_delay_alu instid0(VALU_DEP_1)
	v_sub_f32_e32 v27, v44, v44
	v_cmp_le_i32_e64 s0, s5, v0
	v_cmp_gt_i32_e64 s1, s6, v0
	v_subrev_nc_u32_e32 v51, s5, v0
	v_ashrrev_i32_e32 v6, 31, v5
	v_mul_f32_e32 v2, 0x3fb8aa3b, v27
	s_delay_alu instid0(VALU_DEP_4) | instskip(NEXT) | instid1(SALU_CYCLE_1)
	s_and_b32 s0, s0, s1
	s_and_b32 s0, s17, s0
	s_delay_alu instid0(VALU_DEP_1) | instskip(SKIP_2) | instid1(VALU_DEP_3)
	v_rndne_f32_e32 v47, v2
	v_fma_f32 v4, 0x3fb8aa3b, v27, -v2
	v_lshlrev_b64 v[49:50], 2, v[5:6]
	v_sub_f32_e32 v2, v2, v47
	s_delay_alu instid0(VALU_DEP_3) | instskip(NEXT) | instid1(VALU_DEP_1)
	v_fmamk_f32 v4, v27, 0x32a5705f, v4
	v_add_f32_e32 v4, v2, v4
	v_ashrrev_i32_e32 v2, 31, v1
	s_delay_alu instid0(VALU_DEP_2) | instskip(NEXT) | instid1(VALU_DEP_1)
	v_exp_f32_e32 v52, v4
	v_lshlrev_b64 v[45:46], 2, v[1:2]
	v_ashrrev_i32_e32 v4, 31, v3
	v_cvt_i32_f32_e32 v2, v47
	s_delay_alu instid0(VALU_DEP_2) | instskip(SKIP_2) | instid1(VALU_DEP_1)
	v_lshlrev_b64 v[47:48], 2, v[3:4]
	v_cndmask_b32_e64 v4, 0x200, v51, s0
	v_add_co_u32 v45, s0, s12, v45
	v_add_co_ci_u32_e64 v46, s0, s13, v46, s0
	s_delay_alu instid0(TRANS32_DEP_1) | instskip(SKIP_1) | instid1(VALU_DEP_1)
	v_ldexp_f32 v2, v52, v2
	v_cmp_ngt_f32_e64 s0, 0xc2ce8ed0, v27
	v_cndmask_b32_e64 v2, 0, v2, s0
	s_waitcnt lgkmcnt(0)
	v_add_co_u32 v47, s0, s8, v47
	s_delay_alu instid0(VALU_DEP_1) | instskip(SKIP_1) | instid1(VALU_DEP_1)
	v_add_co_ci_u32_e64 v48, s0, s9, v48, s0
	v_cmp_nlt_f32_e64 s0, 0x42b17218, v27
	v_cndmask_b32_e64 v27, 0x7f800000, v2, s0
	v_add_co_u32 v49, s0, s10, v49
	s_delay_alu instid0(VALU_DEP_1)
	v_add_co_ci_u32_e64 v50, s0, s11, v50, s0
	global_store_b32 v[47:48], v4, off
	global_store_b32 v[45:46], v27, off
	;; [unrolled: 1-line block ×3, first 2 shown]
.LBB306_9:
	s_or_b32 exec_lo, exec_lo, s2
	v_ashrrev_i32_e32 v4, 31, v0
	s_mov_b32 s1, exec_lo
	s_delay_alu instid0(VALU_DEP_1) | instskip(NEXT) | instid1(VALU_DEP_1)
	v_lshrrev_b32_e32 v2, 27, v4
	v_add_nc_u32_e32 v2, v0, v2
	s_delay_alu instid0(VALU_DEP_1) | instskip(NEXT) | instid1(VALU_DEP_1)
	v_ashrrev_i32_e32 v2, 5, v2
	v_lshrrev_b32_e32 v6, 28, v2
	s_delay_alu instid0(VALU_DEP_1) | instskip(NEXT) | instid1(VALU_DEP_1)
	v_add_nc_u32_e32 v6, v2, v6
	v_and_b32_e32 v6, -16, v6
	s_delay_alu instid0(VALU_DEP_1) | instskip(NEXT) | instid1(VALU_DEP_1)
	v_sub_nc_u32_e32 v6, v2, v6
	v_cmpx_eq_u32_e64 v25, v6
	s_cbranch_execz .LBB306_11
; %bb.10:
	v_lshrrev_b32_e32 v4, 23, v4
	v_lshlrev_b32_e32 v2, 5, v2
	s_delay_alu instid0(VALU_DEP_2) | instskip(NEXT) | instid1(VALU_DEP_2)
	v_add_nc_u32_e32 v4, v0, v4
	v_sub_nc_u32_e32 v0, v0, v2
	s_delay_alu instid0(VALU_DEP_2) | instskip(NEXT) | instid1(VALU_DEP_1)
	v_ashrrev_i32_e32 v2, 9, v4
	v_lshl_add_u32 v0, v2, 5, v0
	v_mov_b32_e32 v2, 0xff800000
	s_delay_alu instid0(VALU_DEP_2)
	v_lshl_add_u32 v0, v0, 2, 0
	scratch_store_b32 v0, v2, off
.LBB306_11:
	s_or_b32 exec_lo, exec_lo, s1
	s_cmp_eq_u32 s4, 1
	s_cbranch_scc1 .LBB306_18
; %bb.12:
	s_add_i32 s18, s18, s16
	v_add_nc_u32_e32 v0, 1, v5
	v_add3_u32 v6, s18, v29, v28
	v_add_nc_u32_e32 v2, 1, v3
	v_add_nc_u32_e32 v4, 1, v1
	v_mov_b32_e32 v28, 0xff800000
	s_add_i32 s14, s4, -1
	s_branch .LBB306_14
.LBB306_13:                             ;   in Loop: Header=BB306_14 Depth=1
	s_or_b32 exec_lo, exec_lo, s1
	v_add_nc_u32_e32 v6, s16, v6
	v_add_nc_u32_e32 v0, 1, v0
	v_add_nc_u32_e32 v2, 1, v2
	v_add_nc_u32_e32 v4, 1, v4
	s_add_i32 s14, s14, -1
	s_delay_alu instid0(SALU_CYCLE_1)
	s_cmp_eq_u32 s14, 0
	s_cbranch_scc1 .LBB306_18
.LBB306_14:                             ; =>This Inner Loop Header: Depth=1
	s_clause 0x7
	scratch_load_b128 v[45:48], off, off
	scratch_load_b128 v[49:52], off, off offset:16
	scratch_load_b128 v[53:56], off, off offset:32
	;; [unrolled: 1-line block ×7, first 2 shown]
	s_waitcnt vmcnt(7)
	v_cmp_gt_f32_e64 s0, v46, v45
	s_delay_alu instid0(VALU_DEP_1) | instskip(SKIP_1) | instid1(VALU_DEP_2)
	v_cndmask_b32_e64 v3, v45, v46, s0
	v_cndmask_b32_e64 v1, v26, v30, s0
	v_cmp_gt_f32_e64 s0, v47, v3
	s_delay_alu instid0(VALU_DEP_1) | instskip(NEXT) | instid1(VALU_DEP_3)
	v_cndmask_b32_e64 v3, v3, v47, s0
	v_cndmask_b32_e64 v1, v1, v20, s0
	s_delay_alu instid0(VALU_DEP_2) | instskip(NEXT) | instid1(VALU_DEP_1)
	v_cmp_gt_f32_e64 s0, v48, v3
	v_cndmask_b32_e64 v3, v3, v48, s0
	s_delay_alu instid0(VALU_DEP_3) | instskip(SKIP_1) | instid1(VALU_DEP_2)
	v_cndmask_b32_e64 v1, v1, v21, s0
	s_waitcnt vmcnt(6)
	v_cmp_gt_f32_e64 s0, v49, v3
	s_delay_alu instid0(VALU_DEP_1) | instskip(NEXT) | instid1(VALU_DEP_3)
	v_cndmask_b32_e64 v3, v3, v49, s0
	v_cndmask_b32_e64 v1, v1, v22, s0
	s_delay_alu instid0(VALU_DEP_2) | instskip(NEXT) | instid1(VALU_DEP_1)
	v_cmp_gt_f32_e64 s0, v50, v3
	v_cndmask_b32_e64 v3, v3, v50, s0
	s_delay_alu instid0(VALU_DEP_3) | instskip(NEXT) | instid1(VALU_DEP_2)
	v_cndmask_b32_e64 v1, v1, v16, s0
	v_cmp_gt_f32_e64 s0, v51, v3
	s_delay_alu instid0(VALU_DEP_1) | instskip(NEXT) | instid1(VALU_DEP_3)
	v_cndmask_b32_e64 v3, v3, v51, s0
	v_cndmask_b32_e64 v1, v1, v17, s0
	s_delay_alu instid0(VALU_DEP_2) | instskip(NEXT) | instid1(VALU_DEP_1)
	v_cmp_gt_f32_e64 s0, v52, v3
	v_cndmask_b32_e64 v3, v3, v52, s0
	s_delay_alu instid0(VALU_DEP_3) | instskip(SKIP_1) | instid1(VALU_DEP_2)
	v_cndmask_b32_e64 v1, v1, v18, s0
	s_waitcnt vmcnt(5)
	v_cmp_gt_f32_e64 s0, v53, v3
	s_delay_alu instid0(VALU_DEP_1) | instskip(NEXT) | instid1(VALU_DEP_3)
	v_cndmask_b32_e64 v3, v3, v53, s0
	v_cndmask_b32_e64 v1, v1, v19, s0
	s_delay_alu instid0(VALU_DEP_2) | instskip(NEXT) | instid1(VALU_DEP_1)
	v_cmp_gt_f32_e64 s0, v54, v3
	v_cndmask_b32_e64 v3, v3, v54, s0
	s_delay_alu instid0(VALU_DEP_3) | instskip(NEXT) | instid1(VALU_DEP_2)
	;; [unrolled: 19-line block ×7, first 2 shown]
	v_cndmask_b32_e64 v1, v1, v41, s0
	v_cmp_gt_f32_e64 s0, v75, v3
	s_delay_alu instid0(VALU_DEP_1) | instskip(NEXT) | instid1(VALU_DEP_3)
	v_cndmask_b32_e64 v3, v3, v75, s0
	v_cndmask_b32_e64 v1, v1, v42, s0
	s_delay_alu instid0(VALU_DEP_2) | instskip(NEXT) | instid1(VALU_DEP_1)
	v_cmp_gt_f32_e64 s0, v76, v3
	v_cndmask_b32_e64 v1, v1, v43, s0
	v_cndmask_b32_e64 v3, v3, v76, s0
	s_delay_alu instid0(VALU_DEP_2) | instskip(NEXT) | instid1(VALU_DEP_2)
	v_mov_b32_dpp v5, v1 quad_perm:[1,0,3,2] row_mask:0xf bank_mask:0xf
	v_mov_b32_dpp v29, v3 quad_perm:[1,0,3,2] row_mask:0xf bank_mask:0xf
	s_delay_alu instid0(VALU_DEP_2) | instskip(NEXT) | instid1(VALU_DEP_2)
	v_cmp_lt_i32_e64 s0, v5, v1
	v_cmp_eq_f32_e64 s1, v3, v29
	v_cmp_lt_f32_e64 s2, v3, v29
	s_delay_alu instid0(VALU_DEP_2)
	s_and_b32 s0, s1, s0
	s_delay_alu instid0(VALU_DEP_1) | instid1(SALU_CYCLE_1)
	s_or_b32 s0, s2, s0
	s_delay_alu instid0(SALU_CYCLE_1) | instskip(SKIP_1) | instid1(VALU_DEP_2)
	v_cndmask_b32_e64 v3, v3, v29, s0
	v_cndmask_b32_e64 v1, v1, v5, s0
	v_mov_b32_dpp v5, v3 quad_perm:[2,3,0,1] row_mask:0xf bank_mask:0xf
	s_delay_alu instid0(VALU_DEP_2) | instskip(NEXT) | instid1(VALU_DEP_2)
	v_mov_b32_dpp v29, v1 quad_perm:[2,3,0,1] row_mask:0xf bank_mask:0xf
	v_cmp_eq_f32_e64 s0, v3, v5
	s_delay_alu instid0(VALU_DEP_2) | instskip(SKIP_1) | instid1(VALU_DEP_2)
	v_cmp_lt_i32_e64 s1, v29, v1
	v_cmp_lt_f32_e64 s2, v3, v5
	s_and_b32 s0, s0, s1
	s_delay_alu instid0(VALU_DEP_1) | instid1(SALU_CYCLE_1)
	s_or_b32 s0, s2, s0
	s_delay_alu instid0(SALU_CYCLE_1) | instskip(SKIP_1) | instid1(VALU_DEP_2)
	v_cndmask_b32_e64 v3, v3, v5, s0
	v_cndmask_b32_e64 v5, v1, v29, s0
	v_mov_b32_dpp v1, v3 row_half_mirror row_mask:0xf bank_mask:0xf
	s_delay_alu instid0(VALU_DEP_2) | instskip(NEXT) | instid1(VALU_DEP_2)
	v_mov_b32_dpp v29, v5 row_half_mirror row_mask:0xf bank_mask:0xf
	v_cmp_eq_f32_e64 s0, v3, v1
	s_delay_alu instid0(VALU_DEP_2) | instskip(SKIP_1) | instid1(VALU_DEP_2)
	v_cmp_lt_i32_e64 s1, v29, v5
	v_cmp_lt_f32_e64 s2, v3, v1
	s_and_b32 s0, s0, s1
	s_delay_alu instid0(VALU_DEP_1) | instid1(SALU_CYCLE_1)
	s_or_b32 s0, s2, s0
	s_delay_alu instid0(SALU_CYCLE_1) | instskip(SKIP_1) | instid1(VALU_DEP_2)
	v_cndmask_b32_e64 v1, v3, v1, s0
	v_cndmask_b32_e64 v5, v5, v29, s0
	v_mov_b32_dpp v3, v1 row_mirror row_mask:0xf bank_mask:0xf
	s_delay_alu instid0(VALU_DEP_2) | instskip(NEXT) | instid1(VALU_DEP_2)
	v_mov_b32_dpp v29, v5 row_mirror row_mask:0xf bank_mask:0xf
	v_cmp_eq_f32_e64 s0, v1, v3
	s_delay_alu instid0(VALU_DEP_2) | instskip(SKIP_1) | instid1(VALU_DEP_2)
	v_cmp_lt_i32_e64 s1, v29, v5
	v_cmp_lt_f32_e64 s2, v1, v3
	s_and_b32 s0, s0, s1
	s_delay_alu instid0(VALU_DEP_1) | instid1(SALU_CYCLE_1)
	s_or_b32 s0, s2, s0
	s_delay_alu instid0(SALU_CYCLE_1)
	v_cndmask_b32_e64 v29, v5, v29, s0
	s_and_saveexec_b32 s2, vcc_lo
	s_cbranch_execz .LBB306_16
; %bb.15:                               ;   in Loop: Header=BB306_14 Depth=1
	v_cndmask_b32_e64 v1, v1, v3, s0
	s_delay_alu instid0(VALU_DEP_2) | instskip(SKIP_4) | instid1(VALU_DEP_4)
	v_cmp_le_i32_e64 s0, s5, v29
	v_cmp_gt_i32_e64 s1, s6, v29
	v_ashrrev_i32_e32 v5, 31, v4
	v_subrev_nc_u32_e32 v52, s5, v29
	v_sub_f32_e32 v51, v1, v44
	s_and_b32 s0, s0, s1
	s_delay_alu instid0(SALU_CYCLE_1) | instskip(NEXT) | instid1(VALU_DEP_1)
	s_and_b32 s0, s17, s0
	v_mul_f32_e32 v1, 0x3fb8aa3b, v51
	s_delay_alu instid0(VALU_DEP_1) | instskip(SKIP_1) | instid1(VALU_DEP_2)
	v_fma_f32 v3, 0x3fb8aa3b, v51, -v1
	v_rndne_f32_e32 v45, v1
	v_fmac_f32_e32 v3, 0x32a5705f, v51
	s_delay_alu instid0(VALU_DEP_2) | instskip(SKIP_2) | instid1(VALU_DEP_3)
	v_sub_f32_e32 v1, v1, v45
	v_cvt_i32_f32_e32 v50, v45
	v_lshlrev_b64 v[45:46], 2, v[4:5]
	v_add_f32_e32 v1, v1, v3
	v_ashrrev_i32_e32 v3, 31, v2
	s_delay_alu instid0(VALU_DEP_2) | instskip(SKIP_1) | instid1(VALU_DEP_2)
	v_exp_f32_e32 v49, v1
	v_ashrrev_i32_e32 v1, 31, v0
	v_lshlrev_b64 v[47:48], 2, v[2:3]
	s_waitcnt_depctr 0xfff
	v_ldexp_f32 v3, v49, v50
	v_lshlrev_b64 v[49:50], 2, v[0:1]
	v_cndmask_b32_e64 v1, 0x200, v52, s0
	v_cmp_ngt_f32_e64 s0, 0xc2ce8ed0, v51
	s_delay_alu instid0(VALU_DEP_1) | instskip(SKIP_1) | instid1(VALU_DEP_1)
	v_cndmask_b32_e64 v3, 0, v3, s0
	v_add_co_u32 v45, s0, s12, v45
	v_add_co_ci_u32_e64 v46, s0, s13, v46, s0
	v_cmp_nlt_f32_e64 s0, 0x42b17218, v51
	s_delay_alu instid0(VALU_DEP_1) | instskip(SKIP_2) | instid1(VALU_DEP_1)
	v_cndmask_b32_e64 v3, 0x7f800000, v3, s0
	s_waitcnt lgkmcnt(0)
	v_add_co_u32 v47, s0, s8, v47
	v_add_co_ci_u32_e64 v48, s0, s9, v48, s0
	v_add_co_u32 v49, s0, s10, v49
	v_add_f32_e32 v27, v27, v3
	v_add_co_ci_u32_e64 v50, s0, s11, v50, s0
	global_store_b32 v[45:46], v3, off
	global_store_b32 v[47:48], v1, off
	;; [unrolled: 1-line block ×3, first 2 shown]
.LBB306_16:                             ;   in Loop: Header=BB306_14 Depth=1
	s_or_b32 exec_lo, exec_lo, s2
	s_delay_alu instid0(VALU_DEP_1) | instskip(SKIP_1) | instid1(VALU_DEP_1)
	v_ashrrev_i32_e32 v3, 31, v29
	s_mov_b32 s1, exec_lo
	v_lshrrev_b32_e32 v1, 27, v3
	s_delay_alu instid0(VALU_DEP_1) | instskip(NEXT) | instid1(VALU_DEP_1)
	v_add_nc_u32_e32 v1, v29, v1
	v_ashrrev_i32_e32 v1, 5, v1
	s_delay_alu instid0(VALU_DEP_1) | instskip(NEXT) | instid1(VALU_DEP_1)
	v_lshrrev_b32_e32 v5, 28, v1
	v_add_nc_u32_e32 v5, v1, v5
	s_delay_alu instid0(VALU_DEP_1) | instskip(NEXT) | instid1(VALU_DEP_1)
	v_and_b32_e32 v5, -16, v5
	v_sub_nc_u32_e32 v5, v1, v5
	s_delay_alu instid0(VALU_DEP_1)
	v_cmpx_eq_u32_e64 v25, v5
	s_cbranch_execz .LBB306_13
; %bb.17:                               ;   in Loop: Header=BB306_14 Depth=1
	v_lshrrev_b32_e32 v3, 23, v3
	v_lshlrev_b32_e32 v1, 5, v1
	s_delay_alu instid0(VALU_DEP_2) | instskip(NEXT) | instid1(VALU_DEP_2)
	v_add_nc_u32_e32 v3, v29, v3
	v_sub_nc_u32_e32 v1, v29, v1
	s_delay_alu instid0(VALU_DEP_2) | instskip(NEXT) | instid1(VALU_DEP_1)
	v_ashrrev_i32_e32 v3, 9, v3
	v_lshl_add_u32 v1, v3, 5, v1
	s_delay_alu instid0(VALU_DEP_1)
	v_lshl_add_u32 v1, v1, 2, 0
	scratch_store_b32 v1, v28, off
	s_branch .LBB306_13
.LBB306_18:
	v_cmp_eq_u32_e32 vcc_lo, 0, v25
	v_cmp_neq_f32_e64 s0, 0, v27
	s_delay_alu instid0(VALU_DEP_1) | instskip(NEXT) | instid1(SALU_CYCLE_1)
	s_and_b32 s0, vcc_lo, s0
	s_and_b32 exec_lo, exec_lo, s0
	s_cbranch_execz .LBB306_22
; %bb.19:
	s_and_not1_b32 vcc_lo, exec_lo, s3
	s_cbranch_vccnz .LBB306_22
; %bb.20:
	v_div_scale_f32 v1, null, v27, v27, 1.0
	v_div_scale_f32 v3, vcc_lo, 1.0, v27, 1.0
	s_delay_alu instid0(VALU_DEP_2) | instskip(SKIP_2) | instid1(VALU_DEP_1)
	v_rcp_f32_e32 v2, v1
	s_waitcnt_depctr 0xfff
	v_fma_f32 v0, -v1, v2, 1.0
	v_fmac_f32_e32 v2, v0, v2
	v_mul_lo_u32 v0, v24, s7
	s_delay_alu instid0(VALU_DEP_2) | instskip(NEXT) | instid1(VALU_DEP_1)
	v_mul_f32_e32 v4, v3, v2
	v_fma_f32 v5, -v1, v4, v3
	s_delay_alu instid0(VALU_DEP_1) | instskip(NEXT) | instid1(VALU_DEP_1)
	v_fmac_f32_e32 v4, v5, v2
	v_fma_f32 v3, -v1, v4, v3
	v_ashrrev_i32_e32 v1, 31, v0
	s_delay_alu instid0(VALU_DEP_2) | instskip(NEXT) | instid1(VALU_DEP_2)
	v_div_fmas_f32 v2, v3, v2, v4
	v_lshlrev_b64 v[0:1], 2, v[0:1]
	s_delay_alu instid0(VALU_DEP_2) | instskip(NEXT) | instid1(VALU_DEP_2)
	v_div_fixup_f32 v2, v2, v27, 1.0
	v_add_co_u32 v0, vcc_lo, s12, v0
	s_delay_alu instid0(VALU_DEP_3)
	v_add_co_ci_u32_e32 v1, vcc_lo, s13, v1, vcc_lo
.LBB306_21:                             ; =>This Inner Loop Header: Depth=1
	global_load_b32 v3, v[0:1], off
	s_add_i32 s4, s4, -1
	s_delay_alu instid0(SALU_CYCLE_1)
	s_cmp_lg_u32 s4, 0
	s_waitcnt vmcnt(0)
	v_mul_f32_e32 v3, v2, v3
	global_store_b32 v[0:1], v3, off
	v_add_co_u32 v0, vcc_lo, v0, 4
	v_add_co_ci_u32_e32 v1, vcc_lo, 0, v1, vcc_lo
	s_cbranch_scc1 .LBB306_21
.LBB306_22:
	s_endpgm
	.section	.rodata,"a",@progbits
	.p2align	6, 0x0
	.amdhsa_kernel _ZN4vllm3moe17topkGatingSoftmaxItLi32ELi512ELi2ELi64ELb1ELi8ELNS0_23SharedExpertScoringFuncE1EEEvPKT_PKbPfiPiS9_iiiiii
		.amdhsa_group_segment_fixed_size 0
		.amdhsa_private_segment_fixed_size 144
		.amdhsa_kernarg_size 72
		.amdhsa_user_sgpr_count 15
		.amdhsa_user_sgpr_dispatch_ptr 0
		.amdhsa_user_sgpr_queue_ptr 0
		.amdhsa_user_sgpr_kernarg_segment_ptr 1
		.amdhsa_user_sgpr_dispatch_id 0
		.amdhsa_user_sgpr_private_segment_size 0
		.amdhsa_wavefront_size32 1
		.amdhsa_uses_dynamic_stack 0
		.amdhsa_enable_private_segment 1
		.amdhsa_system_sgpr_workgroup_id_x 1
		.amdhsa_system_sgpr_workgroup_id_y 0
		.amdhsa_system_sgpr_workgroup_id_z 0
		.amdhsa_system_sgpr_workgroup_info 0
		.amdhsa_system_vgpr_workitem_id 1
		.amdhsa_next_free_vgpr 77
		.amdhsa_next_free_sgpr 19
		.amdhsa_reserve_vcc 1
		.amdhsa_float_round_mode_32 0
		.amdhsa_float_round_mode_16_64 0
		.amdhsa_float_denorm_mode_32 3
		.amdhsa_float_denorm_mode_16_64 3
		.amdhsa_dx10_clamp 1
		.amdhsa_ieee_mode 1
		.amdhsa_fp16_overflow 0
		.amdhsa_workgroup_processor_mode 1
		.amdhsa_memory_ordered 1
		.amdhsa_forward_progress 0
		.amdhsa_shared_vgpr_count 0
		.amdhsa_exception_fp_ieee_invalid_op 0
		.amdhsa_exception_fp_denorm_src 0
		.amdhsa_exception_fp_ieee_div_zero 0
		.amdhsa_exception_fp_ieee_overflow 0
		.amdhsa_exception_fp_ieee_underflow 0
		.amdhsa_exception_fp_ieee_inexact 0
		.amdhsa_exception_int_div_zero 0
	.end_amdhsa_kernel
	.section	.text._ZN4vllm3moe17topkGatingSoftmaxItLi32ELi512ELi2ELi64ELb1ELi8ELNS0_23SharedExpertScoringFuncE1EEEvPKT_PKbPfiPiS9_iiiiii,"axG",@progbits,_ZN4vllm3moe17topkGatingSoftmaxItLi32ELi512ELi2ELi64ELb1ELi8ELNS0_23SharedExpertScoringFuncE1EEEvPKT_PKbPfiPiS9_iiiiii,comdat
.Lfunc_end306:
	.size	_ZN4vllm3moe17topkGatingSoftmaxItLi32ELi512ELi2ELi64ELb1ELi8ELNS0_23SharedExpertScoringFuncE1EEEvPKT_PKbPfiPiS9_iiiiii, .Lfunc_end306-_ZN4vllm3moe17topkGatingSoftmaxItLi32ELi512ELi2ELi64ELb1ELi8ELNS0_23SharedExpertScoringFuncE1EEEvPKT_PKbPfiPiS9_iiiiii
                                        ; -- End function
	.section	.AMDGPU.csdata,"",@progbits
; Kernel info:
; codeLenInByte = 4532
; NumSgprs: 21
; NumVgprs: 77
; ScratchSize: 144
; MemoryBound: 0
; FloatMode: 240
; IeeeMode: 1
; LDSByteSize: 0 bytes/workgroup (compile time only)
; SGPRBlocks: 2
; VGPRBlocks: 9
; NumSGPRsForWavesPerEU: 21
; NumVGPRsForWavesPerEU: 77
; Occupancy: 16
; WaveLimiterHint : 0
; COMPUTE_PGM_RSRC2:SCRATCH_EN: 1
; COMPUTE_PGM_RSRC2:USER_SGPR: 15
; COMPUTE_PGM_RSRC2:TRAP_HANDLER: 0
; COMPUTE_PGM_RSRC2:TGID_X_EN: 1
; COMPUTE_PGM_RSRC2:TGID_Y_EN: 0
; COMPUTE_PGM_RSRC2:TGID_Z_EN: 0
; COMPUTE_PGM_RSRC2:TIDIG_COMP_CNT: 1
	.section	.text._ZN4vllm3moe17topkGatingSoftmaxItLi32ELi512ELi2ELi64ELb0ELi8ELNS0_23SharedExpertScoringFuncE1EEEvPKT_PKbPfiPiS9_iiiiii,"axG",@progbits,_ZN4vllm3moe17topkGatingSoftmaxItLi32ELi512ELi2ELi64ELb0ELi8ELNS0_23SharedExpertScoringFuncE1EEEvPKT_PKbPfiPiS9_iiiiii,comdat
	.protected	_ZN4vllm3moe17topkGatingSoftmaxItLi32ELi512ELi2ELi64ELb0ELi8ELNS0_23SharedExpertScoringFuncE1EEEvPKT_PKbPfiPiS9_iiiiii ; -- Begin function _ZN4vllm3moe17topkGatingSoftmaxItLi32ELi512ELi2ELi64ELb0ELi8ELNS0_23SharedExpertScoringFuncE1EEEvPKT_PKbPfiPiS9_iiiiii
	.globl	_ZN4vllm3moe17topkGatingSoftmaxItLi32ELi512ELi2ELi64ELb0ELi8ELNS0_23SharedExpertScoringFuncE1EEEvPKT_PKbPfiPiS9_iiiiii
	.p2align	8
	.type	_ZN4vllm3moe17topkGatingSoftmaxItLi32ELi512ELi2ELi64ELb0ELi8ELNS0_23SharedExpertScoringFuncE1EEEvPKT_PKbPfiPiS9_iiiiii,@function
_ZN4vllm3moe17topkGatingSoftmaxItLi32ELi512ELi2ELi64ELb0ELi8ELNS0_23SharedExpertScoringFuncE1EEEvPKT_PKbPfiPiS9_iiiiii: ; @_ZN4vllm3moe17topkGatingSoftmaxItLi32ELi512ELi2ELi64ELb0ELi8ELNS0_23SharedExpertScoringFuncE1EEEvPKT_PKbPfiPiS9_iiiiii
; %bb.0:
	s_load_b32 s16, s[0:1], 0x18
	v_bfe_u32 v1, v0, 10, 10
	v_and_b32_e32 v0, 0x3ff, v0
	s_lshl_b32 s18, s15, 2
	s_mov_b32 s2, exec_lo
	s_delay_alu instid0(VALU_DEP_2) | instskip(NEXT) | instid1(VALU_DEP_2)
	v_lshlrev_b32_e32 v32, 1, v1
	v_lshrrev_b32_e32 v33, 4, v0
	s_delay_alu instid0(VALU_DEP_1) | instskip(SKIP_1) | instid1(VALU_DEP_1)
	v_add3_u32 v28, s18, v32, v33
	s_waitcnt lgkmcnt(0)
	v_cmpx_gt_i32_e64 s16, v28
	s_cbranch_execz .LBB307_24
; %bb.1:
	s_clause 0x1
	s_load_b128 s[4:7], s[0:1], 0x0
	s_load_b64 s[12:13], s[0:1], 0x10
	s_waitcnt lgkmcnt(0)
	s_cmp_eq_u64 s[6:7], 0
	s_cbranch_scc1 .LBB307_3
; %bb.2:
	v_ashrrev_i32_e32 v2, 31, v28
	v_add_co_u32 v1, vcc_lo, s6, v28
	s_delay_alu instid0(VALU_DEP_2) | instskip(SKIP_3) | instid1(VALU_DEP_1)
	v_add_co_ci_u32_e32 v2, vcc_lo, s7, v2, vcc_lo
	global_load_u8 v1, v[1:2], off
	s_waitcnt vmcnt(0)
	v_and_b32_e32 v1, 1, v1
	v_cmp_eq_u32_e32 vcc_lo, 1, v1
	s_xor_b32 s2, vcc_lo, -1
	s_delay_alu instid0(SALU_CYCLE_1)
	s_or_not1_b32 s17, s2, exec_lo
	s_branch .LBB307_4
.LBB307_3:
	s_mov_b32 s17, -1
.LBB307_4:
	s_load_b64 s[14:15], s[0:1], 0x40
	v_dual_mov_b32 v30, 0 :: v_dual_and_b32 v29, 15, v0
	s_delay_alu instid0(VALU_DEP_1) | instskip(SKIP_2) | instid1(VALU_DEP_1)
	v_lshlrev_b32_e32 v31, 5, v29
	s_waitcnt lgkmcnt(0)
	v_mul_lo_u32 v1, v28, s15
	v_ashrrev_i32_e32 v2, 31, v1
	s_delay_alu instid0(VALU_DEP_1) | instskip(SKIP_1) | instid1(VALU_DEP_2)
	v_lshlrev_b64 v[0:1], 1, v[1:2]
	v_lshlrev_b32_e32 v2, 6, v29
	v_add_co_u32 v0, vcc_lo, s4, v0
	s_delay_alu instid0(VALU_DEP_3) | instskip(SKIP_1) | instid1(VALU_DEP_2)
	v_add_co_ci_u32_e32 v1, vcc_lo, s5, v1, vcc_lo
	s_load_b128 s[4:7], s[0:1], 0x30
	v_add_co_u32 v14, vcc_lo, v0, v2
	s_delay_alu instid0(VALU_DEP_2)
	v_add_co_ci_u32_e32 v15, vcc_lo, 0, v1, vcc_lo
	v_cmp_gt_u32_e32 vcc_lo, 8, v29
	s_clause 0x3
	global_load_b128 v[2:5], v[14:15], off
	global_load_b128 v[6:9], v[14:15], off offset:16
	global_load_b128 v[10:13], v[14:15], off offset:32
	;; [unrolled: 1-line block ×3, first 2 shown]
	s_waitcnt vmcnt(3)
	v_and_b32_e32 v18, 0xffff, v2
	v_lshrrev_b32_e32 v2, 16, v2
	v_and_b32_e32 v19, 0xffff, v3
	v_lshrrev_b32_e32 v3, 16, v3
	;; [unrolled: 2-line block ×4, first 2 shown]
	s_waitcnt vmcnt(2)
	v_and_b32_e32 v34, 0xffff, v6
	v_lshrrev_b32_e32 v6, 16, v6
	v_and_b32_e32 v35, 0xffff, v7
	v_lshrrev_b32_e32 v7, 16, v7
	;; [unrolled: 2-line block ×4, first 2 shown]
	s_waitcnt vmcnt(1)
	v_and_b32_e32 v9, 0xffff, v10
	v_lshrrev_b32_e32 v10, 16, v10
	v_and_b32_e32 v38, 0xffff, v11
	v_lshrrev_b32_e32 v11, 16, v11
	;; [unrolled: 2-line block ×3, first 2 shown]
	v_and_b32_e32 v41, 0xffff, v13
	s_waitcnt vmcnt(0)
	v_and_b32_e32 v46, 0xffff, v15
	v_lshrrev_b32_e32 v15, 16, v15
	v_and_b32_e32 v47, 0xffff, v16
	v_lshrrev_b32_e32 v48, 16, v16
	;; [unrolled: 2-line block ×4, first 2 shown]
	v_lshrrev_b32_e32 v43, 16, v13
	v_cvt_f32_u32_e32 v24, v18
	v_cvt_f32_u32_e32 v25, v2
	;; [unrolled: 1-line block ×32, first 2 shown]
	s_clause 0x7
	scratch_store_b128 off, v[38:41], off offset:112
	scratch_store_b128 off, v[34:37], off offset:96
	;; [unrolled: 1-line block ×7, first 2 shown]
	scratch_store_b128 off, v[24:27], off
	s_and_saveexec_b32 s2, vcc_lo
	s_cbranch_execz .LBB307_6
; %bb.5:
	v_lshlrev_b32_e32 v2, 1, v29
	s_delay_alu instid0(VALU_DEP_1) | instskip(SKIP_4) | instid1(VALU_DEP_1)
	v_add_co_u32 v0, vcc_lo, v0, v2
	v_add_co_ci_u32_e32 v1, vcc_lo, 0, v1, vcc_lo
	global_load_u16 v0, v[0:1], off offset:1024
	s_waitcnt vmcnt(0)
	v_cvt_f32_u32_e32 v0, v0
	v_mul_f32_e32 v1, 0xbfb8aa3b, v0
	v_cmp_nlt_f32_e32 vcc_lo, 0x42ce8ed0, v0
	s_delay_alu instid0(VALU_DEP_2) | instskip(SKIP_1) | instid1(VALU_DEP_1)
	v_fma_f32 v2, 0xbfb8aa3b, v0, -v1
	v_rndne_f32_e32 v3, v1
	v_dual_fmamk_f32 v2, v0, 0xb2a5705f, v2 :: v_dual_sub_f32 v1, v1, v3
	s_delay_alu instid0(VALU_DEP_1) | instskip(SKIP_1) | instid1(VALU_DEP_2)
	v_add_f32_e32 v1, v1, v2
	v_cvt_i32_f32_e32 v2, v3
	v_exp_f32_e32 v1, v1
	s_waitcnt_depctr 0xfff
	v_ldexp_f32 v1, v1, v2
	s_delay_alu instid0(VALU_DEP_1) | instskip(SKIP_1) | instid1(VALU_DEP_2)
	v_cndmask_b32_e32 v1, 0, v1, vcc_lo
	v_cmp_ngt_f32_e32 vcc_lo, 0xc2b17218, v0
	v_cndmask_b32_e32 v0, 0x7f800000, v1, vcc_lo
	s_delay_alu instid0(VALU_DEP_1) | instskip(NEXT) | instid1(VALU_DEP_1)
	v_add_f32_e32 v2, 1.0, v0
	v_div_scale_f32 v1, null, v2, v2, 1.0
	v_div_scale_f32 v5, vcc_lo, 1.0, v2, 1.0
	s_delay_alu instid0(VALU_DEP_2) | instskip(SKIP_2) | instid1(VALU_DEP_1)
	v_rcp_f32_e32 v3, v1
	s_waitcnt_depctr 0xfff
	v_fma_f32 v0, -v1, v3, 1.0
	v_fmac_f32_e32 v3, v0, v3
	s_waitcnt lgkmcnt(0)
	v_mul_lo_u32 v0, v28, s7
	s_delay_alu instid0(VALU_DEP_2) | instskip(NEXT) | instid1(VALU_DEP_2)
	v_mul_f32_e32 v6, v5, v3
	v_add3_u32 v0, v0, s4, v29
	s_delay_alu instid0(VALU_DEP_2) | instskip(NEXT) | instid1(VALU_DEP_1)
	v_fma_f32 v7, -v1, v6, v5
	v_fmac_f32_e32 v6, v7, v3
	s_delay_alu instid0(VALU_DEP_1) | instskip(NEXT) | instid1(VALU_DEP_4)
	v_fma_f32 v5, -v1, v6, v5
	v_ashrrev_i32_e32 v1, 31, v0
	s_delay_alu instid0(VALU_DEP_2) | instskip(NEXT) | instid1(VALU_DEP_2)
	v_div_fmas_f32 v3, v5, v3, v6
	v_lshlrev_b64 v[0:1], 2, v[0:1]
	s_delay_alu instid0(VALU_DEP_2) | instskip(NEXT) | instid1(VALU_DEP_2)
	v_div_fixup_f32 v2, v3, v2, 1.0
	v_add_co_u32 v0, vcc_lo, s12, v0
	s_delay_alu instid0(VALU_DEP_3)
	v_add_co_ci_u32_e32 v1, vcc_lo, s13, v1, vcc_lo
	global_store_b32 v[0:1], v2, off
.LBB307_6:
	s_or_b32 exec_lo, exec_lo, s2
	s_clause 0x2
	scratch_load_b128 v[0:3], off, off offset:84
	scratch_load_b128 v[39:42], off, off offset:100
	scratch_load_b96 v[5:7], off, off offset:116
	v_cmp_lt_f32_e32 vcc_lo, v24, v25
	v_or_b32_e32 v34, 1, v31
	v_or_b32_e32 v37, 24, v31
	;; [unrolled: 1-line block ×4, first 2 shown]
	v_cndmask_b32_e32 v25, v24, v25, vcc_lo
	v_cndmask_b32_e32 v35, v31, v34, vcc_lo
	v_or_b32_e32 v24, 2, v31
	v_or_b32_e32 v44, 31, v31
	s_delay_alu instid0(VALU_DEP_4) | instskip(NEXT) | instid1(VALU_DEP_3)
	v_cmp_lt_f32_e32 vcc_lo, v25, v26
	v_dual_cndmask_b32 v35, v35, v24 :: v_dual_cndmask_b32 v26, v25, v26
	v_or_b32_e32 v25, 3, v31
	s_delay_alu instid0(VALU_DEP_2) | instskip(SKIP_1) | instid1(VALU_DEP_3)
	v_cmp_lt_f32_e32 vcc_lo, v26, v27
	v_cndmask_b32_e32 v27, v26, v27, vcc_lo
	v_cndmask_b32_e32 v35, v35, v25, vcc_lo
	v_or_b32_e32 v26, 4, v31
	s_delay_alu instid0(VALU_DEP_3) | instskip(SKIP_1) | instid1(VALU_DEP_3)
	v_cmp_lt_f32_e32 vcc_lo, v27, v20
	v_cndmask_b32_e32 v27, v27, v20, vcc_lo
	v_cndmask_b32_e32 v35, v35, v26, vcc_lo
	v_or_b32_e32 v20, 5, v31
	s_delay_alu instid0(VALU_DEP_3) | instskip(SKIP_1) | instid1(VALU_DEP_3)
	;; [unrolled: 5-line block ×17, first 2 shown]
	v_cmp_lt_f32_e32 vcc_lo, v27, v4
	v_cndmask_b32_e32 v4, v27, v4, vcc_lo
	v_cndmask_b32_e32 v35, v35, v11, vcc_lo
	v_or_b32_e32 v27, 21, v31
	s_waitcnt vmcnt(2)
	s_delay_alu instid0(VALU_DEP_3) | instskip(SKIP_1) | instid1(VALU_DEP_3)
	v_cmp_lt_f32_e32 vcc_lo, v4, v0
	v_cndmask_b32_e32 v0, v4, v0, vcc_lo
	v_cndmask_b32_e32 v36, v35, v27, vcc_lo
	v_or_b32_e32 v35, 22, v31
	s_delay_alu instid0(VALU_DEP_3) | instskip(SKIP_1) | instid1(VALU_DEP_3)
	v_cmp_lt_f32_e32 vcc_lo, v0, v1
	v_cndmask_b32_e32 v0, v0, v1, vcc_lo
	v_cndmask_b32_e32 v4, v36, v35, vcc_lo
	v_or_b32_e32 v36, 23, v31
	s_delay_alu instid0(VALU_DEP_3) | instskip(SKIP_1) | instid1(VALU_DEP_3)
	v_cmp_lt_f32_e32 vcc_lo, v0, v2
	v_cndmask_b32_e32 v0, v0, v2, vcc_lo
	v_cndmask_b32_e32 v1, v4, v36, vcc_lo
	s_delay_alu instid0(VALU_DEP_2) | instskip(NEXT) | instid1(VALU_DEP_2)
	v_cmp_lt_f32_e32 vcc_lo, v0, v3
	v_dual_cndmask_b32 v1, v1, v37 :: v_dual_cndmask_b32 v0, v0, v3
	s_waitcnt vmcnt(1)
	s_delay_alu instid0(VALU_DEP_1) | instskip(NEXT) | instid1(VALU_DEP_2)
	v_cmp_lt_f32_e32 vcc_lo, v0, v39
	v_dual_cndmask_b32 v0, v0, v39 :: v_dual_cndmask_b32 v1, v1, v38
	v_or_b32_e32 v39, 26, v31
	s_delay_alu instid0(VALU_DEP_2) | instskip(NEXT) | instid1(VALU_DEP_2)
	v_cmp_lt_f32_e32 vcc_lo, v0, v40
	v_dual_cndmask_b32 v0, v0, v40 :: v_dual_cndmask_b32 v1, v1, v39
	v_or_b32_e32 v40, 27, v31
	s_delay_alu instid0(VALU_DEP_2) | instskip(NEXT) | instid1(VALU_DEP_2)
	;; [unrolled: 4-line block ×3, first 2 shown]
	v_cmp_lt_f32_e32 vcc_lo, v0, v42
	v_dual_cndmask_b32 v0, v0, v42 :: v_dual_cndmask_b32 v1, v1, v41
	v_or_b32_e32 v42, 29, v31
	s_waitcnt vmcnt(0)
	s_delay_alu instid0(VALU_DEP_2) | instskip(NEXT) | instid1(VALU_DEP_2)
	v_cmp_lt_f32_e32 vcc_lo, v0, v5
	v_dual_cndmask_b32 v0, v0, v5 :: v_dual_cndmask_b32 v1, v1, v42
	s_delay_alu instid0(VALU_DEP_1) | instskip(NEXT) | instid1(VALU_DEP_2)
	v_cmp_lt_f32_e32 vcc_lo, v0, v6
	v_dual_cndmask_b32 v0, v0, v6 :: v_dual_cndmask_b32 v1, v1, v43
	s_delay_alu instid0(VALU_DEP_1) | instskip(NEXT) | instid1(VALU_DEP_2)
	;; [unrolled: 3-line block ×3, first 2 shown]
	v_mov_b32_dpp v4, v1 quad_perm:[1,0,3,2] row_mask:0xf bank_mask:0xf
	v_mov_b32_dpp v5, v0 quad_perm:[1,0,3,2] row_mask:0xf bank_mask:0xf
	s_delay_alu instid0(VALU_DEP_2) | instskip(NEXT) | instid1(VALU_DEP_2)
	v_cmp_lt_i32_e32 vcc_lo, v4, v1
	v_cmp_eq_f32_e64 s2, v0, v5
	v_cmp_lt_f32_e64 s3, v0, v5
	s_delay_alu instid0(VALU_DEP_2)
	s_and_b32 s2, s2, vcc_lo
	s_delay_alu instid0(VALU_DEP_1) | instid1(SALU_CYCLE_1)
	s_or_b32 vcc_lo, s3, s2
	v_dual_cndmask_b32 v0, v0, v5 :: v_dual_cndmask_b32 v1, v1, v4
	s_delay_alu instid0(VALU_DEP_1) | instskip(NEXT) | instid1(VALU_DEP_2)
	v_mov_b32_dpp v4, v0 quad_perm:[2,3,0,1] row_mask:0xf bank_mask:0xf
	v_mov_b32_dpp v5, v1 quad_perm:[2,3,0,1] row_mask:0xf bank_mask:0xf
	s_delay_alu instid0(VALU_DEP_2) | instskip(NEXT) | instid1(VALU_DEP_2)
	v_cmp_eq_f32_e32 vcc_lo, v0, v4
	v_cmp_lt_i32_e64 s2, v5, v1
	v_cmp_lt_f32_e64 s3, v0, v4
	s_delay_alu instid0(VALU_DEP_2)
	s_and_b32 s2, vcc_lo, s2
	s_delay_alu instid0(VALU_DEP_1) | instid1(SALU_CYCLE_1)
	s_or_b32 vcc_lo, s3, s2
	v_dual_cndmask_b32 v0, v0, v4 :: v_dual_cndmask_b32 v1, v1, v5
	s_delay_alu instid0(VALU_DEP_1) | instskip(NEXT) | instid1(VALU_DEP_2)
	v_mov_b32_dpp v4, v0 row_half_mirror row_mask:0xf bank_mask:0xf
	v_mov_b32_dpp v5, v1 row_half_mirror row_mask:0xf bank_mask:0xf
	s_delay_alu instid0(VALU_DEP_2) | instskip(NEXT) | instid1(VALU_DEP_2)
	v_cmp_eq_f32_e32 vcc_lo, v0, v4
	v_cmp_lt_i32_e64 s2, v5, v1
	v_cmp_lt_f32_e64 s3, v0, v4
	s_delay_alu instid0(VALU_DEP_2)
	s_and_b32 s2, vcc_lo, s2
	s_delay_alu instid0(VALU_DEP_1) | instid1(SALU_CYCLE_1)
	s_or_b32 vcc_lo, s3, s2
	v_cndmask_b32_e32 v6, v0, v4, vcc_lo
	v_cndmask_b32_e32 v0, v1, v5, vcc_lo
	s_delay_alu instid0(VALU_DEP_2) | instskip(NEXT) | instid1(VALU_DEP_2)
	v_mov_b32_dpp v1, v6 row_mirror row_mask:0xf bank_mask:0xf
	v_mov_b32_dpp v4, v0 row_mirror row_mask:0xf bank_mask:0xf
	s_delay_alu instid0(VALU_DEP_2) | instskip(NEXT) | instid1(VALU_DEP_2)
	v_cmp_eq_f32_e32 vcc_lo, v6, v1
	v_cmp_lt_i32_e64 s2, v4, v0
	v_cmp_lt_f32_e64 s3, v6, v1
	s_delay_alu instid0(VALU_DEP_2) | instskip(SKIP_1) | instid1(VALU_DEP_2)
	s_and_b32 s2, vcc_lo, s2
	v_cmp_eq_u32_e32 vcc_lo, 0, v29
	s_or_b32 s2, s3, s2
	s_waitcnt lgkmcnt(0)
	s_cmp_gt_i32 s4, 0
	v_cndmask_b32_e64 v7, v6, v1, s2
	s_cselect_b32 s3, -1, 0
	s_cmp_lt_i32 s4, 1
	s_cbranch_scc1 .LBB307_19
; %bb.7:
	s_load_b128 s[8:11], s[0:1], 0x20
	v_mul_lo_u32 v1, v28, s7
	v_mul_lo_u32 v3, v28, s14
	;; [unrolled: 1-line block ×3, first 2 shown]
	v_cndmask_b32_e64 v0, v0, v4, s2
	v_mov_b32_e32 v30, 0
	s_and_saveexec_b32 s2, vcc_lo
	s_cbranch_execz .LBB307_9
; %bb.8:
	v_sub_f32_e32 v30, v7, v7
	v_cmp_le_i32_e64 s0, s5, v0
	v_cmp_gt_i32_e64 s1, s6, v0
	v_subrev_nc_u32_e32 v51, s5, v0
	v_ashrrev_i32_e32 v6, 31, v5
	v_mul_f32_e32 v2, 0x3fb8aa3b, v30
	s_delay_alu instid0(VALU_DEP_4) | instskip(NEXT) | instid1(SALU_CYCLE_1)
	s_and_b32 s0, s0, s1
	s_and_b32 s0, s17, s0
	s_delay_alu instid0(VALU_DEP_1) | instskip(SKIP_2) | instid1(VALU_DEP_3)
	v_rndne_f32_e32 v47, v2
	v_fma_f32 v4, 0x3fb8aa3b, v30, -v2
	v_lshlrev_b64 v[49:50], 2, v[5:6]
	v_sub_f32_e32 v2, v2, v47
	s_delay_alu instid0(VALU_DEP_3) | instskip(NEXT) | instid1(VALU_DEP_1)
	v_fmamk_f32 v4, v30, 0x32a5705f, v4
	v_add_f32_e32 v4, v2, v4
	v_ashrrev_i32_e32 v2, 31, v1
	s_delay_alu instid0(VALU_DEP_2) | instskip(NEXT) | instid1(VALU_DEP_1)
	v_exp_f32_e32 v52, v4
	v_lshlrev_b64 v[45:46], 2, v[1:2]
	v_ashrrev_i32_e32 v4, 31, v3
	v_cvt_i32_f32_e32 v2, v47
	s_delay_alu instid0(VALU_DEP_2) | instskip(SKIP_2) | instid1(VALU_DEP_1)
	v_lshlrev_b64 v[47:48], 2, v[3:4]
	v_cndmask_b32_e64 v4, 0x200, v51, s0
	v_add_co_u32 v45, s0, s12, v45
	v_add_co_ci_u32_e64 v46, s0, s13, v46, s0
	s_delay_alu instid0(TRANS32_DEP_1) | instskip(SKIP_1) | instid1(VALU_DEP_1)
	v_ldexp_f32 v2, v52, v2
	v_cmp_ngt_f32_e64 s0, 0xc2ce8ed0, v30
	v_cndmask_b32_e64 v2, 0, v2, s0
	s_waitcnt lgkmcnt(0)
	v_add_co_u32 v47, s0, s8, v47
	s_delay_alu instid0(VALU_DEP_1) | instskip(SKIP_1) | instid1(VALU_DEP_1)
	v_add_co_ci_u32_e64 v48, s0, s9, v48, s0
	v_cmp_nlt_f32_e64 s0, 0x42b17218, v30
	v_cndmask_b32_e64 v30, 0x7f800000, v2, s0
	v_add_co_u32 v49, s0, s10, v49
	s_delay_alu instid0(VALU_DEP_1)
	v_add_co_ci_u32_e64 v50, s0, s11, v50, s0
	global_store_b32 v[47:48], v4, off
	global_store_b32 v[45:46], v30, off
	;; [unrolled: 1-line block ×3, first 2 shown]
.LBB307_9:
	s_or_b32 exec_lo, exec_lo, s2
	v_ashrrev_i32_e32 v4, 31, v0
	s_mov_b32 s1, exec_lo
	s_delay_alu instid0(VALU_DEP_1) | instskip(NEXT) | instid1(VALU_DEP_1)
	v_lshrrev_b32_e32 v2, 27, v4
	v_add_nc_u32_e32 v2, v0, v2
	s_delay_alu instid0(VALU_DEP_1) | instskip(NEXT) | instid1(VALU_DEP_1)
	v_ashrrev_i32_e32 v2, 5, v2
	v_lshrrev_b32_e32 v6, 28, v2
	s_delay_alu instid0(VALU_DEP_1) | instskip(NEXT) | instid1(VALU_DEP_1)
	v_add_nc_u32_e32 v6, v2, v6
	v_and_b32_e32 v6, -16, v6
	s_delay_alu instid0(VALU_DEP_1) | instskip(NEXT) | instid1(VALU_DEP_1)
	v_sub_nc_u32_e32 v6, v2, v6
	v_cmpx_eq_u32_e64 v29, v6
	s_cbranch_execz .LBB307_11
; %bb.10:
	v_lshrrev_b32_e32 v4, 23, v4
	v_lshlrev_b32_e32 v2, 5, v2
	s_delay_alu instid0(VALU_DEP_2) | instskip(NEXT) | instid1(VALU_DEP_2)
	v_add_nc_u32_e32 v4, v0, v4
	v_sub_nc_u32_e32 v0, v0, v2
	s_delay_alu instid0(VALU_DEP_2) | instskip(NEXT) | instid1(VALU_DEP_1)
	v_ashrrev_i32_e32 v2, 9, v4
	v_lshl_add_u32 v0, v2, 5, v0
	v_mov_b32_e32 v2, 0xff800000
	s_delay_alu instid0(VALU_DEP_2)
	v_lshl_add_u32 v0, v0, 2, 0
	scratch_store_b32 v0, v2, off
.LBB307_11:
	s_or_b32 exec_lo, exec_lo, s1
	s_cmp_eq_u32 s4, 1
	s_cbranch_scc1 .LBB307_18
; %bb.12:
	s_add_i32 s18, s18, s16
	v_add_nc_u32_e32 v0, 1, v5
	v_add3_u32 v6, s18, v33, v32
	v_add_nc_u32_e32 v2, 1, v3
	v_add_nc_u32_e32 v4, 1, v1
	v_mov_b32_e32 v32, 0xff800000
	s_add_i32 s14, s4, -1
	s_branch .LBB307_14
.LBB307_13:                             ;   in Loop: Header=BB307_14 Depth=1
	s_or_b32 exec_lo, exec_lo, s1
	v_add_nc_u32_e32 v6, s16, v6
	v_add_nc_u32_e32 v0, 1, v0
	v_add_nc_u32_e32 v2, 1, v2
	v_add_nc_u32_e32 v4, 1, v4
	s_add_i32 s14, s14, -1
	s_delay_alu instid0(SALU_CYCLE_1)
	s_cmp_eq_u32 s14, 0
	s_cbranch_scc1 .LBB307_18
.LBB307_14:                             ; =>This Inner Loop Header: Depth=1
	s_clause 0x7
	scratch_load_b128 v[45:48], off, off
	scratch_load_b128 v[49:52], off, off offset:16
	scratch_load_b128 v[53:56], off, off offset:32
	;; [unrolled: 1-line block ×7, first 2 shown]
	s_waitcnt vmcnt(7)
	v_cmp_gt_f32_e64 s0, v46, v45
	s_delay_alu instid0(VALU_DEP_1) | instskip(SKIP_1) | instid1(VALU_DEP_2)
	v_cndmask_b32_e64 v3, v45, v46, s0
	v_cndmask_b32_e64 v1, v31, v34, s0
	v_cmp_gt_f32_e64 s0, v47, v3
	s_delay_alu instid0(VALU_DEP_1) | instskip(NEXT) | instid1(VALU_DEP_3)
	v_cndmask_b32_e64 v3, v3, v47, s0
	v_cndmask_b32_e64 v1, v1, v24, s0
	s_delay_alu instid0(VALU_DEP_2) | instskip(NEXT) | instid1(VALU_DEP_1)
	v_cmp_gt_f32_e64 s0, v48, v3
	v_cndmask_b32_e64 v3, v3, v48, s0
	s_delay_alu instid0(VALU_DEP_3) | instskip(SKIP_1) | instid1(VALU_DEP_2)
	v_cndmask_b32_e64 v1, v1, v25, s0
	s_waitcnt vmcnt(6)
	v_cmp_gt_f32_e64 s0, v49, v3
	s_delay_alu instid0(VALU_DEP_1) | instskip(NEXT) | instid1(VALU_DEP_3)
	v_cndmask_b32_e64 v3, v3, v49, s0
	v_cndmask_b32_e64 v1, v1, v26, s0
	s_delay_alu instid0(VALU_DEP_2) | instskip(NEXT) | instid1(VALU_DEP_1)
	v_cmp_gt_f32_e64 s0, v50, v3
	v_cndmask_b32_e64 v3, v3, v50, s0
	s_delay_alu instid0(VALU_DEP_3) | instskip(NEXT) | instid1(VALU_DEP_2)
	v_cndmask_b32_e64 v1, v1, v20, s0
	v_cmp_gt_f32_e64 s0, v51, v3
	s_delay_alu instid0(VALU_DEP_1) | instskip(NEXT) | instid1(VALU_DEP_3)
	v_cndmask_b32_e64 v3, v3, v51, s0
	v_cndmask_b32_e64 v1, v1, v21, s0
	s_delay_alu instid0(VALU_DEP_2) | instskip(NEXT) | instid1(VALU_DEP_1)
	v_cmp_gt_f32_e64 s0, v52, v3
	v_cndmask_b32_e64 v3, v3, v52, s0
	s_delay_alu instid0(VALU_DEP_3) | instskip(SKIP_1) | instid1(VALU_DEP_2)
	v_cndmask_b32_e64 v1, v1, v22, s0
	s_waitcnt vmcnt(5)
	v_cmp_gt_f32_e64 s0, v53, v3
	s_delay_alu instid0(VALU_DEP_1) | instskip(NEXT) | instid1(VALU_DEP_3)
	v_cndmask_b32_e64 v3, v3, v53, s0
	v_cndmask_b32_e64 v1, v1, v23, s0
	s_delay_alu instid0(VALU_DEP_2) | instskip(NEXT) | instid1(VALU_DEP_1)
	v_cmp_gt_f32_e64 s0, v54, v3
	v_cndmask_b32_e64 v3, v3, v54, s0
	s_delay_alu instid0(VALU_DEP_3) | instskip(NEXT) | instid1(VALU_DEP_2)
	;; [unrolled: 19-line block ×7, first 2 shown]
	v_cndmask_b32_e64 v1, v1, v42, s0
	v_cmp_gt_f32_e64 s0, v75, v3
	s_delay_alu instid0(VALU_DEP_1) | instskip(NEXT) | instid1(VALU_DEP_3)
	v_cndmask_b32_e64 v3, v3, v75, s0
	v_cndmask_b32_e64 v1, v1, v43, s0
	s_delay_alu instid0(VALU_DEP_2) | instskip(NEXT) | instid1(VALU_DEP_1)
	v_cmp_gt_f32_e64 s0, v76, v3
	v_cndmask_b32_e64 v1, v1, v44, s0
	v_cndmask_b32_e64 v3, v3, v76, s0
	s_delay_alu instid0(VALU_DEP_2) | instskip(NEXT) | instid1(VALU_DEP_2)
	v_mov_b32_dpp v5, v1 quad_perm:[1,0,3,2] row_mask:0xf bank_mask:0xf
	v_mov_b32_dpp v33, v3 quad_perm:[1,0,3,2] row_mask:0xf bank_mask:0xf
	s_delay_alu instid0(VALU_DEP_2) | instskip(NEXT) | instid1(VALU_DEP_2)
	v_cmp_lt_i32_e64 s0, v5, v1
	v_cmp_eq_f32_e64 s1, v3, v33
	v_cmp_lt_f32_e64 s2, v3, v33
	s_delay_alu instid0(VALU_DEP_2)
	s_and_b32 s0, s1, s0
	s_delay_alu instid0(VALU_DEP_1) | instid1(SALU_CYCLE_1)
	s_or_b32 s0, s2, s0
	s_delay_alu instid0(SALU_CYCLE_1) | instskip(SKIP_1) | instid1(VALU_DEP_2)
	v_cndmask_b32_e64 v3, v3, v33, s0
	v_cndmask_b32_e64 v1, v1, v5, s0
	v_mov_b32_dpp v5, v3 quad_perm:[2,3,0,1] row_mask:0xf bank_mask:0xf
	s_delay_alu instid0(VALU_DEP_2) | instskip(NEXT) | instid1(VALU_DEP_2)
	v_mov_b32_dpp v33, v1 quad_perm:[2,3,0,1] row_mask:0xf bank_mask:0xf
	v_cmp_eq_f32_e64 s0, v3, v5
	s_delay_alu instid0(VALU_DEP_2) | instskip(SKIP_1) | instid1(VALU_DEP_2)
	v_cmp_lt_i32_e64 s1, v33, v1
	v_cmp_lt_f32_e64 s2, v3, v5
	s_and_b32 s0, s0, s1
	s_delay_alu instid0(VALU_DEP_1) | instid1(SALU_CYCLE_1)
	s_or_b32 s0, s2, s0
	s_delay_alu instid0(SALU_CYCLE_1) | instskip(SKIP_1) | instid1(VALU_DEP_2)
	v_cndmask_b32_e64 v3, v3, v5, s0
	v_cndmask_b32_e64 v5, v1, v33, s0
	v_mov_b32_dpp v1, v3 row_half_mirror row_mask:0xf bank_mask:0xf
	s_delay_alu instid0(VALU_DEP_2) | instskip(NEXT) | instid1(VALU_DEP_2)
	v_mov_b32_dpp v33, v5 row_half_mirror row_mask:0xf bank_mask:0xf
	v_cmp_eq_f32_e64 s0, v3, v1
	s_delay_alu instid0(VALU_DEP_2) | instskip(SKIP_1) | instid1(VALU_DEP_2)
	v_cmp_lt_i32_e64 s1, v33, v5
	v_cmp_lt_f32_e64 s2, v3, v1
	s_and_b32 s0, s0, s1
	s_delay_alu instid0(VALU_DEP_1) | instid1(SALU_CYCLE_1)
	s_or_b32 s0, s2, s0
	s_delay_alu instid0(SALU_CYCLE_1) | instskip(SKIP_1) | instid1(VALU_DEP_2)
	v_cndmask_b32_e64 v1, v3, v1, s0
	v_cndmask_b32_e64 v5, v5, v33, s0
	v_mov_b32_dpp v3, v1 row_mirror row_mask:0xf bank_mask:0xf
	s_delay_alu instid0(VALU_DEP_2) | instskip(NEXT) | instid1(VALU_DEP_2)
	v_mov_b32_dpp v33, v5 row_mirror row_mask:0xf bank_mask:0xf
	v_cmp_eq_f32_e64 s0, v1, v3
	s_delay_alu instid0(VALU_DEP_2) | instskip(SKIP_1) | instid1(VALU_DEP_2)
	v_cmp_lt_i32_e64 s1, v33, v5
	v_cmp_lt_f32_e64 s2, v1, v3
	s_and_b32 s0, s0, s1
	s_delay_alu instid0(VALU_DEP_1) | instid1(SALU_CYCLE_1)
	s_or_b32 s0, s2, s0
	s_delay_alu instid0(SALU_CYCLE_1)
	v_cndmask_b32_e64 v33, v5, v33, s0
	s_and_saveexec_b32 s2, vcc_lo
	s_cbranch_execz .LBB307_16
; %bb.15:                               ;   in Loop: Header=BB307_14 Depth=1
	v_cndmask_b32_e64 v1, v1, v3, s0
	s_delay_alu instid0(VALU_DEP_2) | instskip(SKIP_4) | instid1(VALU_DEP_4)
	v_cmp_le_i32_e64 s0, s5, v33
	v_cmp_gt_i32_e64 s1, s6, v33
	v_ashrrev_i32_e32 v5, 31, v4
	v_subrev_nc_u32_e32 v52, s5, v33
	v_sub_f32_e32 v51, v1, v7
	s_and_b32 s0, s0, s1
	s_delay_alu instid0(SALU_CYCLE_1) | instskip(NEXT) | instid1(VALU_DEP_1)
	s_and_b32 s0, s17, s0
	v_mul_f32_e32 v1, 0x3fb8aa3b, v51
	s_delay_alu instid0(VALU_DEP_1) | instskip(SKIP_1) | instid1(VALU_DEP_2)
	v_fma_f32 v3, 0x3fb8aa3b, v51, -v1
	v_rndne_f32_e32 v45, v1
	v_fmac_f32_e32 v3, 0x32a5705f, v51
	s_delay_alu instid0(VALU_DEP_2) | instskip(SKIP_2) | instid1(VALU_DEP_3)
	v_sub_f32_e32 v1, v1, v45
	v_cvt_i32_f32_e32 v50, v45
	v_lshlrev_b64 v[45:46], 2, v[4:5]
	v_add_f32_e32 v1, v1, v3
	v_ashrrev_i32_e32 v3, 31, v2
	s_delay_alu instid0(VALU_DEP_2) | instskip(SKIP_1) | instid1(VALU_DEP_2)
	v_exp_f32_e32 v49, v1
	v_ashrrev_i32_e32 v1, 31, v0
	v_lshlrev_b64 v[47:48], 2, v[2:3]
	s_waitcnt_depctr 0xfff
	v_ldexp_f32 v3, v49, v50
	v_lshlrev_b64 v[49:50], 2, v[0:1]
	v_cndmask_b32_e64 v1, 0x200, v52, s0
	v_cmp_ngt_f32_e64 s0, 0xc2ce8ed0, v51
	s_delay_alu instid0(VALU_DEP_1) | instskip(SKIP_1) | instid1(VALU_DEP_1)
	v_cndmask_b32_e64 v3, 0, v3, s0
	v_add_co_u32 v45, s0, s12, v45
	v_add_co_ci_u32_e64 v46, s0, s13, v46, s0
	v_cmp_nlt_f32_e64 s0, 0x42b17218, v51
	s_delay_alu instid0(VALU_DEP_1) | instskip(SKIP_2) | instid1(VALU_DEP_1)
	v_cndmask_b32_e64 v3, 0x7f800000, v3, s0
	s_waitcnt lgkmcnt(0)
	v_add_co_u32 v47, s0, s8, v47
	v_add_co_ci_u32_e64 v48, s0, s9, v48, s0
	s_delay_alu instid0(VALU_DEP_3) | instskip(SKIP_1) | instid1(VALU_DEP_1)
	v_add_f32_e32 v30, v30, v3
	v_add_co_u32 v49, s0, s10, v49
	v_add_co_ci_u32_e64 v50, s0, s11, v50, s0
	global_store_b32 v[45:46], v3, off
	global_store_b32 v[47:48], v1, off
	;; [unrolled: 1-line block ×3, first 2 shown]
.LBB307_16:                             ;   in Loop: Header=BB307_14 Depth=1
	s_or_b32 exec_lo, exec_lo, s2
	s_delay_alu instid0(VALU_DEP_1) | instskip(SKIP_1) | instid1(VALU_DEP_1)
	v_ashrrev_i32_e32 v3, 31, v33
	s_mov_b32 s1, exec_lo
	v_lshrrev_b32_e32 v1, 27, v3
	s_delay_alu instid0(VALU_DEP_1) | instskip(NEXT) | instid1(VALU_DEP_1)
	v_add_nc_u32_e32 v1, v33, v1
	v_ashrrev_i32_e32 v1, 5, v1
	s_delay_alu instid0(VALU_DEP_1) | instskip(NEXT) | instid1(VALU_DEP_1)
	v_lshrrev_b32_e32 v5, 28, v1
	v_add_nc_u32_e32 v5, v1, v5
	s_delay_alu instid0(VALU_DEP_1) | instskip(NEXT) | instid1(VALU_DEP_1)
	v_and_b32_e32 v5, -16, v5
	v_sub_nc_u32_e32 v5, v1, v5
	s_delay_alu instid0(VALU_DEP_1)
	v_cmpx_eq_u32_e64 v29, v5
	s_cbranch_execz .LBB307_13
; %bb.17:                               ;   in Loop: Header=BB307_14 Depth=1
	v_lshrrev_b32_e32 v3, 23, v3
	v_lshlrev_b32_e32 v1, 5, v1
	s_delay_alu instid0(VALU_DEP_2) | instskip(NEXT) | instid1(VALU_DEP_2)
	v_add_nc_u32_e32 v3, v33, v3
	v_sub_nc_u32_e32 v1, v33, v1
	s_delay_alu instid0(VALU_DEP_2) | instskip(NEXT) | instid1(VALU_DEP_1)
	v_ashrrev_i32_e32 v3, 9, v3
	v_lshl_add_u32 v1, v3, 5, v1
	s_delay_alu instid0(VALU_DEP_1)
	v_lshl_add_u32 v1, v1, 2, 0
	scratch_store_b32 v1, v32, off
	s_branch .LBB307_13
.LBB307_18:
	scratch_load_b64 v[2:3], off, off offset:92
.LBB307_19:
	scratch_load_b128 v[8:11], off, off
	s_waitcnt vmcnt(0)
	v_sub_f32_e32 v0, v8, v7
	s_delay_alu instid0(VALU_DEP_1) | instskip(NEXT) | instid1(VALU_DEP_1)
	v_mul_f32_e32 v1, 0x3fb8aa3b, v0
	v_fma_f32 v4, 0x3fb8aa3b, v0, -v1
	v_rndne_f32_e32 v5, v1
	s_delay_alu instid0(VALU_DEP_1) | instskip(SKIP_1) | instid1(VALU_DEP_4)
	v_sub_f32_e32 v1, v1, v5
	v_cmp_ngt_f32_e32 vcc_lo, 0xc2ce8ed0, v0
	v_fmac_f32_e32 v4, 0x32a5705f, v0
	s_delay_alu instid0(VALU_DEP_1) | instskip(SKIP_1) | instid1(VALU_DEP_2)
	v_add_f32_e32 v1, v1, v4
	v_cvt_i32_f32_e32 v4, v5
	v_exp_f32_e32 v1, v1
	s_waitcnt_depctr 0xfff
	v_ldexp_f32 v1, v1, v4
	s_delay_alu instid0(VALU_DEP_1) | instskip(SKIP_1) | instid1(VALU_DEP_2)
	v_cndmask_b32_e32 v1, 0, v1, vcc_lo
	v_cmp_nlt_f32_e32 vcc_lo, 0x42b17218, v0
	v_dual_cndmask_b32 v0, 0x7f800000, v1 :: v_dual_sub_f32 v1, v9, v7
	s_delay_alu instid0(VALU_DEP_1) | instskip(SKIP_1) | instid1(VALU_DEP_2)
	v_mul_f32_e32 v4, 0x3fb8aa3b, v1
	v_cmp_ngt_f32_e32 vcc_lo, 0xc2ce8ed0, v1
	v_fma_f32 v5, 0x3fb8aa3b, v1, -v4
	v_rndne_f32_e32 v6, v4
	s_delay_alu instid0(VALU_DEP_1) | instskip(NEXT) | instid1(VALU_DEP_1)
	v_dual_fmac_f32 v5, 0x32a5705f, v1 :: v_dual_sub_f32 v4, v4, v6
	v_add_f32_e32 v4, v4, v5
	v_cvt_i32_f32_e32 v5, v6
	s_delay_alu instid0(VALU_DEP_2) | instskip(SKIP_2) | instid1(VALU_DEP_1)
	v_exp_f32_e32 v4, v4
	s_waitcnt_depctr 0xfff
	v_ldexp_f32 v4, v4, v5
	v_cndmask_b32_e32 v4, 0, v4, vcc_lo
	v_cmp_nlt_f32_e32 vcc_lo, 0x42b17218, v1
	s_delay_alu instid0(VALU_DEP_2) | instskip(NEXT) | instid1(VALU_DEP_1)
	v_cndmask_b32_e32 v1, 0x7f800000, v4, vcc_lo
	v_dual_add_f32 v0, v0, v1 :: v_dual_sub_f32 v1, v10, v7
	s_delay_alu instid0(VALU_DEP_1) | instskip(SKIP_1) | instid1(VALU_DEP_2)
	v_mul_f32_e32 v4, 0x3fb8aa3b, v1
	v_cmp_ngt_f32_e32 vcc_lo, 0xc2ce8ed0, v1
	v_fma_f32 v5, 0x3fb8aa3b, v1, -v4
	v_rndne_f32_e32 v6, v4
	s_delay_alu instid0(VALU_DEP_1) | instskip(NEXT) | instid1(VALU_DEP_1)
	v_dual_fmac_f32 v5, 0x32a5705f, v1 :: v_dual_sub_f32 v4, v4, v6
	v_add_f32_e32 v4, v4, v5
	v_cvt_i32_f32_e32 v5, v6
	s_delay_alu instid0(VALU_DEP_2) | instskip(SKIP_2) | instid1(VALU_DEP_1)
	v_exp_f32_e32 v4, v4
	s_waitcnt_depctr 0xfff
	v_ldexp_f32 v4, v4, v5
	v_cndmask_b32_e32 v4, 0, v4, vcc_lo
	v_cmp_nlt_f32_e32 vcc_lo, 0x42b17218, v1
	s_delay_alu instid0(VALU_DEP_2) | instskip(NEXT) | instid1(VALU_DEP_1)
	v_cndmask_b32_e32 v1, 0x7f800000, v4, vcc_lo
	v_dual_add_f32 v0, v0, v1 :: v_dual_sub_f32 v1, v11, v7
	scratch_load_b128 v[8:11], off, off offset:16
	v_mul_f32_e32 v4, 0x3fb8aa3b, v1
	v_cmp_ngt_f32_e32 vcc_lo, 0xc2ce8ed0, v1
	s_delay_alu instid0(VALU_DEP_2) | instskip(SKIP_1) | instid1(VALU_DEP_1)
	v_fma_f32 v5, 0x3fb8aa3b, v1, -v4
	v_rndne_f32_e32 v6, v4
	v_dual_fmac_f32 v5, 0x32a5705f, v1 :: v_dual_sub_f32 v4, v4, v6
	s_delay_alu instid0(VALU_DEP_1) | instskip(SKIP_1) | instid1(VALU_DEP_2)
	v_add_f32_e32 v4, v4, v5
	v_cvt_i32_f32_e32 v5, v6
	v_exp_f32_e32 v4, v4
	s_waitcnt_depctr 0xfff
	v_ldexp_f32 v4, v4, v5
	s_delay_alu instid0(VALU_DEP_1) | instskip(SKIP_1) | instid1(VALU_DEP_2)
	v_cndmask_b32_e32 v4, 0, v4, vcc_lo
	v_cmp_nlt_f32_e32 vcc_lo, 0x42b17218, v1
	v_cndmask_b32_e32 v1, 0x7f800000, v4, vcc_lo
	s_delay_alu instid0(VALU_DEP_1) | instskip(SKIP_2) | instid1(VALU_DEP_1)
	v_add_f32_e32 v0, v0, v1
	s_waitcnt vmcnt(0)
	v_sub_f32_e32 v1, v8, v7
	v_mul_f32_e32 v4, 0x3fb8aa3b, v1
	v_cmp_ngt_f32_e32 vcc_lo, 0xc2ce8ed0, v1
	s_delay_alu instid0(VALU_DEP_2) | instskip(SKIP_1) | instid1(VALU_DEP_1)
	v_fma_f32 v5, 0x3fb8aa3b, v1, -v4
	v_rndne_f32_e32 v6, v4
	v_dual_fmac_f32 v5, 0x32a5705f, v1 :: v_dual_sub_f32 v4, v4, v6
	s_delay_alu instid0(VALU_DEP_1) | instskip(SKIP_1) | instid1(VALU_DEP_2)
	v_add_f32_e32 v4, v4, v5
	v_cvt_i32_f32_e32 v5, v6
	v_exp_f32_e32 v4, v4
	s_waitcnt_depctr 0xfff
	v_ldexp_f32 v4, v4, v5
	s_delay_alu instid0(VALU_DEP_1) | instskip(SKIP_1) | instid1(VALU_DEP_2)
	v_cndmask_b32_e32 v4, 0, v4, vcc_lo
	v_cmp_nlt_f32_e32 vcc_lo, 0x42b17218, v1
	v_cndmask_b32_e32 v1, 0x7f800000, v4, vcc_lo
	s_delay_alu instid0(VALU_DEP_1) | instskip(NEXT) | instid1(VALU_DEP_1)
	v_dual_add_f32 v0, v0, v1 :: v_dual_sub_f32 v1, v9, v7
	v_mul_f32_e32 v4, 0x3fb8aa3b, v1
	v_cmp_ngt_f32_e32 vcc_lo, 0xc2ce8ed0, v1
	s_delay_alu instid0(VALU_DEP_2) | instskip(SKIP_1) | instid1(VALU_DEP_1)
	v_fma_f32 v5, 0x3fb8aa3b, v1, -v4
	v_rndne_f32_e32 v6, v4
	v_dual_fmac_f32 v5, 0x32a5705f, v1 :: v_dual_sub_f32 v4, v4, v6
	s_delay_alu instid0(VALU_DEP_1) | instskip(SKIP_1) | instid1(VALU_DEP_2)
	v_add_f32_e32 v4, v4, v5
	v_cvt_i32_f32_e32 v5, v6
	v_exp_f32_e32 v4, v4
	s_waitcnt_depctr 0xfff
	v_ldexp_f32 v4, v4, v5
	s_delay_alu instid0(VALU_DEP_1) | instskip(SKIP_1) | instid1(VALU_DEP_2)
	v_cndmask_b32_e32 v4, 0, v4, vcc_lo
	v_cmp_nlt_f32_e32 vcc_lo, 0x42b17218, v1
	v_cndmask_b32_e32 v1, 0x7f800000, v4, vcc_lo
	s_delay_alu instid0(VALU_DEP_1) | instskip(NEXT) | instid1(VALU_DEP_1)
	v_dual_add_f32 v0, v0, v1 :: v_dual_sub_f32 v1, v10, v7
	v_mul_f32_e32 v4, 0x3fb8aa3b, v1
	v_cmp_ngt_f32_e32 vcc_lo, 0xc2ce8ed0, v1
	s_delay_alu instid0(VALU_DEP_2) | instskip(SKIP_1) | instid1(VALU_DEP_1)
	v_fma_f32 v5, 0x3fb8aa3b, v1, -v4
	v_rndne_f32_e32 v6, v4
	v_dual_fmac_f32 v5, 0x32a5705f, v1 :: v_dual_sub_f32 v4, v4, v6
	s_delay_alu instid0(VALU_DEP_1) | instskip(SKIP_1) | instid1(VALU_DEP_2)
	v_add_f32_e32 v4, v4, v5
	v_cvt_i32_f32_e32 v5, v6
	v_exp_f32_e32 v4, v4
	s_waitcnt_depctr 0xfff
	v_ldexp_f32 v4, v4, v5
	s_delay_alu instid0(VALU_DEP_1) | instskip(SKIP_1) | instid1(VALU_DEP_2)
	v_cndmask_b32_e32 v4, 0, v4, vcc_lo
	v_cmp_nlt_f32_e32 vcc_lo, 0x42b17218, v1
	v_cndmask_b32_e32 v1, 0x7f800000, v4, vcc_lo
	s_delay_alu instid0(VALU_DEP_1) | instskip(SKIP_3) | instid1(VALU_DEP_2)
	v_dual_add_f32 v0, v0, v1 :: v_dual_sub_f32 v1, v11, v7
	scratch_load_b128 v[8:11], off, off offset:32
	v_mul_f32_e32 v4, 0x3fb8aa3b, v1
	v_cmp_ngt_f32_e32 vcc_lo, 0xc2ce8ed0, v1
	v_fma_f32 v5, 0x3fb8aa3b, v1, -v4
	v_rndne_f32_e32 v6, v4
	s_delay_alu instid0(VALU_DEP_1) | instskip(NEXT) | instid1(VALU_DEP_1)
	v_dual_fmac_f32 v5, 0x32a5705f, v1 :: v_dual_sub_f32 v4, v4, v6
	v_add_f32_e32 v4, v4, v5
	v_cvt_i32_f32_e32 v5, v6
	s_delay_alu instid0(VALU_DEP_2) | instskip(SKIP_2) | instid1(VALU_DEP_1)
	v_exp_f32_e32 v4, v4
	s_waitcnt_depctr 0xfff
	v_ldexp_f32 v4, v4, v5
	v_cndmask_b32_e32 v4, 0, v4, vcc_lo
	v_cmp_nlt_f32_e32 vcc_lo, 0x42b17218, v1
	s_delay_alu instid0(VALU_DEP_2) | instskip(NEXT) | instid1(VALU_DEP_1)
	v_cndmask_b32_e32 v1, 0x7f800000, v4, vcc_lo
	v_add_f32_e32 v0, v0, v1
	s_waitcnt vmcnt(0)
	v_sub_f32_e32 v1, v8, v7
	s_delay_alu instid0(VALU_DEP_1) | instskip(SKIP_1) | instid1(VALU_DEP_2)
	v_mul_f32_e32 v4, 0x3fb8aa3b, v1
	v_cmp_ngt_f32_e32 vcc_lo, 0xc2ce8ed0, v1
	v_fma_f32 v5, 0x3fb8aa3b, v1, -v4
	v_rndne_f32_e32 v6, v4
	s_delay_alu instid0(VALU_DEP_1) | instskip(NEXT) | instid1(VALU_DEP_1)
	v_dual_fmac_f32 v5, 0x32a5705f, v1 :: v_dual_sub_f32 v4, v4, v6
	v_add_f32_e32 v4, v4, v5
	v_cvt_i32_f32_e32 v5, v6
	s_delay_alu instid0(VALU_DEP_2) | instskip(SKIP_2) | instid1(VALU_DEP_1)
	v_exp_f32_e32 v4, v4
	s_waitcnt_depctr 0xfff
	v_ldexp_f32 v4, v4, v5
	v_cndmask_b32_e32 v4, 0, v4, vcc_lo
	v_cmp_nlt_f32_e32 vcc_lo, 0x42b17218, v1
	s_delay_alu instid0(VALU_DEP_2) | instskip(NEXT) | instid1(VALU_DEP_1)
	v_cndmask_b32_e32 v1, 0x7f800000, v4, vcc_lo
	v_dual_add_f32 v0, v0, v1 :: v_dual_sub_f32 v1, v9, v7
	s_delay_alu instid0(VALU_DEP_1) | instskip(SKIP_1) | instid1(VALU_DEP_2)
	v_mul_f32_e32 v4, 0x3fb8aa3b, v1
	v_cmp_ngt_f32_e32 vcc_lo, 0xc2ce8ed0, v1
	v_fma_f32 v5, 0x3fb8aa3b, v1, -v4
	v_rndne_f32_e32 v6, v4
	s_delay_alu instid0(VALU_DEP_1) | instskip(NEXT) | instid1(VALU_DEP_1)
	v_dual_fmac_f32 v5, 0x32a5705f, v1 :: v_dual_sub_f32 v4, v4, v6
	v_add_f32_e32 v4, v4, v5
	v_cvt_i32_f32_e32 v5, v6
	s_delay_alu instid0(VALU_DEP_2) | instskip(SKIP_2) | instid1(VALU_DEP_1)
	v_exp_f32_e32 v4, v4
	s_waitcnt_depctr 0xfff
	v_ldexp_f32 v4, v4, v5
	v_cndmask_b32_e32 v4, 0, v4, vcc_lo
	v_cmp_nlt_f32_e32 vcc_lo, 0x42b17218, v1
	s_delay_alu instid0(VALU_DEP_2) | instskip(NEXT) | instid1(VALU_DEP_1)
	v_cndmask_b32_e32 v1, 0x7f800000, v4, vcc_lo
	v_dual_add_f32 v0, v0, v1 :: v_dual_sub_f32 v1, v10, v7
	;; [unrolled: 18-line block ×3, first 2 shown]
	scratch_load_b128 v[8:11], off, off offset:48
	v_mul_f32_e32 v4, 0x3fb8aa3b, v1
	v_cmp_ngt_f32_e32 vcc_lo, 0xc2ce8ed0, v1
	s_delay_alu instid0(VALU_DEP_2) | instskip(SKIP_1) | instid1(VALU_DEP_1)
	v_fma_f32 v5, 0x3fb8aa3b, v1, -v4
	v_rndne_f32_e32 v6, v4
	v_dual_fmac_f32 v5, 0x32a5705f, v1 :: v_dual_sub_f32 v4, v4, v6
	s_delay_alu instid0(VALU_DEP_1) | instskip(SKIP_1) | instid1(VALU_DEP_2)
	v_add_f32_e32 v4, v4, v5
	v_cvt_i32_f32_e32 v5, v6
	v_exp_f32_e32 v4, v4
	s_waitcnt_depctr 0xfff
	v_ldexp_f32 v4, v4, v5
	s_delay_alu instid0(VALU_DEP_1) | instskip(SKIP_1) | instid1(VALU_DEP_2)
	v_cndmask_b32_e32 v4, 0, v4, vcc_lo
	v_cmp_nlt_f32_e32 vcc_lo, 0x42b17218, v1
	v_cndmask_b32_e32 v1, 0x7f800000, v4, vcc_lo
	s_delay_alu instid0(VALU_DEP_1) | instskip(SKIP_2) | instid1(VALU_DEP_1)
	v_add_f32_e32 v0, v0, v1
	s_waitcnt vmcnt(0)
	v_sub_f32_e32 v1, v8, v7
	v_mul_f32_e32 v4, 0x3fb8aa3b, v1
	v_cmp_ngt_f32_e32 vcc_lo, 0xc2ce8ed0, v1
	s_delay_alu instid0(VALU_DEP_2) | instskip(SKIP_1) | instid1(VALU_DEP_1)
	v_fma_f32 v5, 0x3fb8aa3b, v1, -v4
	v_rndne_f32_e32 v6, v4
	v_dual_fmac_f32 v5, 0x32a5705f, v1 :: v_dual_sub_f32 v4, v4, v6
	s_delay_alu instid0(VALU_DEP_1) | instskip(SKIP_1) | instid1(VALU_DEP_2)
	v_add_f32_e32 v4, v4, v5
	v_cvt_i32_f32_e32 v5, v6
	v_exp_f32_e32 v4, v4
	s_waitcnt_depctr 0xfff
	v_ldexp_f32 v4, v4, v5
	s_delay_alu instid0(VALU_DEP_1) | instskip(SKIP_1) | instid1(VALU_DEP_2)
	v_cndmask_b32_e32 v4, 0, v4, vcc_lo
	v_cmp_nlt_f32_e32 vcc_lo, 0x42b17218, v1
	v_cndmask_b32_e32 v1, 0x7f800000, v4, vcc_lo
	s_delay_alu instid0(VALU_DEP_1) | instskip(NEXT) | instid1(VALU_DEP_1)
	v_dual_add_f32 v0, v0, v1 :: v_dual_sub_f32 v1, v9, v7
	v_mul_f32_e32 v4, 0x3fb8aa3b, v1
	v_cmp_ngt_f32_e32 vcc_lo, 0xc2ce8ed0, v1
	s_delay_alu instid0(VALU_DEP_2) | instskip(SKIP_1) | instid1(VALU_DEP_1)
	v_fma_f32 v5, 0x3fb8aa3b, v1, -v4
	v_rndne_f32_e32 v6, v4
	v_dual_fmac_f32 v5, 0x32a5705f, v1 :: v_dual_sub_f32 v4, v4, v6
	s_delay_alu instid0(VALU_DEP_1) | instskip(SKIP_1) | instid1(VALU_DEP_2)
	v_add_f32_e32 v4, v4, v5
	v_cvt_i32_f32_e32 v5, v6
	v_exp_f32_e32 v4, v4
	s_waitcnt_depctr 0xfff
	v_ldexp_f32 v4, v4, v5
	s_delay_alu instid0(VALU_DEP_1) | instskip(SKIP_1) | instid1(VALU_DEP_2)
	v_cndmask_b32_e32 v4, 0, v4, vcc_lo
	v_cmp_nlt_f32_e32 vcc_lo, 0x42b17218, v1
	v_cndmask_b32_e32 v1, 0x7f800000, v4, vcc_lo
	s_delay_alu instid0(VALU_DEP_1) | instskip(NEXT) | instid1(VALU_DEP_1)
	v_dual_add_f32 v0, v0, v1 :: v_dual_sub_f32 v1, v10, v7
	v_mul_f32_e32 v4, 0x3fb8aa3b, v1
	v_cmp_ngt_f32_e32 vcc_lo, 0xc2ce8ed0, v1
	s_delay_alu instid0(VALU_DEP_2) | instskip(SKIP_1) | instid1(VALU_DEP_1)
	v_fma_f32 v5, 0x3fb8aa3b, v1, -v4
	v_rndne_f32_e32 v6, v4
	v_dual_fmac_f32 v5, 0x32a5705f, v1 :: v_dual_sub_f32 v4, v4, v6
	s_delay_alu instid0(VALU_DEP_1) | instskip(SKIP_1) | instid1(VALU_DEP_2)
	v_add_f32_e32 v4, v4, v5
	v_cvt_i32_f32_e32 v5, v6
	v_exp_f32_e32 v4, v4
	s_waitcnt_depctr 0xfff
	v_ldexp_f32 v4, v4, v5
	s_delay_alu instid0(VALU_DEP_1) | instskip(SKIP_1) | instid1(VALU_DEP_2)
	v_cndmask_b32_e32 v4, 0, v4, vcc_lo
	v_cmp_nlt_f32_e32 vcc_lo, 0x42b17218, v1
	v_cndmask_b32_e32 v1, 0x7f800000, v4, vcc_lo
	s_delay_alu instid0(VALU_DEP_1) | instskip(SKIP_3) | instid1(VALU_DEP_2)
	v_dual_add_f32 v0, v0, v1 :: v_dual_sub_f32 v1, v11, v7
	scratch_load_b128 v[8:11], off, off offset:64
	v_mul_f32_e32 v4, 0x3fb8aa3b, v1
	v_cmp_ngt_f32_e32 vcc_lo, 0xc2ce8ed0, v1
	v_fma_f32 v5, 0x3fb8aa3b, v1, -v4
	v_rndne_f32_e32 v6, v4
	s_delay_alu instid0(VALU_DEP_1) | instskip(NEXT) | instid1(VALU_DEP_1)
	v_dual_fmac_f32 v5, 0x32a5705f, v1 :: v_dual_sub_f32 v4, v4, v6
	v_add_f32_e32 v4, v4, v5
	v_cvt_i32_f32_e32 v5, v6
	s_delay_alu instid0(VALU_DEP_2) | instskip(SKIP_2) | instid1(VALU_DEP_1)
	v_exp_f32_e32 v4, v4
	s_waitcnt_depctr 0xfff
	v_ldexp_f32 v4, v4, v5
	v_cndmask_b32_e32 v4, 0, v4, vcc_lo
	v_cmp_nlt_f32_e32 vcc_lo, 0x42b17218, v1
	s_delay_alu instid0(VALU_DEP_2) | instskip(NEXT) | instid1(VALU_DEP_1)
	v_cndmask_b32_e32 v1, 0x7f800000, v4, vcc_lo
	v_add_f32_e32 v0, v0, v1
	s_waitcnt vmcnt(0)
	v_sub_f32_e32 v1, v8, v7
	s_delay_alu instid0(VALU_DEP_1) | instskip(SKIP_1) | instid1(VALU_DEP_2)
	v_mul_f32_e32 v4, 0x3fb8aa3b, v1
	v_cmp_ngt_f32_e32 vcc_lo, 0xc2ce8ed0, v1
	v_fma_f32 v5, 0x3fb8aa3b, v1, -v4
	v_rndne_f32_e32 v6, v4
	s_delay_alu instid0(VALU_DEP_1) | instskip(NEXT) | instid1(VALU_DEP_1)
	v_dual_fmac_f32 v5, 0x32a5705f, v1 :: v_dual_sub_f32 v4, v4, v6
	v_add_f32_e32 v4, v4, v5
	v_cvt_i32_f32_e32 v5, v6
	s_delay_alu instid0(VALU_DEP_2) | instskip(SKIP_2) | instid1(VALU_DEP_1)
	v_exp_f32_e32 v4, v4
	s_waitcnt_depctr 0xfff
	v_ldexp_f32 v4, v4, v5
	v_cndmask_b32_e32 v4, 0, v4, vcc_lo
	v_cmp_nlt_f32_e32 vcc_lo, 0x42b17218, v1
	s_delay_alu instid0(VALU_DEP_2) | instskip(NEXT) | instid1(VALU_DEP_1)
	v_cndmask_b32_e32 v1, 0x7f800000, v4, vcc_lo
	v_dual_add_f32 v0, v0, v1 :: v_dual_sub_f32 v1, v9, v7
	s_delay_alu instid0(VALU_DEP_1) | instskip(SKIP_1) | instid1(VALU_DEP_2)
	v_mul_f32_e32 v4, 0x3fb8aa3b, v1
	v_cmp_ngt_f32_e32 vcc_lo, 0xc2ce8ed0, v1
	v_fma_f32 v5, 0x3fb8aa3b, v1, -v4
	v_rndne_f32_e32 v6, v4
	s_delay_alu instid0(VALU_DEP_1) | instskip(NEXT) | instid1(VALU_DEP_1)
	v_dual_fmac_f32 v5, 0x32a5705f, v1 :: v_dual_sub_f32 v4, v4, v6
	v_add_f32_e32 v4, v4, v5
	v_cvt_i32_f32_e32 v5, v6
	s_delay_alu instid0(VALU_DEP_2) | instskip(SKIP_2) | instid1(VALU_DEP_1)
	v_exp_f32_e32 v4, v4
	s_waitcnt_depctr 0xfff
	v_ldexp_f32 v4, v4, v5
	v_cndmask_b32_e32 v4, 0, v4, vcc_lo
	v_cmp_nlt_f32_e32 vcc_lo, 0x42b17218, v1
	s_delay_alu instid0(VALU_DEP_2) | instskip(NEXT) | instid1(VALU_DEP_1)
	v_cndmask_b32_e32 v1, 0x7f800000, v4, vcc_lo
	v_dual_add_f32 v0, v0, v1 :: v_dual_sub_f32 v1, v10, v7
	;; [unrolled: 18-line block ×3, first 2 shown]
	s_delay_alu instid0(VALU_DEP_1) | instskip(SKIP_1) | instid1(VALU_DEP_2)
	v_mul_f32_e32 v4, 0x3fb8aa3b, v1
	v_cmp_ngt_f32_e32 vcc_lo, 0xc2ce8ed0, v1
	v_fma_f32 v5, 0x3fb8aa3b, v1, -v4
	v_rndne_f32_e32 v6, v4
	s_delay_alu instid0(VALU_DEP_1) | instskip(NEXT) | instid1(VALU_DEP_1)
	v_dual_fmac_f32 v5, 0x32a5705f, v1 :: v_dual_sub_f32 v4, v4, v6
	v_add_f32_e32 v4, v4, v5
	v_cvt_i32_f32_e32 v5, v6
	s_delay_alu instid0(VALU_DEP_2) | instskip(SKIP_2) | instid1(VALU_DEP_1)
	v_exp_f32_e32 v4, v4
	s_waitcnt_depctr 0xfff
	v_ldexp_f32 v4, v4, v5
	v_cndmask_b32_e32 v4, 0, v4, vcc_lo
	v_cmp_nlt_f32_e32 vcc_lo, 0x42b17218, v1
	s_delay_alu instid0(VALU_DEP_2) | instskip(SKIP_4) | instid1(VALU_DEP_1)
	v_cndmask_b32_e32 v1, 0x7f800000, v4, vcc_lo
	scratch_load_b96 v[4:6], off, off offset:80
	v_add_f32_e32 v0, v0, v1
	s_waitcnt vmcnt(0)
	v_sub_f32_e32 v1, v4, v7
	v_mul_f32_e32 v4, 0x3fb8aa3b, v1
	v_cmp_ngt_f32_e32 vcc_lo, 0xc2ce8ed0, v1
	s_delay_alu instid0(VALU_DEP_2) | instskip(SKIP_1) | instid1(VALU_DEP_2)
	v_fma_f32 v8, 0x3fb8aa3b, v1, -v4
	v_rndne_f32_e32 v9, v4
	v_fmac_f32_e32 v8, 0x32a5705f, v1
	s_delay_alu instid0(VALU_DEP_2) | instskip(NEXT) | instid1(VALU_DEP_1)
	v_sub_f32_e32 v4, v4, v9
	v_add_f32_e32 v4, v4, v8
	v_cvt_i32_f32_e32 v8, v9
	s_delay_alu instid0(VALU_DEP_2) | instskip(SKIP_2) | instid1(VALU_DEP_1)
	v_exp_f32_e32 v4, v4
	s_waitcnt_depctr 0xfff
	v_ldexp_f32 v4, v4, v8
	v_cndmask_b32_e32 v4, 0, v4, vcc_lo
	v_cmp_nlt_f32_e32 vcc_lo, 0x42b17218, v1
	s_delay_alu instid0(VALU_DEP_2) | instskip(NEXT) | instid1(VALU_DEP_1)
	v_cndmask_b32_e32 v1, 0x7f800000, v4, vcc_lo
	v_dual_add_f32 v0, v0, v1 :: v_dual_sub_f32 v1, v5, v7
	s_delay_alu instid0(VALU_DEP_1) | instskip(SKIP_1) | instid1(VALU_DEP_2)
	v_mul_f32_e32 v4, 0x3fb8aa3b, v1
	v_cmp_ngt_f32_e32 vcc_lo, 0xc2ce8ed0, v1
	v_fma_f32 v5, 0x3fb8aa3b, v1, -v4
	v_rndne_f32_e32 v8, v4
	s_delay_alu instid0(VALU_DEP_1) | instskip(NEXT) | instid1(VALU_DEP_1)
	v_dual_fmac_f32 v5, 0x32a5705f, v1 :: v_dual_sub_f32 v4, v4, v8
	v_add_f32_e32 v4, v4, v5
	v_cvt_i32_f32_e32 v5, v8
	s_delay_alu instid0(VALU_DEP_2) | instskip(SKIP_2) | instid1(VALU_DEP_1)
	v_exp_f32_e32 v4, v4
	s_waitcnt_depctr 0xfff
	v_ldexp_f32 v4, v4, v5
	v_cndmask_b32_e32 v4, 0, v4, vcc_lo
	v_cmp_nlt_f32_e32 vcc_lo, 0x42b17218, v1
	s_delay_alu instid0(VALU_DEP_2) | instskip(NEXT) | instid1(VALU_DEP_1)
	v_cndmask_b32_e32 v1, 0x7f800000, v4, vcc_lo
	v_dual_add_f32 v0, v0, v1 :: v_dual_sub_f32 v1, v6, v7
	s_delay_alu instid0(VALU_DEP_1) | instskip(SKIP_1) | instid1(VALU_DEP_2)
	v_mul_f32_e32 v4, 0x3fb8aa3b, v1
	v_cmp_ngt_f32_e32 vcc_lo, 0xc2ce8ed0, v1
	v_fma_f32 v5, 0x3fb8aa3b, v1, -v4
	v_rndne_f32_e32 v6, v4
	s_delay_alu instid0(VALU_DEP_1) | instskip(NEXT) | instid1(VALU_DEP_1)
	v_dual_fmac_f32 v5, 0x32a5705f, v1 :: v_dual_sub_f32 v4, v4, v6
	v_add_f32_e32 v4, v4, v5
	v_cvt_i32_f32_e32 v5, v6
	s_delay_alu instid0(VALU_DEP_2) | instskip(SKIP_2) | instid1(VALU_DEP_1)
	v_exp_f32_e32 v4, v4
	s_waitcnt_depctr 0xfff
	v_ldexp_f32 v4, v4, v5
	v_cndmask_b32_e32 v4, 0, v4, vcc_lo
	v_cmp_nlt_f32_e32 vcc_lo, 0x42b17218, v1
	s_delay_alu instid0(VALU_DEP_2) | instskip(NEXT) | instid1(VALU_DEP_1)
	v_cndmask_b32_e32 v1, 0x7f800000, v4, vcc_lo
	v_dual_add_f32 v0, v0, v1 :: v_dual_sub_f32 v1, v2, v7
	s_delay_alu instid0(VALU_DEP_1) | instskip(SKIP_1) | instid1(VALU_DEP_2)
	v_mul_f32_e32 v2, 0x3fb8aa3b, v1
	v_cmp_ngt_f32_e32 vcc_lo, 0xc2ce8ed0, v1
	v_fma_f32 v4, 0x3fb8aa3b, v1, -v2
	v_rndne_f32_e32 v5, v2
	s_delay_alu instid0(VALU_DEP_2) | instskip(NEXT) | instid1(VALU_DEP_2)
	v_fmac_f32_e32 v4, 0x32a5705f, v1
	v_sub_f32_e32 v2, v2, v5
	s_delay_alu instid0(VALU_DEP_1) | instskip(SKIP_1) | instid1(VALU_DEP_2)
	v_add_f32_e32 v2, v2, v4
	v_cvt_i32_f32_e32 v4, v5
	v_exp_f32_e32 v2, v2
	s_waitcnt_depctr 0xfff
	v_ldexp_f32 v2, v2, v4
	s_delay_alu instid0(VALU_DEP_1) | instskip(SKIP_1) | instid1(VALU_DEP_2)
	v_cndmask_b32_e32 v2, 0, v2, vcc_lo
	v_cmp_nlt_f32_e32 vcc_lo, 0x42b17218, v1
	v_cndmask_b32_e32 v1, 0x7f800000, v2, vcc_lo
	s_delay_alu instid0(VALU_DEP_1) | instskip(NEXT) | instid1(VALU_DEP_1)
	v_dual_add_f32 v0, v0, v1 :: v_dual_sub_f32 v1, v3, v7
	v_mul_f32_e32 v2, 0x3fb8aa3b, v1
	v_cmp_ngt_f32_e32 vcc_lo, 0xc2ce8ed0, v1
	s_delay_alu instid0(VALU_DEP_2) | instskip(SKIP_1) | instid1(VALU_DEP_1)
	v_fma_f32 v3, 0x3fb8aa3b, v1, -v2
	v_rndne_f32_e32 v4, v2
	v_dual_fmac_f32 v3, 0x32a5705f, v1 :: v_dual_sub_f32 v2, v2, v4
	s_delay_alu instid0(VALU_DEP_1) | instskip(SKIP_1) | instid1(VALU_DEP_2)
	v_add_f32_e32 v2, v2, v3
	v_cvt_i32_f32_e32 v3, v4
	v_exp_f32_e32 v2, v2
	s_waitcnt_depctr 0xfff
	v_ldexp_f32 v2, v2, v3
	s_delay_alu instid0(VALU_DEP_1) | instskip(SKIP_1) | instid1(VALU_DEP_2)
	v_cndmask_b32_e32 v2, 0, v2, vcc_lo
	v_cmp_nlt_f32_e32 vcc_lo, 0x42b17218, v1
	v_cndmask_b32_e32 v1, 0x7f800000, v2, vcc_lo
	s_delay_alu instid0(VALU_DEP_1) | instskip(SKIP_4) | instid1(VALU_DEP_2)
	v_add_f32_e32 v4, v0, v1
	scratch_load_b128 v[0:3], off, off offset:100
	s_waitcnt vmcnt(0)
	v_sub_f32_e32 v0, v0, v7
	v_sub_f32_e32 v1, v1, v7
	v_mul_f32_e32 v5, 0x3fb8aa3b, v0
	v_cmp_ngt_f32_e32 vcc_lo, 0xc2ce8ed0, v0
	s_delay_alu instid0(VALU_DEP_2) | instskip(SKIP_1) | instid1(VALU_DEP_2)
	v_fma_f32 v6, 0x3fb8aa3b, v0, -v5
	v_rndne_f32_e32 v8, v5
	v_fmac_f32_e32 v6, 0x32a5705f, v0
	s_delay_alu instid0(VALU_DEP_2) | instskip(NEXT) | instid1(VALU_DEP_1)
	v_sub_f32_e32 v5, v5, v8
	v_add_f32_e32 v5, v5, v6
	v_cvt_i32_f32_e32 v6, v8
	s_delay_alu instid0(VALU_DEP_2) | instskip(SKIP_2) | instid1(VALU_DEP_1)
	v_exp_f32_e32 v5, v5
	s_waitcnt_depctr 0xfff
	v_ldexp_f32 v5, v5, v6
	v_cndmask_b32_e32 v5, 0, v5, vcc_lo
	v_cmp_nlt_f32_e32 vcc_lo, 0x42b17218, v0
	s_delay_alu instid0(VALU_DEP_2) | instskip(SKIP_1) | instid1(VALU_DEP_2)
	v_cndmask_b32_e32 v0, 0x7f800000, v5, vcc_lo
	v_cmp_ngt_f32_e32 vcc_lo, 0xc2ce8ed0, v1
	v_add_f32_e32 v0, v4, v0
	v_mul_f32_e32 v4, 0x3fb8aa3b, v1
	s_delay_alu instid0(VALU_DEP_1) | instskip(SKIP_1) | instid1(VALU_DEP_1)
	v_fma_f32 v5, 0x3fb8aa3b, v1, -v4
	v_rndne_f32_e32 v6, v4
	v_dual_fmac_f32 v5, 0x32a5705f, v1 :: v_dual_sub_f32 v4, v4, v6
	s_delay_alu instid0(VALU_DEP_1) | instskip(SKIP_1) | instid1(VALU_DEP_2)
	v_add_f32_e32 v4, v4, v5
	v_cvt_i32_f32_e32 v5, v6
	v_exp_f32_e32 v4, v4
	s_waitcnt_depctr 0xfff
	v_ldexp_f32 v4, v4, v5
	s_delay_alu instid0(VALU_DEP_1) | instskip(SKIP_1) | instid1(VALU_DEP_2)
	v_cndmask_b32_e32 v4, 0, v4, vcc_lo
	v_cmp_nlt_f32_e32 vcc_lo, 0x42b17218, v1
	v_cndmask_b32_e32 v1, 0x7f800000, v4, vcc_lo
	s_delay_alu instid0(VALU_DEP_1) | instskip(NEXT) | instid1(VALU_DEP_1)
	v_dual_add_f32 v0, v0, v1 :: v_dual_sub_f32 v1, v2, v7
	v_mul_f32_e32 v2, 0x3fb8aa3b, v1
	v_cmp_ngt_f32_e32 vcc_lo, 0xc2ce8ed0, v1
	s_delay_alu instid0(VALU_DEP_2) | instskip(SKIP_1) | instid1(VALU_DEP_2)
	v_fma_f32 v4, 0x3fb8aa3b, v1, -v2
	v_rndne_f32_e32 v5, v2
	v_fmac_f32_e32 v4, 0x32a5705f, v1
	s_delay_alu instid0(VALU_DEP_2) | instskip(NEXT) | instid1(VALU_DEP_1)
	v_sub_f32_e32 v2, v2, v5
	v_add_f32_e32 v2, v2, v4
	v_cvt_i32_f32_e32 v4, v5
	s_delay_alu instid0(VALU_DEP_2) | instskip(SKIP_2) | instid1(VALU_DEP_1)
	v_exp_f32_e32 v2, v2
	s_waitcnt_depctr 0xfff
	v_ldexp_f32 v2, v2, v4
	v_cndmask_b32_e32 v2, 0, v2, vcc_lo
	v_cmp_nlt_f32_e32 vcc_lo, 0x42b17218, v1
	s_delay_alu instid0(VALU_DEP_2) | instskip(NEXT) | instid1(VALU_DEP_1)
	v_cndmask_b32_e32 v1, 0x7f800000, v2, vcc_lo
	v_dual_add_f32 v0, v0, v1 :: v_dual_sub_f32 v1, v3, v7
	s_delay_alu instid0(VALU_DEP_1) | instskip(SKIP_1) | instid1(VALU_DEP_2)
	v_mul_f32_e32 v2, 0x3fb8aa3b, v1
	v_cmp_ngt_f32_e32 vcc_lo, 0xc2ce8ed0, v1
	v_fma_f32 v3, 0x3fb8aa3b, v1, -v2
	v_rndne_f32_e32 v4, v2
	s_delay_alu instid0(VALU_DEP_1) | instskip(NEXT) | instid1(VALU_DEP_1)
	v_dual_fmac_f32 v3, 0x32a5705f, v1 :: v_dual_sub_f32 v2, v2, v4
	v_add_f32_e32 v2, v2, v3
	v_cvt_i32_f32_e32 v3, v4
	s_delay_alu instid0(VALU_DEP_2) | instskip(SKIP_2) | instid1(VALU_DEP_1)
	v_exp_f32_e32 v2, v2
	s_waitcnt_depctr 0xfff
	v_ldexp_f32 v2, v2, v3
	v_cndmask_b32_e32 v2, 0, v2, vcc_lo
	v_cmp_nlt_f32_e32 vcc_lo, 0x42b17218, v1
	s_delay_alu instid0(VALU_DEP_2) | instskip(NEXT) | instid1(VALU_DEP_1)
	v_cndmask_b32_e32 v1, 0x7f800000, v2, vcc_lo
	v_add_f32_e32 v3, v0, v1
	scratch_load_b96 v[0:2], off, off offset:116
	s_waitcnt vmcnt(0)
	v_sub_f32_e32 v0, v0, v7
	s_delay_alu instid0(VALU_DEP_1) | instskip(SKIP_1) | instid1(VALU_DEP_2)
	v_dual_sub_f32 v1, v1, v7 :: v_dual_mul_f32 v4, 0x3fb8aa3b, v0
	v_cmp_ngt_f32_e32 vcc_lo, 0xc2ce8ed0, v0
	v_fma_f32 v5, 0x3fb8aa3b, v0, -v4
	v_rndne_f32_e32 v6, v4
	s_delay_alu instid0(VALU_DEP_1) | instskip(NEXT) | instid1(VALU_DEP_1)
	v_dual_fmac_f32 v5, 0x32a5705f, v0 :: v_dual_sub_f32 v4, v4, v6
	v_add_f32_e32 v4, v4, v5
	v_cvt_i32_f32_e32 v5, v6
	s_delay_alu instid0(VALU_DEP_2) | instskip(SKIP_2) | instid1(VALU_DEP_1)
	v_exp_f32_e32 v4, v4
	s_waitcnt_depctr 0xfff
	v_ldexp_f32 v4, v4, v5
	v_cndmask_b32_e32 v4, 0, v4, vcc_lo
	v_cmp_nlt_f32_e32 vcc_lo, 0x42b17218, v0
	s_delay_alu instid0(VALU_DEP_2) | instskip(SKIP_1) | instid1(VALU_DEP_2)
	v_cndmask_b32_e32 v0, 0x7f800000, v4, vcc_lo
	v_cmp_ngt_f32_e32 vcc_lo, 0xc2ce8ed0, v1
	v_dual_add_f32 v0, v3, v0 :: v_dual_mul_f32 v3, 0x3fb8aa3b, v1
	s_delay_alu instid0(VALU_DEP_1) | instskip(SKIP_1) | instid1(VALU_DEP_2)
	v_fma_f32 v4, 0x3fb8aa3b, v1, -v3
	v_rndne_f32_e32 v5, v3
	v_fmac_f32_e32 v4, 0x32a5705f, v1
	s_delay_alu instid0(VALU_DEP_2) | instskip(NEXT) | instid1(VALU_DEP_1)
	v_sub_f32_e32 v3, v3, v5
	v_add_f32_e32 v3, v3, v4
	v_cvt_i32_f32_e32 v4, v5
	s_delay_alu instid0(VALU_DEP_2) | instskip(SKIP_2) | instid1(VALU_DEP_1)
	v_exp_f32_e32 v3, v3
	s_waitcnt_depctr 0xfff
	v_ldexp_f32 v3, v3, v4
	v_cndmask_b32_e32 v3, 0, v3, vcc_lo
	v_cmp_nlt_f32_e32 vcc_lo, 0x42b17218, v1
	s_delay_alu instid0(VALU_DEP_2) | instskip(NEXT) | instid1(VALU_DEP_1)
	v_cndmask_b32_e32 v1, 0x7f800000, v3, vcc_lo
	v_dual_add_f32 v0, v0, v1 :: v_dual_sub_f32 v1, v2, v7
	s_delay_alu instid0(VALU_DEP_1) | instskip(SKIP_1) | instid1(VALU_DEP_2)
	v_mul_f32_e32 v2, 0x3fb8aa3b, v1
	v_cmp_ngt_f32_e32 vcc_lo, 0xc2ce8ed0, v1
	v_fma_f32 v3, 0x3fb8aa3b, v1, -v2
	v_rndne_f32_e32 v4, v2
	s_delay_alu instid0(VALU_DEP_1) | instskip(NEXT) | instid1(VALU_DEP_1)
	v_dual_fmac_f32 v3, 0x32a5705f, v1 :: v_dual_sub_f32 v2, v2, v4
	v_add_f32_e32 v2, v2, v3
	v_cvt_i32_f32_e32 v3, v4
	s_delay_alu instid0(VALU_DEP_2) | instskip(SKIP_2) | instid1(VALU_DEP_1)
	v_exp_f32_e32 v2, v2
	s_waitcnt_depctr 0xfff
	v_ldexp_f32 v2, v2, v3
	v_cndmask_b32_e32 v2, 0, v2, vcc_lo
	v_cmp_nlt_f32_e32 vcc_lo, 0x42b17218, v1
	s_delay_alu instid0(VALU_DEP_2) | instskip(SKIP_1) | instid1(VALU_DEP_2)
	v_cndmask_b32_e32 v1, 0x7f800000, v2, vcc_lo
	v_cmp_eq_u32_e32 vcc_lo, 0, v29
	v_add_f32_e32 v0, v0, v1
	s_delay_alu instid0(VALU_DEP_1) | instskip(NEXT) | instid1(VALU_DEP_1)
	v_mov_b32_dpp v1, v0 quad_perm:[1,0,3,2] row_mask:0xf bank_mask:0xf
	v_add_f32_e32 v0, v0, v1
	s_delay_alu instid0(VALU_DEP_1) | instskip(NEXT) | instid1(VALU_DEP_1)
	v_mov_b32_dpp v1, v0 quad_perm:[2,3,0,1] row_mask:0xf bank_mask:0xf
	v_add_f32_e32 v0, v0, v1
	s_delay_alu instid0(VALU_DEP_1) | instskip(NEXT) | instid1(VALU_DEP_1)
	v_mov_b32_dpp v1, v0 row_half_mirror row_mask:0xf bank_mask:0xf
	v_add_f32_e32 v0, v0, v1
	s_delay_alu instid0(VALU_DEP_1)
	v_mov_b32_dpp v1, v0 row_mirror row_mask:0xf bank_mask:0xf
	s_and_b32 exec_lo, exec_lo, vcc_lo
	s_cbranch_execz .LBB307_24
; %bb.20:
	s_delay_alu instid0(VALU_DEP_1) | instskip(NEXT) | instid1(VALU_DEP_1)
	v_add_f32_e32 v0, v0, v1
	v_add_f32_e32 v0, v30, v0
	s_delay_alu instid0(VALU_DEP_1)
	v_cmp_neq_f32_e32 vcc_lo, 0, v0
	s_and_b32 exec_lo, exec_lo, vcc_lo
	s_cbranch_execz .LBB307_24
; %bb.21:
	s_and_not1_b32 vcc_lo, exec_lo, s3
	s_cbranch_vccnz .LBB307_24
; %bb.22:
	v_div_scale_f32 v2, null, v0, v0, 1.0
	v_div_scale_f32 v4, vcc_lo, 1.0, v0, 1.0
	s_delay_alu instid0(VALU_DEP_2) | instskip(SKIP_2) | instid1(VALU_DEP_1)
	v_rcp_f32_e32 v3, v2
	s_waitcnt_depctr 0xfff
	v_fma_f32 v1, -v2, v3, 1.0
	v_fmac_f32_e32 v3, v1, v3
	v_mul_lo_u32 v1, v28, s7
	s_delay_alu instid0(VALU_DEP_2) | instskip(NEXT) | instid1(VALU_DEP_1)
	v_mul_f32_e32 v5, v4, v3
	v_fma_f32 v6, -v2, v5, v4
	s_delay_alu instid0(VALU_DEP_1) | instskip(NEXT) | instid1(VALU_DEP_1)
	v_fmac_f32_e32 v5, v6, v3
	v_fma_f32 v4, -v2, v5, v4
	v_ashrrev_i32_e32 v2, 31, v1
	s_delay_alu instid0(VALU_DEP_2) | instskip(NEXT) | instid1(VALU_DEP_2)
	v_div_fmas_f32 v5, v4, v3, v5
	v_lshlrev_b64 v[3:4], 2, v[1:2]
	s_delay_alu instid0(VALU_DEP_2) | instskip(NEXT) | instid1(VALU_DEP_2)
	v_div_fixup_f32 v2, v5, v0, 1.0
	v_add_co_u32 v0, vcc_lo, s12, v3
	s_delay_alu instid0(VALU_DEP_3)
	v_add_co_ci_u32_e32 v1, vcc_lo, s13, v4, vcc_lo
.LBB307_23:                             ; =>This Inner Loop Header: Depth=1
	global_load_b32 v3, v[0:1], off
	s_add_i32 s4, s4, -1
	s_delay_alu instid0(SALU_CYCLE_1)
	s_cmp_lg_u32 s4, 0
	s_waitcnt vmcnt(0)
	v_mul_f32_e32 v3, v2, v3
	global_store_b32 v[0:1], v3, off
	v_add_co_u32 v0, vcc_lo, v0, 4
	v_add_co_ci_u32_e32 v1, vcc_lo, 0, v1, vcc_lo
	s_cbranch_scc1 .LBB307_23
.LBB307_24:
	s_endpgm
	.section	.rodata,"a",@progbits
	.p2align	6, 0x0
	.amdhsa_kernel _ZN4vllm3moe17topkGatingSoftmaxItLi32ELi512ELi2ELi64ELb0ELi8ELNS0_23SharedExpertScoringFuncE1EEEvPKT_PKbPfiPiS9_iiiiii
		.amdhsa_group_segment_fixed_size 0
		.amdhsa_private_segment_fixed_size 144
		.amdhsa_kernarg_size 72
		.amdhsa_user_sgpr_count 15
		.amdhsa_user_sgpr_dispatch_ptr 0
		.amdhsa_user_sgpr_queue_ptr 0
		.amdhsa_user_sgpr_kernarg_segment_ptr 1
		.amdhsa_user_sgpr_dispatch_id 0
		.amdhsa_user_sgpr_private_segment_size 0
		.amdhsa_wavefront_size32 1
		.amdhsa_uses_dynamic_stack 0
		.amdhsa_enable_private_segment 1
		.amdhsa_system_sgpr_workgroup_id_x 1
		.amdhsa_system_sgpr_workgroup_id_y 0
		.amdhsa_system_sgpr_workgroup_id_z 0
		.amdhsa_system_sgpr_workgroup_info 0
		.amdhsa_system_vgpr_workitem_id 1
		.amdhsa_next_free_vgpr 77
		.amdhsa_next_free_sgpr 19
		.amdhsa_reserve_vcc 1
		.amdhsa_float_round_mode_32 0
		.amdhsa_float_round_mode_16_64 0
		.amdhsa_float_denorm_mode_32 3
		.amdhsa_float_denorm_mode_16_64 3
		.amdhsa_dx10_clamp 1
		.amdhsa_ieee_mode 1
		.amdhsa_fp16_overflow 0
		.amdhsa_workgroup_processor_mode 1
		.amdhsa_memory_ordered 1
		.amdhsa_forward_progress 0
		.amdhsa_shared_vgpr_count 0
		.amdhsa_exception_fp_ieee_invalid_op 0
		.amdhsa_exception_fp_denorm_src 0
		.amdhsa_exception_fp_ieee_div_zero 0
		.amdhsa_exception_fp_ieee_overflow 0
		.amdhsa_exception_fp_ieee_underflow 0
		.amdhsa_exception_fp_ieee_inexact 0
		.amdhsa_exception_int_div_zero 0
	.end_amdhsa_kernel
	.section	.text._ZN4vllm3moe17topkGatingSoftmaxItLi32ELi512ELi2ELi64ELb0ELi8ELNS0_23SharedExpertScoringFuncE1EEEvPKT_PKbPfiPiS9_iiiiii,"axG",@progbits,_ZN4vllm3moe17topkGatingSoftmaxItLi32ELi512ELi2ELi64ELb0ELi8ELNS0_23SharedExpertScoringFuncE1EEEvPKT_PKbPfiPiS9_iiiiii,comdat
.Lfunc_end307:
	.size	_ZN4vllm3moe17topkGatingSoftmaxItLi32ELi512ELi2ELi64ELb0ELi8ELNS0_23SharedExpertScoringFuncE1EEEvPKT_PKbPfiPiS9_iiiiii, .Lfunc_end307-_ZN4vllm3moe17topkGatingSoftmaxItLi32ELi512ELi2ELi64ELb0ELi8ELNS0_23SharedExpertScoringFuncE1EEEvPKT_PKbPfiPiS9_iiiiii
                                        ; -- End function
	.section	.AMDGPU.csdata,"",@progbits
; Kernel info:
; codeLenInByte = 8284
; NumSgprs: 21
; NumVgprs: 77
; ScratchSize: 144
; MemoryBound: 0
; FloatMode: 240
; IeeeMode: 1
; LDSByteSize: 0 bytes/workgroup (compile time only)
; SGPRBlocks: 2
; VGPRBlocks: 9
; NumSGPRsForWavesPerEU: 21
; NumVGPRsForWavesPerEU: 77
; Occupancy: 16
; WaveLimiterHint : 0
; COMPUTE_PGM_RSRC2:SCRATCH_EN: 1
; COMPUTE_PGM_RSRC2:USER_SGPR: 15
; COMPUTE_PGM_RSRC2:TRAP_HANDLER: 0
; COMPUTE_PGM_RSRC2:TGID_X_EN: 1
; COMPUTE_PGM_RSRC2:TGID_Y_EN: 0
; COMPUTE_PGM_RSRC2:TGID_Z_EN: 0
; COMPUTE_PGM_RSRC2:TIDIG_COMP_CNT: 1
	.section	.text._ZN4vllm3moe10moeSoftmaxItLi256EEEvPKT_PKbPfi,"axG",@progbits,_ZN4vllm3moe10moeSoftmaxItLi256EEEvPKT_PKbPfi,comdat
	.protected	_ZN4vllm3moe10moeSoftmaxItLi256EEEvPKT_PKbPfi ; -- Begin function _ZN4vllm3moe10moeSoftmaxItLi256EEEvPKT_PKbPfi
	.globl	_ZN4vllm3moe10moeSoftmaxItLi256EEEvPKT_PKbPfi
	.p2align	8
	.type	_ZN4vllm3moe10moeSoftmaxItLi256EEEvPKT_PKbPfi,@function
_ZN4vllm3moe10moeSoftmaxItLi256EEEvPKT_PKbPfi: ; @_ZN4vllm3moe10moeSoftmaxItLi256EEEvPKT_PKbPfi
; %bb.0:
	s_load_b128 s[8:11], s[0:1], 0x0
	s_waitcnt lgkmcnt(0)
	s_cmp_eq_u64 s[10:11], 0
	s_cselect_b32 s2, -1, 0
	s_delay_alu instid0(SALU_CYCLE_1)
	s_and_b32 vcc_lo, exec_lo, s2
	s_cbranch_vccnz .LBB308_2
; %bb.1:
	v_mov_b32_e32 v1, s15
	global_load_u8 v1, v1, s[10:11]
	s_waitcnt vmcnt(0)
	v_and_b32_e32 v1, 1, v1
	s_delay_alu instid0(VALU_DEP_1)
	v_cmp_eq_u32_e32 vcc_lo, 1, v1
	s_xor_b32 s2, vcc_lo, -1
.LBB308_2:
	s_delay_alu instid0(SALU_CYCLE_1)
	s_and_not1_b32 vcc_lo, exec_lo, s2
	s_cbranch_vccnz .LBB308_26
; %bb.3:
	s_clause 0x1
	s_load_b32 s5, s[0:1], 0x18
	s_load_b64 s[6:7], s[0:1], 0x10
	v_mov_b32_e32 v5, 0xff7fffff
	s_waitcnt lgkmcnt(0)
	s_mul_i32 s15, s15, s5
	v_cmp_gt_i32_e64 s0, s5, v0
	v_add_nc_u32_e32 v1, s15, v0
	s_delay_alu instid0(VALU_DEP_1) | instskip(NEXT) | instid1(VALU_DEP_3)
	v_ashrrev_i32_e32 v2, 31, v1
	s_and_saveexec_b32 s2, s0
	s_cbranch_execz .LBB308_7
; %bb.4:
	s_delay_alu instid0(VALU_DEP_1) | instskip(SKIP_2) | instid1(VALU_DEP_2)
	v_lshlrev_b64 v[3:4], 1, v[1:2]
	v_dual_mov_b32 v5, 0xff7fffff :: v_dual_mov_b32 v6, v0
	s_mov_b32 s3, 0
	v_add_co_u32 v3, vcc_lo, s8, v3
	s_delay_alu instid0(VALU_DEP_3)
	v_add_co_ci_u32_e32 v4, vcc_lo, s9, v4, vcc_lo
.LBB308_5:                              ; =>This Inner Loop Header: Depth=1
	global_load_u16 v7, v[3:4], off
	v_dual_max_f32 v5, v5, v5 :: v_dual_add_nc_u32 v6, 0x100, v6
	v_add_co_u32 v3, vcc_lo, 0x200, v3
	v_add_co_ci_u32_e32 v4, vcc_lo, 0, v4, vcc_lo
	s_delay_alu instid0(VALU_DEP_3) | instskip(NEXT) | instid1(VALU_DEP_1)
	v_cmp_le_i32_e64 s1, s5, v6
	s_or_b32 s3, s1, s3
	s_waitcnt vmcnt(0)
	v_cvt_f32_u32_e32 v7, v7
	s_delay_alu instid0(VALU_DEP_1)
	v_max_f32_e32 v5, v7, v5
	s_and_not1_b32 exec_lo, exec_lo, s3
	s_cbranch_execnz .LBB308_5
; %bb.6:
	s_or_b32 exec_lo, exec_lo, s3
.LBB308_7:
	s_delay_alu instid0(SALU_CYCLE_1) | instskip(SKIP_2) | instid1(VALU_DEP_2)
	s_or_b32 exec_lo, exec_lo, s2
	v_mov_b32_dpp v3, v5 quad_perm:[1,0,3,2] row_mask:0xf bank_mask:0xf
	v_lshrrev_b32_e32 v7, 3, v0
	v_cmp_gt_f32_e32 vcc_lo, v5, v3
	v_cndmask_b32_e32 v3, v3, v5, vcc_lo
	v_mbcnt_lo_u32_b32 v5, -1, 0
	s_delay_alu instid0(VALU_DEP_2) | instskip(NEXT) | instid1(VALU_DEP_1)
	v_mov_b32_dpp v4, v3 quad_perm:[2,3,0,1] row_mask:0xf bank_mask:0xf
	v_cmp_gt_f32_e32 vcc_lo, v3, v4
	v_cndmask_b32_e32 v3, v4, v3, vcc_lo
	s_delay_alu instid0(VALU_DEP_1) | instskip(NEXT) | instid1(VALU_DEP_1)
	v_mov_b32_dpp v4, v3 row_ror:4 row_mask:0xf bank_mask:0xf
	v_cmp_gt_f32_e32 vcc_lo, v3, v4
	v_cndmask_b32_e32 v3, v4, v3, vcc_lo
	s_delay_alu instid0(VALU_DEP_1) | instskip(NEXT) | instid1(VALU_DEP_1)
	v_mov_b32_dpp v4, v3 row_ror:8 row_mask:0xf bank_mask:0xf
	v_cmp_gt_f32_e32 vcc_lo, v3, v4
	v_cndmask_b32_e32 v3, v4, v3, vcc_lo
	ds_swizzle_b32 v4, v3 offset:swizzle(BROADCAST,32,15)
	s_waitcnt lgkmcnt(0)
	v_cmp_gt_f32_e32 vcc_lo, v3, v4
	v_dual_cndmask_b32 v3, v4, v3 :: v_dual_mov_b32 v4, 0
	v_cmp_eq_u32_e32 vcc_lo, 0, v5
	ds_bpermute_b32 v3, v4, v3 offset:124
	s_and_saveexec_b32 s1, vcc_lo
	s_cbranch_execz .LBB308_9
; %bb.8:
	v_and_b32_e32 v4, 28, v7
	s_waitcnt lgkmcnt(0)
	ds_store_b32 v4, v3
.LBB308_9:
	s_or_b32 exec_lo, exec_lo, s1
	v_cmp_gt_u32_e64 s1, 32, v0
	v_and_b32_e32 v6, 7, v5
	s_waitcnt lgkmcnt(0)
	s_barrier
	buffer_gl0_inv
	s_and_saveexec_b32 s3, s1
	s_cbranch_execz .LBB308_11
; %bb.10:
	v_lshlrev_b32_e32 v3, 2, v6
	v_cmp_ne_u32_e64 s2, 7, v6
	ds_load_b32 v3, v3
	v_add_co_ci_u32_e64 v4, s2, 0, v5, s2
	v_cmp_gt_u32_e64 s2, 6, v6
	s_delay_alu instid0(VALU_DEP_2) | instskip(NEXT) | instid1(VALU_DEP_2)
	v_lshlrev_b32_e32 v4, 2, v4
	v_cndmask_b32_e64 v8, 0, 1, s2
	s_delay_alu instid0(VALU_DEP_1) | instskip(NEXT) | instid1(VALU_DEP_1)
	v_lshlrev_b32_e32 v8, 1, v8
	v_add_lshl_u32 v8, v8, v5, 2
	s_waitcnt lgkmcnt(0)
	ds_bpermute_b32 v4, v4, v3
	s_waitcnt lgkmcnt(0)
	v_cmp_lt_f32_e64 s2, v3, v4
	s_delay_alu instid0(VALU_DEP_1) | instskip(SKIP_3) | instid1(VALU_DEP_1)
	v_cndmask_b32_e64 v3, v3, v4, s2
	v_cmp_gt_u32_e64 s2, 4, v6
	ds_bpermute_b32 v4, v8, v3
	v_cndmask_b32_e64 v8, 0, 1, s2
	v_lshlrev_b32_e32 v8, 2, v8
	s_delay_alu instid0(VALU_DEP_1) | instskip(SKIP_2) | instid1(VALU_DEP_1)
	v_add_lshl_u32 v8, v8, v5, 2
	s_waitcnt lgkmcnt(0)
	v_cmp_lt_f32_e64 s2, v3, v4
	v_cndmask_b32_e64 v3, v3, v4, s2
	ds_bpermute_b32 v4, v8, v3
	s_waitcnt lgkmcnt(0)
	v_cmp_lt_f32_e64 s2, v3, v4
	s_delay_alu instid0(VALU_DEP_1)
	v_cndmask_b32_e64 v3, v3, v4, s2
.LBB308_11:
	s_or_b32 exec_lo, exec_lo, s3
	v_cmp_eq_u32_e64 s2, 0, v0
	s_delay_alu instid0(VALU_DEP_1)
	s_and_saveexec_b32 s3, s2
	s_cbranch_execz .LBB308_13
; %bb.12:
	v_mov_b32_e32 v4, 0
	ds_store_b32 v4, v3 offset:36
.LBB308_13:
	s_or_b32 exec_lo, exec_lo, s3
	v_mov_b32_e32 v8, 0
	s_waitcnt lgkmcnt(0)
	s_barrier
	buffer_gl0_inv
	s_and_saveexec_b32 s10, s0
	s_cbranch_execz .LBB308_17
; %bb.14:
	v_mov_b32_e32 v8, 0
	v_lshlrev_b64 v[3:4], 1, v[1:2]
	v_mov_b32_e32 v10, v0
	s_mov_b32 s11, 0
	ds_load_b32 v9, v8 offset:36
	v_add_co_u32 v3, s3, s8, v3
	s_delay_alu instid0(VALU_DEP_1)
	v_add_co_ci_u32_e64 v4, s3, s9, v4, s3
	s_set_inst_prefetch_distance 0x1
	.p2align	6
.LBB308_15:                             ; =>This Inner Loop Header: Depth=1
	global_load_u16 v11, v[3:4], off
	v_add_nc_u32_e32 v10, 0x100, v10
	s_delay_alu instid0(VALU_DEP_1) | instskip(NEXT) | instid1(VALU_DEP_1)
	v_cmp_le_i32_e64 s4, s5, v10
	s_or_b32 s11, s4, s11
	s_waitcnt vmcnt(0)
	v_cvt_f32_u32_e32 v11, v11
	s_waitcnt lgkmcnt(0)
	s_delay_alu instid0(VALU_DEP_1) | instskip(NEXT) | instid1(VALU_DEP_1)
	v_sub_f32_e32 v11, v11, v9
	v_mul_f32_e32 v12, 0x3fb8aa3b, v11
	s_delay_alu instid0(VALU_DEP_1) | instskip(SKIP_1) | instid1(VALU_DEP_1)
	v_fma_f32 v13, 0x3fb8aa3b, v11, -v12
	v_rndne_f32_e32 v14, v12
	v_dual_sub_f32 v12, v12, v14 :: v_dual_fmac_f32 v13, 0x32a5705f, v11
	v_cmp_ngt_f32_e64 s3, 0xc2ce8ed0, v11
	s_delay_alu instid0(VALU_DEP_2) | instskip(SKIP_1) | instid1(VALU_DEP_2)
	v_add_f32_e32 v12, v12, v13
	v_cvt_i32_f32_e32 v13, v14
	v_exp_f32_e32 v12, v12
	s_waitcnt_depctr 0xfff
	v_ldexp_f32 v12, v12, v13
	s_delay_alu instid0(VALU_DEP_1) | instskip(SKIP_1) | instid1(VALU_DEP_1)
	v_cndmask_b32_e64 v12, 0, v12, s3
	v_cmp_nlt_f32_e64 s3, 0x42b17218, v11
	v_cndmask_b32_e64 v11, 0x7f800000, v12, s3
	v_add_co_u32 v3, s3, 0x200, v3
	s_delay_alu instid0(VALU_DEP_1) | instskip(NEXT) | instid1(VALU_DEP_3)
	v_add_co_ci_u32_e64 v4, s3, 0, v4, s3
	v_add_f32_e32 v8, v8, v11
	s_and_not1_b32 exec_lo, exec_lo, s11
	s_cbranch_execnz .LBB308_15
; %bb.16:
	s_set_inst_prefetch_distance 0x2
	s_or_b32 exec_lo, exec_lo, s11
.LBB308_17:
	s_delay_alu instid0(SALU_CYCLE_1) | instskip(SKIP_1) | instid1(VALU_DEP_1)
	s_or_b32 exec_lo, exec_lo, s10
	v_mov_b32_dpp v4, v8 quad_perm:[1,0,3,2] row_mask:0xf bank_mask:0xf
	v_dual_mov_b32 v3, 0x7c :: v_dual_add_f32 v4, v8, v4
	s_delay_alu instid0(VALU_DEP_1) | instskip(NEXT) | instid1(VALU_DEP_1)
	v_mov_b32_dpp v8, v4 quad_perm:[2,3,0,1] row_mask:0xf bank_mask:0xf
	v_add_f32_e32 v4, v4, v8
	s_delay_alu instid0(VALU_DEP_1) | instskip(NEXT) | instid1(VALU_DEP_1)
	v_mov_b32_dpp v8, v4 row_ror:4 row_mask:0xf bank_mask:0xf
	v_add_f32_e32 v4, v4, v8
	s_delay_alu instid0(VALU_DEP_1) | instskip(NEXT) | instid1(VALU_DEP_1)
	v_mov_b32_dpp v8, v4 row_ror:8 row_mask:0xf bank_mask:0xf
	v_add_f32_e32 v4, v4, v8
	ds_swizzle_b32 v8, v4 offset:swizzle(BROADCAST,32,15)
	s_waitcnt lgkmcnt(0)
	v_add_f32_e32 v4, v4, v8
	ds_bpermute_b32 v3, v3, v4
	s_and_saveexec_b32 s3, vcc_lo
	s_cbranch_execz .LBB308_19
; %bb.18:
	v_and_b32_e32 v4, 28, v7
	s_waitcnt lgkmcnt(0)
	ds_store_b32 v4, v3
.LBB308_19:
	s_or_b32 exec_lo, exec_lo, s3
	s_waitcnt lgkmcnt(0)
	s_barrier
	buffer_gl0_inv
	s_and_saveexec_b32 s3, s1
	s_cbranch_execz .LBB308_21
; %bb.20:
	v_lshlrev_b32_e32 v3, 2, v6
	v_cmp_ne_u32_e32 vcc_lo, 7, v6
	ds_load_b32 v3, v3
	v_add_co_ci_u32_e32 v4, vcc_lo, 0, v5, vcc_lo
	v_cmp_gt_u32_e32 vcc_lo, 6, v6
	s_delay_alu instid0(VALU_DEP_2) | instskip(SKIP_2) | instid1(VALU_DEP_2)
	v_lshlrev_b32_e32 v4, 2, v4
	v_cndmask_b32_e64 v7, 0, 1, vcc_lo
	v_cmp_gt_u32_e32 vcc_lo, 4, v6
	v_lshlrev_b32_e32 v7, 1, v7
	v_cndmask_b32_e64 v6, 0, 1, vcc_lo
	s_delay_alu instid0(VALU_DEP_2) | instskip(NEXT) | instid1(VALU_DEP_2)
	v_add_lshl_u32 v7, v7, v5, 2
	v_lshlrev_b32_e32 v6, 2, v6
	s_waitcnt lgkmcnt(0)
	ds_bpermute_b32 v4, v4, v3
	s_waitcnt lgkmcnt(0)
	v_add_f32_e32 v3, v3, v4
	ds_bpermute_b32 v4, v7, v3
	s_waitcnt lgkmcnt(0)
	v_add_f32_e32 v3, v3, v4
	v_add_lshl_u32 v4, v6, v5, 2
	ds_bpermute_b32 v4, v4, v3
	s_waitcnt lgkmcnt(0)
	v_add_f32_e32 v3, v3, v4
.LBB308_21:
	s_or_b32 exec_lo, exec_lo, s3
	s_and_saveexec_b32 s1, s2
	s_cbranch_execz .LBB308_23
; %bb.22:
	s_delay_alu instid0(VALU_DEP_1) | instskip(SKIP_1) | instid1(VALU_DEP_2)
	v_div_scale_f32 v4, null, v3, v3, 1.0
	v_div_scale_f32 v7, vcc_lo, 1.0, v3, 1.0
	v_rcp_f32_e32 v5, v4
	s_waitcnt_depctr 0xfff
	v_fma_f32 v6, -v4, v5, 1.0
	s_delay_alu instid0(VALU_DEP_1) | instskip(NEXT) | instid1(VALU_DEP_1)
	v_fmac_f32_e32 v5, v6, v5
	v_mul_f32_e32 v6, v7, v5
	s_delay_alu instid0(VALU_DEP_1) | instskip(NEXT) | instid1(VALU_DEP_1)
	v_fma_f32 v8, -v4, v6, v7
	v_fmac_f32_e32 v6, v8, v5
	s_delay_alu instid0(VALU_DEP_1) | instskip(NEXT) | instid1(VALU_DEP_1)
	v_fma_f32 v4, -v4, v6, v7
	v_div_fmas_f32 v4, v4, v5, v6
	s_delay_alu instid0(VALU_DEP_1)
	v_div_fixup_f32 v3, v4, v3, 1.0
	v_mov_b32_e32 v4, 0
	ds_store_b32 v4, v3 offset:32
.LBB308_23:
	s_or_b32 exec_lo, exec_lo, s1
	s_waitcnt lgkmcnt(0)
	s_barrier
	buffer_gl0_inv
	s_and_saveexec_b32 s1, s0
	s_cbranch_execz .LBB308_26
; %bb.24:
	v_mov_b32_e32 v3, 0
	v_lshlrev_b64 v[5:6], 1, v[1:2]
	v_lshlrev_b64 v[7:8], 2, v[1:2]
	s_mov_b32 s1, 0
	ds_load_b64 v[3:4], v3 offset:32
	v_add_co_u32 v1, vcc_lo, s8, v5
	v_add_co_ci_u32_e32 v2, vcc_lo, s9, v6, vcc_lo
	v_add_co_u32 v5, vcc_lo, s6, v7
	v_add_co_ci_u32_e32 v6, vcc_lo, s7, v8, vcc_lo
	s_set_inst_prefetch_distance 0x1
	.p2align	6
.LBB308_25:                             ; =>This Inner Loop Header: Depth=1
	global_load_u16 v7, v[1:2], off
	v_add_co_u32 v1, vcc_lo, 0x200, v1
	v_add_co_ci_u32_e32 v2, vcc_lo, 0, v2, vcc_lo
	s_waitcnt vmcnt(0)
	v_cvt_f32_u32_e32 v7, v7
	s_waitcnt lgkmcnt(0)
	s_delay_alu instid0(VALU_DEP_1) | instskip(NEXT) | instid1(VALU_DEP_1)
	v_sub_f32_e32 v7, v7, v4
	v_mul_f32_e32 v8, 0x3fb8aa3b, v7
	s_delay_alu instid0(VALU_DEP_1) | instskip(SKIP_1) | instid1(VALU_DEP_1)
	v_fma_f32 v9, 0x3fb8aa3b, v7, -v8
	v_rndne_f32_e32 v10, v8
	v_dual_sub_f32 v8, v8, v10 :: v_dual_fmac_f32 v9, 0x32a5705f, v7
	v_cmp_ngt_f32_e64 s0, 0xc2ce8ed0, v7
	s_delay_alu instid0(VALU_DEP_2) | instskip(SKIP_1) | instid1(VALU_DEP_2)
	v_add_f32_e32 v8, v8, v9
	v_cvt_i32_f32_e32 v9, v10
	v_exp_f32_e32 v8, v8
	s_waitcnt_depctr 0xfff
	v_ldexp_f32 v8, v8, v9
	s_delay_alu instid0(VALU_DEP_1) | instskip(SKIP_1) | instid1(VALU_DEP_1)
	v_cndmask_b32_e64 v8, 0, v8, s0
	v_cmp_nlt_f32_e64 s0, 0x42b17218, v7
	v_cndmask_b32_e64 v7, 0x7f800000, v8, s0
	s_delay_alu instid0(VALU_DEP_1) | instskip(NEXT) | instid1(VALU_DEP_1)
	v_dual_mul_f32 v7, v3, v7 :: v_dual_add_nc_u32 v0, 0x100, v0
	v_cmp_le_i32_e32 vcc_lo, s5, v0
	global_store_b32 v[5:6], v7, off
	v_add_co_u32 v5, s0, 0x400, v5
	s_delay_alu instid0(VALU_DEP_1) | instskip(SKIP_1) | instid1(SALU_CYCLE_1)
	v_add_co_ci_u32_e64 v6, s0, 0, v6, s0
	s_or_b32 s1, vcc_lo, s1
	s_and_not1_b32 exec_lo, exec_lo, s1
	s_cbranch_execnz .LBB308_25
.LBB308_26:
	s_set_inst_prefetch_distance 0x2
	s_nop 0
	s_sendmsg sendmsg(MSG_DEALLOC_VGPRS)
	s_endpgm
	.section	.rodata,"a",@progbits
	.p2align	6, 0x0
	.amdhsa_kernel _ZN4vllm3moe10moeSoftmaxItLi256EEEvPKT_PKbPfi
		.amdhsa_group_segment_fixed_size 40
		.amdhsa_private_segment_fixed_size 0
		.amdhsa_kernarg_size 28
		.amdhsa_user_sgpr_count 15
		.amdhsa_user_sgpr_dispatch_ptr 0
		.amdhsa_user_sgpr_queue_ptr 0
		.amdhsa_user_sgpr_kernarg_segment_ptr 1
		.amdhsa_user_sgpr_dispatch_id 0
		.amdhsa_user_sgpr_private_segment_size 0
		.amdhsa_wavefront_size32 1
		.amdhsa_uses_dynamic_stack 0
		.amdhsa_enable_private_segment 0
		.amdhsa_system_sgpr_workgroup_id_x 1
		.amdhsa_system_sgpr_workgroup_id_y 0
		.amdhsa_system_sgpr_workgroup_id_z 0
		.amdhsa_system_sgpr_workgroup_info 0
		.amdhsa_system_vgpr_workitem_id 0
		.amdhsa_next_free_vgpr 15
		.amdhsa_next_free_sgpr 16
		.amdhsa_reserve_vcc 1
		.amdhsa_float_round_mode_32 0
		.amdhsa_float_round_mode_16_64 0
		.amdhsa_float_denorm_mode_32 3
		.amdhsa_float_denorm_mode_16_64 3
		.amdhsa_dx10_clamp 1
		.amdhsa_ieee_mode 1
		.amdhsa_fp16_overflow 0
		.amdhsa_workgroup_processor_mode 1
		.amdhsa_memory_ordered 1
		.amdhsa_forward_progress 0
		.amdhsa_shared_vgpr_count 0
		.amdhsa_exception_fp_ieee_invalid_op 0
		.amdhsa_exception_fp_denorm_src 0
		.amdhsa_exception_fp_ieee_div_zero 0
		.amdhsa_exception_fp_ieee_overflow 0
		.amdhsa_exception_fp_ieee_underflow 0
		.amdhsa_exception_fp_ieee_inexact 0
		.amdhsa_exception_int_div_zero 0
	.end_amdhsa_kernel
	.section	.text._ZN4vllm3moe10moeSoftmaxItLi256EEEvPKT_PKbPfi,"axG",@progbits,_ZN4vllm3moe10moeSoftmaxItLi256EEEvPKT_PKbPfi,comdat
.Lfunc_end308:
	.size	_ZN4vllm3moe10moeSoftmaxItLi256EEEvPKT_PKbPfi, .Lfunc_end308-_ZN4vllm3moe10moeSoftmaxItLi256EEEvPKT_PKbPfi
                                        ; -- End function
	.section	.AMDGPU.csdata,"",@progbits
; Kernel info:
; codeLenInByte = 1720
; NumSgprs: 18
; NumVgprs: 15
; ScratchSize: 0
; MemoryBound: 0
; FloatMode: 240
; IeeeMode: 1
; LDSByteSize: 40 bytes/workgroup (compile time only)
; SGPRBlocks: 2
; VGPRBlocks: 1
; NumSGPRsForWavesPerEU: 18
; NumVGPRsForWavesPerEU: 15
; Occupancy: 16
; WaveLimiterHint : 0
; COMPUTE_PGM_RSRC2:SCRATCH_EN: 0
; COMPUTE_PGM_RSRC2:USER_SGPR: 15
; COMPUTE_PGM_RSRC2:TRAP_HANDLER: 0
; COMPUTE_PGM_RSRC2:TGID_X_EN: 1
; COMPUTE_PGM_RSRC2:TGID_Y_EN: 0
; COMPUTE_PGM_RSRC2:TGID_Z_EN: 0
; COMPUTE_PGM_RSRC2:TIDIG_COMP_CNT: 0
	.section	.text._ZN4vllm3moe24applySharedExpertSigmoidItLi256EEEvPKT_Pfiiiii,"axG",@progbits,_ZN4vllm3moe24applySharedExpertSigmoidItLi256EEEvPKT_Pfiiiii,comdat
	.protected	_ZN4vllm3moe24applySharedExpertSigmoidItLi256EEEvPKT_Pfiiiii ; -- Begin function _ZN4vllm3moe24applySharedExpertSigmoidItLi256EEEvPKT_Pfiiiii
	.globl	_ZN4vllm3moe24applySharedExpertSigmoidItLi256EEEvPKT_Pfiiiii
	.p2align	8
	.type	_ZN4vllm3moe24applySharedExpertSigmoidItLi256EEEvPKT_Pfiiiii,@function
_ZN4vllm3moe24applySharedExpertSigmoidItLi256EEEvPKT_Pfiiiii: ; @_ZN4vllm3moe24applySharedExpertSigmoidItLi256EEEvPKT_Pfiiiii
; %bb.0:
	s_load_b128 s[4:7], s[0:1], 0x10
	s_waitcnt lgkmcnt(0)
	s_cmp_ge_i32 s15, s4
	s_cbranch_scc1 .LBB309_4
; %bb.1:
	s_load_b32 s2, s[0:1], 0x20
	s_mov_b32 s3, exec_lo
	v_cmpx_gt_i32_e64 s5, v0
	s_cbranch_execz .LBB309_4
; %bb.2:
	s_load_b128 s[8:11], s[0:1], 0x0
	v_mad_u64_u32 v[1:2], null, s15, s7, v[0:1]
	s_mul_i32 s1, s15, s6
	s_waitcnt lgkmcnt(0)
	s_add_i32 s1, s1, s2
	s_mov_b32 s2, 0
	s_delay_alu instid0(VALU_DEP_1) | instskip(NEXT) | instid1(VALU_DEP_1)
	v_ashrrev_i32_e32 v2, 31, v1
	v_lshlrev_b64 v[1:2], 2, v[1:2]
	s_delay_alu instid0(VALU_DEP_1) | instskip(NEXT) | instid1(VALU_DEP_2)
	v_add_co_u32 v1, vcc_lo, s10, v1
	v_add_co_ci_u32_e32 v2, vcc_lo, s11, v2, vcc_lo
.LBB309_3:                              ; =>This Inner Loop Header: Depth=1
	v_add_nc_u32_e32 v3, s1, v0
	s_delay_alu instid0(VALU_DEP_1) | instskip(NEXT) | instid1(VALU_DEP_1)
	v_ashrrev_i32_e32 v4, 31, v3
	v_lshlrev_b64 v[3:4], 1, v[3:4]
	s_delay_alu instid0(VALU_DEP_1) | instskip(NEXT) | instid1(VALU_DEP_2)
	v_add_co_u32 v3, vcc_lo, s8, v3
	v_add_co_ci_u32_e32 v4, vcc_lo, s9, v4, vcc_lo
	global_load_u16 v3, v[3:4], off
	s_waitcnt vmcnt(0)
	v_cvt_f32_u32_e32 v3, v3
	s_delay_alu instid0(VALU_DEP_1) | instskip(SKIP_1) | instid1(VALU_DEP_2)
	v_mul_f32_e32 v4, 0xbfb8aa3b, v3
	v_cmp_nlt_f32_e32 vcc_lo, 0x42ce8ed0, v3
	v_fma_f32 v5, 0xbfb8aa3b, v3, -v4
	v_rndne_f32_e32 v6, v4
	s_delay_alu instid0(VALU_DEP_1) | instskip(NEXT) | instid1(VALU_DEP_1)
	v_dual_fmac_f32 v5, 0xb2a5705f, v3 :: v_dual_sub_f32 v4, v4, v6
	v_add_f32_e32 v4, v4, v5
	v_cvt_i32_f32_e32 v5, v6
	s_delay_alu instid0(VALU_DEP_2) | instskip(SKIP_2) | instid1(VALU_DEP_1)
	v_exp_f32_e32 v4, v4
	s_waitcnt_depctr 0xfff
	v_ldexp_f32 v4, v4, v5
	v_cndmask_b32_e32 v4, 0, v4, vcc_lo
	v_cmp_ngt_f32_e32 vcc_lo, 0xc2b17218, v3
	s_delay_alu instid0(VALU_DEP_2) | instskip(NEXT) | instid1(VALU_DEP_1)
	v_cndmask_b32_e32 v3, 0x7f800000, v4, vcc_lo
	v_add_f32_e32 v3, 1.0, v3
	s_delay_alu instid0(VALU_DEP_1) | instskip(SKIP_1) | instid1(VALU_DEP_2)
	v_div_scale_f32 v4, null, v3, v3, 1.0
	v_div_scale_f32 v6, vcc_lo, 1.0, v3, 1.0
	v_rcp_f32_e32 v5, v4
	s_waitcnt_depctr 0xfff
	v_fma_f32 v7, -v4, v5, 1.0
	s_delay_alu instid0(VALU_DEP_1) | instskip(NEXT) | instid1(VALU_DEP_1)
	v_dual_fmac_f32 v5, v7, v5 :: v_dual_add_nc_u32 v0, 0x100, v0
	v_mul_f32_e32 v7, v6, v5
	s_delay_alu instid0(VALU_DEP_2) | instskip(NEXT) | instid1(VALU_DEP_2)
	v_cmp_le_i32_e64 s0, s5, v0
	v_fma_f32 v8, -v4, v7, v6
	s_delay_alu instid0(VALU_DEP_2) | instskip(NEXT) | instid1(VALU_DEP_1)
	s_or_b32 s2, s0, s2
	v_fmac_f32_e32 v7, v8, v5
	s_delay_alu instid0(VALU_DEP_1) | instskip(NEXT) | instid1(VALU_DEP_1)
	v_fma_f32 v4, -v4, v7, v6
	v_div_fmas_f32 v4, v4, v5, v7
	s_delay_alu instid0(VALU_DEP_1)
	v_div_fixup_f32 v3, v4, v3, 1.0
	global_store_b32 v[1:2], v3, off
	v_add_co_u32 v1, vcc_lo, 0x400, v1
	v_add_co_ci_u32_e32 v2, vcc_lo, 0, v2, vcc_lo
	s_and_not1_b32 exec_lo, exec_lo, s2
	s_cbranch_execnz .LBB309_3
.LBB309_4:
	s_nop 0
	s_sendmsg sendmsg(MSG_DEALLOC_VGPRS)
	s_endpgm
	.section	.rodata,"a",@progbits
	.p2align	6, 0x0
	.amdhsa_kernel _ZN4vllm3moe24applySharedExpertSigmoidItLi256EEEvPKT_Pfiiiii
		.amdhsa_group_segment_fixed_size 0
		.amdhsa_private_segment_fixed_size 0
		.amdhsa_kernarg_size 36
		.amdhsa_user_sgpr_count 15
		.amdhsa_user_sgpr_dispatch_ptr 0
		.amdhsa_user_sgpr_queue_ptr 0
		.amdhsa_user_sgpr_kernarg_segment_ptr 1
		.amdhsa_user_sgpr_dispatch_id 0
		.amdhsa_user_sgpr_private_segment_size 0
		.amdhsa_wavefront_size32 1
		.amdhsa_uses_dynamic_stack 0
		.amdhsa_enable_private_segment 0
		.amdhsa_system_sgpr_workgroup_id_x 1
		.amdhsa_system_sgpr_workgroup_id_y 0
		.amdhsa_system_sgpr_workgroup_id_z 0
		.amdhsa_system_sgpr_workgroup_info 0
		.amdhsa_system_vgpr_workitem_id 0
		.amdhsa_next_free_vgpr 9
		.amdhsa_next_free_sgpr 16
		.amdhsa_reserve_vcc 1
		.amdhsa_float_round_mode_32 0
		.amdhsa_float_round_mode_16_64 0
		.amdhsa_float_denorm_mode_32 3
		.amdhsa_float_denorm_mode_16_64 3
		.amdhsa_dx10_clamp 1
		.amdhsa_ieee_mode 1
		.amdhsa_fp16_overflow 0
		.amdhsa_workgroup_processor_mode 1
		.amdhsa_memory_ordered 1
		.amdhsa_forward_progress 0
		.amdhsa_shared_vgpr_count 0
		.amdhsa_exception_fp_ieee_invalid_op 0
		.amdhsa_exception_fp_denorm_src 0
		.amdhsa_exception_fp_ieee_div_zero 0
		.amdhsa_exception_fp_ieee_overflow 0
		.amdhsa_exception_fp_ieee_underflow 0
		.amdhsa_exception_fp_ieee_inexact 0
		.amdhsa_exception_int_div_zero 0
	.end_amdhsa_kernel
	.section	.text._ZN4vllm3moe24applySharedExpertSigmoidItLi256EEEvPKT_Pfiiiii,"axG",@progbits,_ZN4vllm3moe24applySharedExpertSigmoidItLi256EEEvPKT_Pfiiiii,comdat
.Lfunc_end309:
	.size	_ZN4vllm3moe24applySharedExpertSigmoidItLi256EEEvPKT_Pfiiiii, .Lfunc_end309-_ZN4vllm3moe24applySharedExpertSigmoidItLi256EEEvPKT_Pfiiiii
                                        ; -- End function
	.section	.AMDGPU.csdata,"",@progbits
; Kernel info:
; codeLenInByte = 432
; NumSgprs: 18
; NumVgprs: 9
; ScratchSize: 0
; MemoryBound: 0
; FloatMode: 240
; IeeeMode: 1
; LDSByteSize: 0 bytes/workgroup (compile time only)
; SGPRBlocks: 2
; VGPRBlocks: 1
; NumSGPRsForWavesPerEU: 18
; NumVGPRsForWavesPerEU: 9
; Occupancy: 16
; WaveLimiterHint : 0
; COMPUTE_PGM_RSRC2:SCRATCH_EN: 0
; COMPUTE_PGM_RSRC2:USER_SGPR: 15
; COMPUTE_PGM_RSRC2:TRAP_HANDLER: 0
; COMPUTE_PGM_RSRC2:TGID_X_EN: 1
; COMPUTE_PGM_RSRC2:TGID_Y_EN: 0
; COMPUTE_PGM_RSRC2:TGID_Z_EN: 0
; COMPUTE_PGM_RSRC2:TIDIG_COMP_CNT: 0
	.section	.text._ZN4vllm3moe14moe_sum_kernelIfLi2EEEvPT_PKS2_i,"axG",@progbits,_ZN4vllm3moe14moe_sum_kernelIfLi2EEEvPT_PKS2_i,comdat
	.protected	_ZN4vllm3moe14moe_sum_kernelIfLi2EEEvPT_PKS2_i ; -- Begin function _ZN4vllm3moe14moe_sum_kernelIfLi2EEEvPT_PKS2_i
	.globl	_ZN4vllm3moe14moe_sum_kernelIfLi2EEEvPT_PKS2_i
	.p2align	8
	.type	_ZN4vllm3moe14moe_sum_kernelIfLi2EEEvPT_PKS2_i,@function
_ZN4vllm3moe14moe_sum_kernelIfLi2EEEvPT_PKS2_i: ; @_ZN4vllm3moe14moe_sum_kernelIfLi2EEEvPT_PKS2_i
; %bb.0:
	s_load_b32 s8, s[0:1], 0x10
	s_mov_b32 s3, exec_lo
	s_waitcnt lgkmcnt(0)
	v_cmpx_gt_i32_e64 s8, v0
	s_cbranch_execz .LBB310_3
; %bb.1:
	s_clause 0x1
	s_load_b128 s[4:7], s[0:1], 0x0
	s_load_b32 s0, s[0:1], 0x24
	s_ashr_i32 s9, s8, 31
	s_mul_hi_u32 s1, s15, s8
	s_mul_i32 s3, s15, s9
	s_mul_i32 s12, s15, s8
	s_add_i32 s13, s1, s3
	s_mov_b32 s2, s15
	s_lshl_b64 s[10:11], s[12:13], 3
	s_mov_b32 s3, 0
	v_dual_mov_b32 v1, 0 :: v_dual_lshlrev_b32 v2, 2, v0
	s_delay_alu instid0(VALU_DEP_1) | instskip(SKIP_4) | instid1(SALU_CYCLE_1)
	v_mov_b32_e32 v3, v1
	s_waitcnt lgkmcnt(0)
	s_add_u32 s1, s6, s10
	s_addc_u32 s10, s7, s11
	s_lshl_b64 s[12:13], s[12:13], 2
	s_add_u32 s4, s4, s12
	s_addc_u32 s5, s5, s13
	s_lshl_b64 s[12:13], s[2:3], 3
	s_and_b32 s2, s0, 0xffff
	s_or_b32 s12, s12, 4
	s_mul_i32 s13, s13, s8
	s_mul_i32 s0, s12, s9
	s_mul_hi_u32 s14, s12, s8
	s_mul_i32 s12, s12, s8
	s_add_i32 s0, s14, s0
	s_lshl_b32 s11, s2, 2
	s_add_i32 s0, s0, s13
	s_add_u32 s6, s6, s12
	s_addc_u32 s7, s7, s0
	.p2align	6
.LBB310_2:                              ; =>This Inner Loop Header: Depth=1
	v_add_co_u32 v4, vcc_lo, s1, v2
	v_add_co_ci_u32_e32 v5, vcc_lo, s10, v3, vcc_lo
	v_add_co_u32 v6, vcc_lo, s6, v2
	v_add_co_ci_u32_e32 v7, vcc_lo, s7, v3, vcc_lo
	v_add_co_u32 v0, vcc_lo, v0, s2
	s_clause 0x1
	global_load_b32 v8, v[4:5], off
	global_load_b32 v6, v[6:7], off
	v_add_co_ci_u32_e32 v1, vcc_lo, 0, v1, vcc_lo
	v_add_co_u32 v4, vcc_lo, s4, v2
	v_add_co_ci_u32_e32 v5, vcc_lo, s5, v3, vcc_lo
	s_delay_alu instid0(VALU_DEP_3) | instskip(SKIP_1) | instid1(VALU_DEP_1)
	v_cmp_le_i64_e32 vcc_lo, s[8:9], v[0:1]
	v_add_co_u32 v2, s0, v2, s11
	v_add_co_ci_u32_e64 v3, s0, 0, v3, s0
	s_or_b32 s3, vcc_lo, s3
	s_waitcnt vmcnt(1)
	v_add_f32_e32 v7, 0, v8
	s_waitcnt vmcnt(0)
	s_delay_alu instid0(VALU_DEP_1)
	v_add_f32_e32 v6, v7, v6
	global_store_b32 v[4:5], v6, off
	s_and_not1_b32 exec_lo, exec_lo, s3
	s_cbranch_execnz .LBB310_2
.LBB310_3:
	s_nop 0
	s_sendmsg sendmsg(MSG_DEALLOC_VGPRS)
	s_endpgm
	.section	.rodata,"a",@progbits
	.p2align	6, 0x0
	.amdhsa_kernel _ZN4vllm3moe14moe_sum_kernelIfLi2EEEvPT_PKS2_i
		.amdhsa_group_segment_fixed_size 0
		.amdhsa_private_segment_fixed_size 0
		.amdhsa_kernarg_size 280
		.amdhsa_user_sgpr_count 15
		.amdhsa_user_sgpr_dispatch_ptr 0
		.amdhsa_user_sgpr_queue_ptr 0
		.amdhsa_user_sgpr_kernarg_segment_ptr 1
		.amdhsa_user_sgpr_dispatch_id 0
		.amdhsa_user_sgpr_private_segment_size 0
		.amdhsa_wavefront_size32 1
		.amdhsa_uses_dynamic_stack 0
		.amdhsa_enable_private_segment 0
		.amdhsa_system_sgpr_workgroup_id_x 1
		.amdhsa_system_sgpr_workgroup_id_y 0
		.amdhsa_system_sgpr_workgroup_id_z 0
		.amdhsa_system_sgpr_workgroup_info 0
		.amdhsa_system_vgpr_workitem_id 0
		.amdhsa_next_free_vgpr 9
		.amdhsa_next_free_sgpr 16
		.amdhsa_reserve_vcc 1
		.amdhsa_float_round_mode_32 0
		.amdhsa_float_round_mode_16_64 0
		.amdhsa_float_denorm_mode_32 3
		.amdhsa_float_denorm_mode_16_64 3
		.amdhsa_dx10_clamp 1
		.amdhsa_ieee_mode 1
		.amdhsa_fp16_overflow 0
		.amdhsa_workgroup_processor_mode 1
		.amdhsa_memory_ordered 1
		.amdhsa_forward_progress 0
		.amdhsa_shared_vgpr_count 0
		.amdhsa_exception_fp_ieee_invalid_op 0
		.amdhsa_exception_fp_denorm_src 0
		.amdhsa_exception_fp_ieee_div_zero 0
		.amdhsa_exception_fp_ieee_overflow 0
		.amdhsa_exception_fp_ieee_underflow 0
		.amdhsa_exception_fp_ieee_inexact 0
		.amdhsa_exception_int_div_zero 0
	.end_amdhsa_kernel
	.section	.text._ZN4vllm3moe14moe_sum_kernelIfLi2EEEvPT_PKS2_i,"axG",@progbits,_ZN4vllm3moe14moe_sum_kernelIfLi2EEEvPT_PKS2_i,comdat
.Lfunc_end310:
	.size	_ZN4vllm3moe14moe_sum_kernelIfLi2EEEvPT_PKS2_i, .Lfunc_end310-_ZN4vllm3moe14moe_sum_kernelIfLi2EEEvPT_PKS2_i
                                        ; -- End function
	.section	.AMDGPU.csdata,"",@progbits
; Kernel info:
; codeLenInByte = 316
; NumSgprs: 18
; NumVgprs: 9
; ScratchSize: 0
; MemoryBound: 0
; FloatMode: 240
; IeeeMode: 1
; LDSByteSize: 0 bytes/workgroup (compile time only)
; SGPRBlocks: 2
; VGPRBlocks: 1
; NumSGPRsForWavesPerEU: 18
; NumVGPRsForWavesPerEU: 9
; Occupancy: 16
; WaveLimiterHint : 0
; COMPUTE_PGM_RSRC2:SCRATCH_EN: 0
; COMPUTE_PGM_RSRC2:USER_SGPR: 15
; COMPUTE_PGM_RSRC2:TRAP_HANDLER: 0
; COMPUTE_PGM_RSRC2:TGID_X_EN: 1
; COMPUTE_PGM_RSRC2:TGID_Y_EN: 0
; COMPUTE_PGM_RSRC2:TGID_Z_EN: 0
; COMPUTE_PGM_RSRC2:TIDIG_COMP_CNT: 0
	.section	.text._ZN4vllm3moe14moe_sum_kernelIN3c104HalfELi2EEEvPT_PKS4_i,"axG",@progbits,_ZN4vllm3moe14moe_sum_kernelIN3c104HalfELi2EEEvPT_PKS4_i,comdat
	.protected	_ZN4vllm3moe14moe_sum_kernelIN3c104HalfELi2EEEvPT_PKS4_i ; -- Begin function _ZN4vllm3moe14moe_sum_kernelIN3c104HalfELi2EEEvPT_PKS4_i
	.globl	_ZN4vllm3moe14moe_sum_kernelIN3c104HalfELi2EEEvPT_PKS4_i
	.p2align	8
	.type	_ZN4vllm3moe14moe_sum_kernelIN3c104HalfELi2EEEvPT_PKS4_i,@function
_ZN4vllm3moe14moe_sum_kernelIN3c104HalfELi2EEEvPT_PKS4_i: ; @_ZN4vllm3moe14moe_sum_kernelIN3c104HalfELi2EEEvPT_PKS4_i
; %bb.0:
	s_load_b32 s4, s[0:1], 0x10
	s_mov_b32 s2, exec_lo
	s_waitcnt lgkmcnt(0)
	v_cmpx_gt_i32_e64 s4, v0
	s_cbranch_execz .LBB311_14
; %bb.1:
	s_clause 0x1
	s_load_b32 s2, s[0:1], 0x24
	s_load_b64 s[6:7], s[0:1], 0x8
	s_ashr_i32 s5, s4, 31
	s_mov_b32 s8, s15
	s_waitcnt lgkmcnt(0)
	s_and_b32 s12, s2, 0xffff
	s_delay_alu instid0(SALU_CYCLE_1) | instskip(NEXT) | instid1(VALU_DEP_1)
	v_add_co_u32 v1, s2, v0, s12
	v_add_co_ci_u32_e64 v2, null, 0, 0, s2
	s_delay_alu instid0(VALU_DEP_1) | instskip(SKIP_1) | instid1(VALU_DEP_2)
	v_cmp_gt_i64_e64 s2, s[4:5], v[1:2]
	v_cmp_lt_i64_e32 vcc_lo, s[4:5], v[1:2]
	v_cndmask_b32_e64 v6, 0, 1, s2
	v_cndmask_b32_e32 v3, s5, v2, vcc_lo
	v_cndmask_b32_e32 v4, s4, v1, vcc_lo
	s_mov_b32 s2, exec_lo
	s_delay_alu instid0(VALU_DEP_3) | instskip(SKIP_2) | instid1(VALU_DEP_3)
	v_add_co_u32 v5, vcc_lo, v1, v6
	v_mov_b32_e32 v1, 0
	v_add_co_ci_u32_e32 v2, vcc_lo, 0, v2, vcc_lo
	v_sub_co_u32 v7, vcc_lo, v4, v5
                                        ; implicit-def: $vgpr4_vgpr5
	s_delay_alu instid0(VALU_DEP_2) | instskip(NEXT) | instid1(VALU_DEP_4)
	v_sub_co_ci_u32_e32 v3, vcc_lo, v3, v2, vcc_lo
	v_mov_b32_e32 v2, v1
	s_delay_alu instid0(VALU_DEP_1)
	v_cmpx_ne_u64_e32 0, v[2:3]
	s_xor_b32 s3, exec_lo, s2
	s_cbranch_execz .LBB311_3
; %bb.2:
	v_cvt_f32_u32_e32 v2, s12
	s_sub_u32 s2, 0, s12
	s_subb_u32 s9, 0, 0
	s_delay_alu instid0(VALU_DEP_1) | instskip(NEXT) | instid1(VALU_DEP_1)
	v_fmamk_f32 v2, 0, 0x4f800000, v2
	v_rcp_f32_e32 v2, v2
	s_waitcnt_depctr 0xfff
	v_mul_f32_e32 v2, 0x5f7ffffc, v2
	s_delay_alu instid0(VALU_DEP_1) | instskip(NEXT) | instid1(VALU_DEP_1)
	v_mul_f32_e32 v4, 0x2f800000, v2
	v_trunc_f32_e32 v4, v4
	s_delay_alu instid0(VALU_DEP_1) | instskip(SKIP_1) | instid1(VALU_DEP_2)
	v_fmamk_f32 v2, v4, 0xcf800000, v2
	v_cvt_u32_f32_e32 v4, v4
	v_cvt_u32_f32_e32 v2, v2
	s_delay_alu instid0(VALU_DEP_2) | instskip(NEXT) | instid1(VALU_DEP_2)
	v_mul_lo_u32 v5, s2, v4
	v_mul_hi_u32 v8, s2, v2
	v_mul_lo_u32 v9, s9, v2
	s_delay_alu instid0(VALU_DEP_2) | instskip(SKIP_1) | instid1(VALU_DEP_2)
	v_add_nc_u32_e32 v5, v8, v5
	v_mul_lo_u32 v8, s2, v2
	v_add_nc_u32_e32 v5, v5, v9
	s_delay_alu instid0(VALU_DEP_2) | instskip(NEXT) | instid1(VALU_DEP_2)
	v_mul_hi_u32 v9, v2, v8
	v_mul_lo_u32 v10, v2, v5
	v_mul_hi_u32 v11, v2, v5
	v_mul_hi_u32 v12, v4, v8
	v_mul_lo_u32 v8, v4, v8
	v_mul_hi_u32 v13, v4, v5
	v_mul_lo_u32 v5, v4, v5
	v_add_co_u32 v9, vcc_lo, v9, v10
	v_add_co_ci_u32_e32 v10, vcc_lo, 0, v11, vcc_lo
	s_delay_alu instid0(VALU_DEP_2) | instskip(NEXT) | instid1(VALU_DEP_2)
	v_add_co_u32 v8, vcc_lo, v9, v8
	v_add_co_ci_u32_e32 v8, vcc_lo, v10, v12, vcc_lo
	v_add_co_ci_u32_e32 v9, vcc_lo, 0, v13, vcc_lo
	s_delay_alu instid0(VALU_DEP_2) | instskip(NEXT) | instid1(VALU_DEP_2)
	v_add_co_u32 v5, vcc_lo, v8, v5
	v_add_co_ci_u32_e32 v8, vcc_lo, 0, v9, vcc_lo
	s_delay_alu instid0(VALU_DEP_2) | instskip(NEXT) | instid1(VALU_DEP_2)
	v_add_co_u32 v2, vcc_lo, v2, v5
	v_add_co_ci_u32_e32 v4, vcc_lo, v4, v8, vcc_lo
	s_delay_alu instid0(VALU_DEP_2) | instskip(SKIP_1) | instid1(VALU_DEP_3)
	v_mul_hi_u32 v5, s2, v2
	v_mul_lo_u32 v9, s9, v2
	v_mul_lo_u32 v8, s2, v4
	s_delay_alu instid0(VALU_DEP_1) | instskip(SKIP_1) | instid1(VALU_DEP_2)
	v_add_nc_u32_e32 v5, v5, v8
	v_mul_lo_u32 v8, s2, v2
	v_add_nc_u32_e32 v5, v5, v9
	s_delay_alu instid0(VALU_DEP_2) | instskip(NEXT) | instid1(VALU_DEP_2)
	v_mul_hi_u32 v9, v2, v8
	v_mul_lo_u32 v10, v2, v5
	v_mul_hi_u32 v11, v2, v5
	v_mul_hi_u32 v12, v4, v8
	v_mul_lo_u32 v8, v4, v8
	v_mul_hi_u32 v13, v4, v5
	v_mul_lo_u32 v5, v4, v5
	v_add_co_u32 v9, vcc_lo, v9, v10
	v_add_co_ci_u32_e32 v10, vcc_lo, 0, v11, vcc_lo
	s_delay_alu instid0(VALU_DEP_2) | instskip(NEXT) | instid1(VALU_DEP_2)
	v_add_co_u32 v8, vcc_lo, v9, v8
	v_add_co_ci_u32_e32 v8, vcc_lo, v10, v12, vcc_lo
	v_add_co_ci_u32_e32 v9, vcc_lo, 0, v13, vcc_lo
	s_delay_alu instid0(VALU_DEP_2) | instskip(NEXT) | instid1(VALU_DEP_2)
	v_add_co_u32 v5, vcc_lo, v8, v5
	v_add_co_ci_u32_e32 v8, vcc_lo, 0, v9, vcc_lo
	s_delay_alu instid0(VALU_DEP_2) | instskip(NEXT) | instid1(VALU_DEP_2)
	v_add_co_u32 v2, vcc_lo, v2, v5
	v_add_co_ci_u32_e32 v12, vcc_lo, v4, v8, vcc_lo
	s_delay_alu instid0(VALU_DEP_2) | instskip(SKIP_1) | instid1(VALU_DEP_3)
	v_mul_hi_u32 v13, v7, v2
	v_mad_u64_u32 v[8:9], null, v3, v2, 0
	v_mad_u64_u32 v[4:5], null, v7, v12, 0
	;; [unrolled: 1-line block ×3, first 2 shown]
	s_delay_alu instid0(VALU_DEP_2) | instskip(NEXT) | instid1(VALU_DEP_3)
	v_add_co_u32 v2, vcc_lo, v13, v4
	v_add_co_ci_u32_e32 v4, vcc_lo, 0, v5, vcc_lo
	s_delay_alu instid0(VALU_DEP_2) | instskip(NEXT) | instid1(VALU_DEP_2)
	v_add_co_u32 v2, vcc_lo, v2, v8
	v_add_co_ci_u32_e32 v2, vcc_lo, v4, v9, vcc_lo
	v_add_co_ci_u32_e32 v4, vcc_lo, 0, v11, vcc_lo
	s_delay_alu instid0(VALU_DEP_2) | instskip(NEXT) | instid1(VALU_DEP_2)
	v_add_co_u32 v10, vcc_lo, v2, v10
	v_add_co_ci_u32_e32 v11, vcc_lo, 0, v4, vcc_lo
	s_delay_alu instid0(VALU_DEP_2) | instskip(NEXT) | instid1(VALU_DEP_1)
	v_mad_u64_u32 v[4:5], null, s12, v10, 0
	v_mov_b32_e32 v2, v5
	s_delay_alu instid0(VALU_DEP_1) | instskip(NEXT) | instid1(VALU_DEP_3)
	v_mad_u64_u32 v[8:9], null, s12, v11, v[2:3]
	v_sub_co_u32 v2, vcc_lo, v7, v4
	s_delay_alu instid0(VALU_DEP_2) | instskip(NEXT) | instid1(VALU_DEP_2)
	v_sub_co_ci_u32_e32 v3, vcc_lo, v3, v8, vcc_lo
	v_sub_co_u32 v4, vcc_lo, v2, s12
	s_delay_alu instid0(VALU_DEP_2) | instskip(NEXT) | instid1(VALU_DEP_2)
	v_subrev_co_ci_u32_e32 v5, vcc_lo, 0, v3, vcc_lo
	v_cmp_le_u32_e32 vcc_lo, s12, v4
	v_cmp_eq_u32_e64 s2, 0, v3
	v_cndmask_b32_e64 v4, 0, -1, vcc_lo
	v_add_co_u32 v7, vcc_lo, v10, 2
	v_add_co_ci_u32_e32 v8, vcc_lo, 0, v11, vcc_lo
	v_cmp_le_u32_e32 vcc_lo, s12, v2
	v_cndmask_b32_e64 v2, 0, -1, vcc_lo
	v_cmp_eq_u32_e32 vcc_lo, 0, v5
	s_delay_alu instid0(VALU_DEP_2) | instskip(SKIP_3) | instid1(VALU_DEP_3)
	v_cndmask_b32_e64 v2, -1, v2, s2
	v_cndmask_b32_e32 v4, -1, v4, vcc_lo
	v_add_co_u32 v5, vcc_lo, v10, 1
	v_add_co_ci_u32_e32 v9, vcc_lo, 0, v11, vcc_lo
	v_cmp_ne_u32_e32 vcc_lo, 0, v4
	s_delay_alu instid0(VALU_DEP_2) | instskip(NEXT) | instid1(VALU_DEP_4)
	v_cndmask_b32_e32 v3, v9, v8, vcc_lo
	v_cndmask_b32_e32 v4, v5, v7, vcc_lo
	v_cmp_ne_u32_e32 vcc_lo, 0, v2
                                        ; implicit-def: $vgpr7
	s_delay_alu instid0(VALU_DEP_2)
	v_dual_cndmask_b32 v5, v11, v3 :: v_dual_cndmask_b32 v4, v10, v4
.LBB311_3:
	s_and_not1_saveexec_b32 s2, s3
	s_cbranch_execz .LBB311_5
; %bb.4:
	v_cvt_f32_u32_e32 v2, s12
	s_sub_i32 s3, 0, s12
	s_delay_alu instid0(VALU_DEP_1) | instskip(SKIP_2) | instid1(VALU_DEP_1)
	v_rcp_iflag_f32_e32 v2, v2
	s_waitcnt_depctr 0xfff
	v_mul_f32_e32 v2, 0x4f7ffffe, v2
	v_cvt_u32_f32_e32 v2, v2
	s_delay_alu instid0(VALU_DEP_1) | instskip(NEXT) | instid1(VALU_DEP_1)
	v_mul_lo_u32 v3, s3, v2
	v_mul_hi_u32 v3, v2, v3
	s_delay_alu instid0(VALU_DEP_1) | instskip(NEXT) | instid1(VALU_DEP_1)
	v_add_nc_u32_e32 v2, v2, v3
	v_mul_hi_u32 v2, v7, v2
	s_delay_alu instid0(VALU_DEP_1) | instskip(SKIP_1) | instid1(VALU_DEP_2)
	v_mul_lo_u32 v3, v2, s12
	v_add_nc_u32_e32 v4, 1, v2
	v_sub_nc_u32_e32 v3, v7, v3
	s_delay_alu instid0(VALU_DEP_1) | instskip(SKIP_1) | instid1(VALU_DEP_2)
	v_subrev_nc_u32_e32 v5, s12, v3
	v_cmp_le_u32_e32 vcc_lo, s12, v3
	v_cndmask_b32_e32 v3, v3, v5, vcc_lo
	v_dual_mov_b32 v5, 0 :: v_dual_cndmask_b32 v2, v2, v4
	s_delay_alu instid0(VALU_DEP_2) | instskip(NEXT) | instid1(VALU_DEP_2)
	v_cmp_le_u32_e32 vcc_lo, s12, v3
	v_add_nc_u32_e32 v4, 1, v2
	s_delay_alu instid0(VALU_DEP_1)
	v_cndmask_b32_e32 v4, v2, v4, vcc_lo
.LBB311_5:
	s_or_b32 exec_lo, exec_lo, s2
	s_load_b64 s[2:3], s[0:1], 0x0
	s_delay_alu instid0(VALU_DEP_1) | instskip(SKIP_2) | instid1(VALU_DEP_2)
	v_add_co_u32 v2, vcc_lo, v4, v6
	v_add_co_ci_u32_e32 v3, vcc_lo, 0, v5, vcc_lo
	s_mul_i32 s0, s8, s5
	v_add_co_u32 v2, vcc_lo, v2, 1
	s_delay_alu instid0(VALU_DEP_2) | instskip(SKIP_3) | instid1(VALU_DEP_1)
	v_add_co_ci_u32_e32 v3, vcc_lo, 0, v3, vcc_lo
	s_mul_hi_u32 s1, s8, s4
	s_mul_i32 s10, s8, s4
	s_add_i32 s11, s1, s0
	v_cmp_gt_u64_e32 vcc_lo, 4, v[2:3]
	v_cmp_ne_u16_e64 s15, s12, 1
	s_lshl_b64 s[0:1], s[10:11], 2
                                        ; kill: def $vgpr4_vgpr5 killed $sgpr0_sgpr1 killed $exec
	s_mov_b32 s9, 0
	v_mov_b32_e32 v5, v3
	s_add_u32 s13, s6, s0
	s_addc_u32 s14, s7, s1
	s_or_b32 s16, vcc_lo, s15
	s_mov_b32 s15, s9
                                        ; implicit-def: $sgpr0_sgpr1
	s_and_saveexec_b32 s17, s16
	s_delay_alu instid0(SALU_CYCLE_1)
	s_xor_b32 s16, exec_lo, s17
; %bb.6:
	s_lshl_b64 s[0:1], s[8:9], 2
	s_mov_b32 s15, exec_lo
	s_or_b32 s0, s0, 2
	s_mul_i32 s1, s1, s4
	s_mul_i32 s17, s0, s5
	s_mul_hi_u32 s18, s0, s4
	s_mul_i32 s0, s0, s4
	s_add_i32 s17, s18, s17
                                        ; implicit-def: $vgpr2_vgpr3
                                        ; implicit-def: $vgpr5
	s_delay_alu instid0(SALU_CYCLE_1)
	s_add_i32 s1, s17, s1
; %bb.7:
	s_or_saveexec_b32 s16, s16
	v_dual_mov_b32 v7, s1 :: v_dual_mov_b32 v6, s0
	s_xor_b32 exec_lo, exec_lo, s16
	s_cbranch_execz .LBB311_11
; %bb.8:
	s_lshl_b64 s[18:19], s[10:11], 1
	s_lshl_b32 s1, s12, 3
	s_waitcnt lgkmcnt(0)
	s_add_u32 s0, s18, s2
	s_addc_u32 s18, s19, s3
	s_add_u32 s17, s0, 4
	s_addc_u32 s18, s18, 0
	s_lshl_b64 s[8:9], s[8:9], 2
	v_dual_mov_b32 v9, 0 :: v_dual_and_b32 v4, -4, v2
	s_or_b32 s0, s8, 2
	v_dual_mov_b32 v7, v5 :: v_dual_lshlrev_b32 v8, 1, v0
	s_mul_i32 s8, s0, s5
	s_mul_hi_u32 s20, s0, s4
	s_mul_i32 s9, s9, s4
	s_add_i32 s20, s20, s8
	s_mul_i32 s8, s0, s4
	v_mov_b32_e32 v6, v4
	s_add_i32 s9, s20, s9
	s_add_u32 s20, s6, s8
	s_mov_b32 s19, 0
	s_addc_u32 s21, s7, s9
	s_set_inst_prefetch_distance 0x1
	.p2align	6
.LBB311_9:                              ; =>This Inner Loop Header: Depth=1
	v_add_co_u32 v10, vcc_lo, s13, v8
	v_add_co_ci_u32_e32 v11, vcc_lo, s14, v9, vcc_lo
	v_add_co_u32 v12, vcc_lo, s20, v8
	v_add_co_ci_u32_e32 v13, vcc_lo, s21, v9, vcc_lo
	v_add_co_u32 v14, vcc_lo, s17, v8
	s_clause 0x1
	global_load_b64 v[10:11], v[10:11], off
	global_load_b64 v[12:13], v[12:13], off
	v_add_co_ci_u32_e32 v15, vcc_lo, s18, v9, vcc_lo
	v_add_co_u32 v6, vcc_lo, v6, -4
	v_add_co_ci_u32_e32 v7, vcc_lo, -1, v7, vcc_lo
	v_add_co_u32 v8, vcc_lo, v8, s1
	v_add_co_ci_u32_e32 v9, vcc_lo, 0, v9, vcc_lo
	s_delay_alu instid0(VALU_DEP_3) | instskip(NEXT) | instid1(VALU_DEP_1)
	v_cmp_eq_u64_e64 s0, 0, v[6:7]
	s_or_b32 s19, s0, s19
	s_waitcnt vmcnt(1)
	v_pk_add_f16 v10, v10, 0
	v_pk_add_f16 v11, v11, 0
	s_waitcnt vmcnt(0)
	s_delay_alu instid0(VALU_DEP_2) | instskip(NEXT) | instid1(VALU_DEP_2)
	v_pk_add_f16 v10, v10, v12
	v_pk_add_f16 v11, v11, v13
	global_store_b64 v[14:15], v[10:11], off offset:-4
	s_and_not1_b32 exec_lo, exec_lo, s19
	s_cbranch_execnz .LBB311_9
; %bb.10:
	s_set_inst_prefetch_distance 0x2
	s_or_b32 exec_lo, exec_lo, s19
	v_mad_u64_u32 v[8:9], null, v4, s12, v[0:1]
	v_cmp_ne_u64_e32 vcc_lo, v[2:3], v[4:5]
	s_and_not1_b32 s0, s15, exec_lo
	s_and_b32 s1, vcc_lo, exec_lo
	s_delay_alu instid0(VALU_DEP_2) | instskip(SKIP_1) | instid1(VALU_DEP_1)
	v_mov_b32_e32 v0, v9
	s_or_b32 s15, s0, s1
	v_mad_u64_u32 v[6:7], null, v5, s12, v[0:1]
	s_delay_alu instid0(VALU_DEP_1) | instskip(SKIP_1) | instid1(VALU_DEP_2)
	v_dual_mov_b32 v9, v6 :: v_dual_mov_b32 v6, s8
	v_dual_mov_b32 v7, s9 :: v_dual_mov_b32 v0, v8
	v_mov_b32_e32 v1, v9
.LBB311_11:
	s_or_b32 exec_lo, exec_lo, s16
	s_delay_alu instid0(SALU_CYCLE_1)
	s_and_b32 exec_lo, exec_lo, s15
	s_cbranch_execz .LBB311_14
; %bb.12:
	v_add_co_u32 v4, vcc_lo, s6, v6
	v_lshlrev_b64 v[2:3], 1, v[0:1]
	s_lshl_b64 s[8:9], s[10:11], 1
	v_add_co_ci_u32_e32 v5, vcc_lo, s7, v7, vcc_lo
	s_waitcnt lgkmcnt(0)
	s_add_u32 s1, s2, s8
	s_addc_u32 s2, s3, s9
	s_lshl_b32 s3, s12, 1
	s_mov_b32 s6, 0
	.p2align	6
.LBB311_13:                             ; =>This Inner Loop Header: Depth=1
	v_add_co_u32 v6, vcc_lo, s13, v2
	v_add_co_ci_u32_e32 v7, vcc_lo, s14, v3, vcc_lo
	v_add_co_u32 v8, vcc_lo, v4, v2
	v_add_co_ci_u32_e32 v9, vcc_lo, v5, v3, vcc_lo
	v_add_co_u32 v0, vcc_lo, v0, s12
	s_clause 0x1
	global_load_u16 v10, v[6:7], off
	global_load_u16 v8, v[8:9], off
	v_add_co_ci_u32_e32 v1, vcc_lo, 0, v1, vcc_lo
	v_add_co_u32 v6, vcc_lo, s1, v2
	v_add_co_ci_u32_e32 v7, vcc_lo, s2, v3, vcc_lo
	s_delay_alu instid0(VALU_DEP_3) | instskip(SKIP_1) | instid1(VALU_DEP_1)
	v_cmp_le_i64_e32 vcc_lo, s[4:5], v[0:1]
	v_add_co_u32 v2, s0, v2, s3
	v_add_co_ci_u32_e64 v3, s0, 0, v3, s0
	s_or_b32 s6, vcc_lo, s6
	s_waitcnt vmcnt(1)
	v_add_f16_e32 v9, 0, v10
	s_waitcnt vmcnt(0)
	s_delay_alu instid0(VALU_DEP_1)
	v_add_f16_e32 v8, v9, v8
	global_store_b16 v[6:7], v8, off
	s_and_not1_b32 exec_lo, exec_lo, s6
	s_cbranch_execnz .LBB311_13
.LBB311_14:
	s_nop 0
	s_sendmsg sendmsg(MSG_DEALLOC_VGPRS)
	s_endpgm
	.section	.rodata,"a",@progbits
	.p2align	6, 0x0
	.amdhsa_kernel _ZN4vllm3moe14moe_sum_kernelIN3c104HalfELi2EEEvPT_PKS4_i
		.amdhsa_group_segment_fixed_size 0
		.amdhsa_private_segment_fixed_size 0
		.amdhsa_kernarg_size 280
		.amdhsa_user_sgpr_count 15
		.amdhsa_user_sgpr_dispatch_ptr 0
		.amdhsa_user_sgpr_queue_ptr 0
		.amdhsa_user_sgpr_kernarg_segment_ptr 1
		.amdhsa_user_sgpr_dispatch_id 0
		.amdhsa_user_sgpr_private_segment_size 0
		.amdhsa_wavefront_size32 1
		.amdhsa_uses_dynamic_stack 0
		.amdhsa_enable_private_segment 0
		.amdhsa_system_sgpr_workgroup_id_x 1
		.amdhsa_system_sgpr_workgroup_id_y 0
		.amdhsa_system_sgpr_workgroup_id_z 0
		.amdhsa_system_sgpr_workgroup_info 0
		.amdhsa_system_vgpr_workitem_id 0
		.amdhsa_next_free_vgpr 16
		.amdhsa_next_free_sgpr 22
		.amdhsa_reserve_vcc 1
		.amdhsa_float_round_mode_32 0
		.amdhsa_float_round_mode_16_64 0
		.amdhsa_float_denorm_mode_32 3
		.amdhsa_float_denorm_mode_16_64 3
		.amdhsa_dx10_clamp 1
		.amdhsa_ieee_mode 1
		.amdhsa_fp16_overflow 0
		.amdhsa_workgroup_processor_mode 1
		.amdhsa_memory_ordered 1
		.amdhsa_forward_progress 0
		.amdhsa_shared_vgpr_count 0
		.amdhsa_exception_fp_ieee_invalid_op 0
		.amdhsa_exception_fp_denorm_src 0
		.amdhsa_exception_fp_ieee_div_zero 0
		.amdhsa_exception_fp_ieee_overflow 0
		.amdhsa_exception_fp_ieee_underflow 0
		.amdhsa_exception_fp_ieee_inexact 0
		.amdhsa_exception_int_div_zero 0
	.end_amdhsa_kernel
	.section	.text._ZN4vllm3moe14moe_sum_kernelIN3c104HalfELi2EEEvPT_PKS4_i,"axG",@progbits,_ZN4vllm3moe14moe_sum_kernelIN3c104HalfELi2EEEvPT_PKS4_i,comdat
.Lfunc_end311:
	.size	_ZN4vllm3moe14moe_sum_kernelIN3c104HalfELi2EEEvPT_PKS4_i, .Lfunc_end311-_ZN4vllm3moe14moe_sum_kernelIN3c104HalfELi2EEEvPT_PKS4_i
                                        ; -- End function
	.section	.AMDGPU.csdata,"",@progbits
; Kernel info:
; codeLenInByte = 1696
; NumSgprs: 24
; NumVgprs: 16
; ScratchSize: 0
; MemoryBound: 0
; FloatMode: 240
; IeeeMode: 1
; LDSByteSize: 0 bytes/workgroup (compile time only)
; SGPRBlocks: 2
; VGPRBlocks: 1
; NumSGPRsForWavesPerEU: 24
; NumVGPRsForWavesPerEU: 16
; Occupancy: 16
; WaveLimiterHint : 0
; COMPUTE_PGM_RSRC2:SCRATCH_EN: 0
; COMPUTE_PGM_RSRC2:USER_SGPR: 15
; COMPUTE_PGM_RSRC2:TRAP_HANDLER: 0
; COMPUTE_PGM_RSRC2:TGID_X_EN: 1
; COMPUTE_PGM_RSRC2:TGID_Y_EN: 0
; COMPUTE_PGM_RSRC2:TGID_Z_EN: 0
; COMPUTE_PGM_RSRC2:TIDIG_COMP_CNT: 0
	.section	.text._ZN4vllm3moe14moe_sum_kernelIN3c108BFloat16ELi2EEEvPT_PKS4_i,"axG",@progbits,_ZN4vllm3moe14moe_sum_kernelIN3c108BFloat16ELi2EEEvPT_PKS4_i,comdat
	.protected	_ZN4vllm3moe14moe_sum_kernelIN3c108BFloat16ELi2EEEvPT_PKS4_i ; -- Begin function _ZN4vllm3moe14moe_sum_kernelIN3c108BFloat16ELi2EEEvPT_PKS4_i
	.globl	_ZN4vllm3moe14moe_sum_kernelIN3c108BFloat16ELi2EEEvPT_PKS4_i
	.p2align	8
	.type	_ZN4vllm3moe14moe_sum_kernelIN3c108BFloat16ELi2EEEvPT_PKS4_i,@function
_ZN4vllm3moe14moe_sum_kernelIN3c108BFloat16ELi2EEEvPT_PKS4_i: ; @_ZN4vllm3moe14moe_sum_kernelIN3c108BFloat16ELi2EEEvPT_PKS4_i
; %bb.0:
	s_load_b32 s8, s[0:1], 0x10
	s_mov_b32 s2, exec_lo
	s_waitcnt lgkmcnt(0)
	v_cmpx_gt_i32_e64 s8, v0
	s_cbranch_execz .LBB312_14
; %bb.1:
	s_clause 0x1
	s_load_b32 s2, s[0:1], 0x24
	s_load_b128 s[4:7], s[0:1], 0x0
	s_ashr_i32 s9, s8, 31
	s_mov_b32 s10, s15
	s_mov_b32 s0, exec_lo
	s_waitcnt lgkmcnt(0)
	s_and_b32 s12, s2, 0xffff
	s_delay_alu instid0(SALU_CYCLE_1) | instskip(NEXT) | instid1(VALU_DEP_1)
	v_add_co_u32 v1, s2, v0, s12
	v_add_co_ci_u32_e64 v2, null, 0, 0, s2
	s_delay_alu instid0(VALU_DEP_1) | instskip(SKIP_1) | instid1(VALU_DEP_2)
	v_cmp_gt_i64_e64 s2, s[8:9], v[1:2]
	v_cmp_lt_i64_e32 vcc_lo, s[8:9], v[1:2]
	v_cndmask_b32_e64 v6, 0, 1, s2
	v_cndmask_b32_e32 v3, s9, v2, vcc_lo
	v_cndmask_b32_e32 v4, s8, v1, vcc_lo
	s_delay_alu instid0(VALU_DEP_3) | instskip(SKIP_2) | instid1(VALU_DEP_3)
	v_add_co_u32 v5, vcc_lo, v1, v6
	v_mov_b32_e32 v1, 0
	v_add_co_ci_u32_e32 v2, vcc_lo, 0, v2, vcc_lo
	v_sub_co_u32 v7, vcc_lo, v4, v5
                                        ; implicit-def: $vgpr4_vgpr5
	s_delay_alu instid0(VALU_DEP_2) | instskip(NEXT) | instid1(VALU_DEP_4)
	v_sub_co_ci_u32_e32 v3, vcc_lo, v3, v2, vcc_lo
	v_mov_b32_e32 v2, v1
	s_delay_alu instid0(VALU_DEP_1)
	v_cmpx_ne_u64_e32 0, v[2:3]
	s_xor_b32 s1, exec_lo, s0
	s_cbranch_execz .LBB312_3
; %bb.2:
	v_cvt_f32_u32_e32 v2, s12
	s_sub_u32 s0, 0, s12
	s_subb_u32 s2, 0, 0
	s_delay_alu instid0(VALU_DEP_1) | instskip(NEXT) | instid1(VALU_DEP_1)
	v_fmamk_f32 v2, 0, 0x4f800000, v2
	v_rcp_f32_e32 v2, v2
	s_waitcnt_depctr 0xfff
	v_mul_f32_e32 v2, 0x5f7ffffc, v2
	s_delay_alu instid0(VALU_DEP_1) | instskip(NEXT) | instid1(VALU_DEP_1)
	v_mul_f32_e32 v4, 0x2f800000, v2
	v_trunc_f32_e32 v4, v4
	s_delay_alu instid0(VALU_DEP_1) | instskip(SKIP_1) | instid1(VALU_DEP_2)
	v_fmamk_f32 v2, v4, 0xcf800000, v2
	v_cvt_u32_f32_e32 v4, v4
	v_cvt_u32_f32_e32 v2, v2
	s_delay_alu instid0(VALU_DEP_2) | instskip(NEXT) | instid1(VALU_DEP_2)
	v_mul_lo_u32 v5, s0, v4
	v_mul_hi_u32 v8, s0, v2
	v_mul_lo_u32 v9, s2, v2
	s_delay_alu instid0(VALU_DEP_2) | instskip(SKIP_1) | instid1(VALU_DEP_2)
	v_add_nc_u32_e32 v5, v8, v5
	v_mul_lo_u32 v8, s0, v2
	v_add_nc_u32_e32 v5, v5, v9
	s_delay_alu instid0(VALU_DEP_2) | instskip(NEXT) | instid1(VALU_DEP_2)
	v_mul_hi_u32 v9, v2, v8
	v_mul_lo_u32 v10, v2, v5
	v_mul_hi_u32 v11, v2, v5
	v_mul_hi_u32 v12, v4, v8
	v_mul_lo_u32 v8, v4, v8
	v_mul_hi_u32 v13, v4, v5
	v_mul_lo_u32 v5, v4, v5
	v_add_co_u32 v9, vcc_lo, v9, v10
	v_add_co_ci_u32_e32 v10, vcc_lo, 0, v11, vcc_lo
	s_delay_alu instid0(VALU_DEP_2) | instskip(NEXT) | instid1(VALU_DEP_2)
	v_add_co_u32 v8, vcc_lo, v9, v8
	v_add_co_ci_u32_e32 v8, vcc_lo, v10, v12, vcc_lo
	v_add_co_ci_u32_e32 v9, vcc_lo, 0, v13, vcc_lo
	s_delay_alu instid0(VALU_DEP_2) | instskip(NEXT) | instid1(VALU_DEP_2)
	v_add_co_u32 v5, vcc_lo, v8, v5
	v_add_co_ci_u32_e32 v8, vcc_lo, 0, v9, vcc_lo
	s_delay_alu instid0(VALU_DEP_2) | instskip(NEXT) | instid1(VALU_DEP_2)
	v_add_co_u32 v2, vcc_lo, v2, v5
	v_add_co_ci_u32_e32 v4, vcc_lo, v4, v8, vcc_lo
	s_delay_alu instid0(VALU_DEP_2) | instskip(SKIP_1) | instid1(VALU_DEP_3)
	v_mul_hi_u32 v5, s0, v2
	v_mul_lo_u32 v9, s2, v2
	v_mul_lo_u32 v8, s0, v4
	s_delay_alu instid0(VALU_DEP_1) | instskip(SKIP_1) | instid1(VALU_DEP_2)
	v_add_nc_u32_e32 v5, v5, v8
	v_mul_lo_u32 v8, s0, v2
	v_add_nc_u32_e32 v5, v5, v9
	s_delay_alu instid0(VALU_DEP_2) | instskip(NEXT) | instid1(VALU_DEP_2)
	v_mul_hi_u32 v9, v2, v8
	v_mul_lo_u32 v10, v2, v5
	v_mul_hi_u32 v11, v2, v5
	v_mul_hi_u32 v12, v4, v8
	v_mul_lo_u32 v8, v4, v8
	v_mul_hi_u32 v13, v4, v5
	v_mul_lo_u32 v5, v4, v5
	v_add_co_u32 v9, vcc_lo, v9, v10
	v_add_co_ci_u32_e32 v10, vcc_lo, 0, v11, vcc_lo
	s_delay_alu instid0(VALU_DEP_2) | instskip(NEXT) | instid1(VALU_DEP_2)
	v_add_co_u32 v8, vcc_lo, v9, v8
	v_add_co_ci_u32_e32 v8, vcc_lo, v10, v12, vcc_lo
	v_add_co_ci_u32_e32 v9, vcc_lo, 0, v13, vcc_lo
	s_delay_alu instid0(VALU_DEP_2) | instskip(NEXT) | instid1(VALU_DEP_2)
	v_add_co_u32 v5, vcc_lo, v8, v5
	v_add_co_ci_u32_e32 v8, vcc_lo, 0, v9, vcc_lo
	s_delay_alu instid0(VALU_DEP_2) | instskip(NEXT) | instid1(VALU_DEP_2)
	v_add_co_u32 v2, vcc_lo, v2, v5
	v_add_co_ci_u32_e32 v12, vcc_lo, v4, v8, vcc_lo
	s_delay_alu instid0(VALU_DEP_2) | instskip(SKIP_1) | instid1(VALU_DEP_3)
	v_mul_hi_u32 v13, v7, v2
	v_mad_u64_u32 v[8:9], null, v3, v2, 0
	v_mad_u64_u32 v[4:5], null, v7, v12, 0
	;; [unrolled: 1-line block ×3, first 2 shown]
	s_delay_alu instid0(VALU_DEP_2) | instskip(NEXT) | instid1(VALU_DEP_3)
	v_add_co_u32 v2, vcc_lo, v13, v4
	v_add_co_ci_u32_e32 v4, vcc_lo, 0, v5, vcc_lo
	s_delay_alu instid0(VALU_DEP_2) | instskip(NEXT) | instid1(VALU_DEP_2)
	v_add_co_u32 v2, vcc_lo, v2, v8
	v_add_co_ci_u32_e32 v2, vcc_lo, v4, v9, vcc_lo
	v_add_co_ci_u32_e32 v4, vcc_lo, 0, v11, vcc_lo
	s_delay_alu instid0(VALU_DEP_2) | instskip(NEXT) | instid1(VALU_DEP_2)
	v_add_co_u32 v10, vcc_lo, v2, v10
	v_add_co_ci_u32_e32 v11, vcc_lo, 0, v4, vcc_lo
	s_delay_alu instid0(VALU_DEP_2) | instskip(NEXT) | instid1(VALU_DEP_1)
	v_mad_u64_u32 v[4:5], null, s12, v10, 0
	v_mov_b32_e32 v2, v5
	s_delay_alu instid0(VALU_DEP_1) | instskip(NEXT) | instid1(VALU_DEP_3)
	v_mad_u64_u32 v[8:9], null, s12, v11, v[2:3]
	v_sub_co_u32 v2, vcc_lo, v7, v4
	s_delay_alu instid0(VALU_DEP_2) | instskip(NEXT) | instid1(VALU_DEP_2)
	v_sub_co_ci_u32_e32 v3, vcc_lo, v3, v8, vcc_lo
	v_sub_co_u32 v4, vcc_lo, v2, s12
	s_delay_alu instid0(VALU_DEP_2) | instskip(NEXT) | instid1(VALU_DEP_2)
	v_subrev_co_ci_u32_e32 v5, vcc_lo, 0, v3, vcc_lo
	v_cmp_le_u32_e32 vcc_lo, s12, v4
	v_cmp_eq_u32_e64 s0, 0, v3
	v_cndmask_b32_e64 v4, 0, -1, vcc_lo
	v_add_co_u32 v7, vcc_lo, v10, 2
	v_add_co_ci_u32_e32 v8, vcc_lo, 0, v11, vcc_lo
	v_cmp_le_u32_e32 vcc_lo, s12, v2
	v_cndmask_b32_e64 v2, 0, -1, vcc_lo
	v_cmp_eq_u32_e32 vcc_lo, 0, v5
	s_delay_alu instid0(VALU_DEP_2) | instskip(SKIP_3) | instid1(VALU_DEP_3)
	v_cndmask_b32_e64 v2, -1, v2, s0
	v_cndmask_b32_e32 v4, -1, v4, vcc_lo
	v_add_co_u32 v5, vcc_lo, v10, 1
	v_add_co_ci_u32_e32 v9, vcc_lo, 0, v11, vcc_lo
	v_cmp_ne_u32_e32 vcc_lo, 0, v4
	s_delay_alu instid0(VALU_DEP_2) | instskip(NEXT) | instid1(VALU_DEP_4)
	v_cndmask_b32_e32 v3, v9, v8, vcc_lo
	v_cndmask_b32_e32 v4, v5, v7, vcc_lo
	v_cmp_ne_u32_e32 vcc_lo, 0, v2
                                        ; implicit-def: $vgpr7
	s_delay_alu instid0(VALU_DEP_2)
	v_dual_cndmask_b32 v5, v11, v3 :: v_dual_cndmask_b32 v4, v10, v4
.LBB312_3:
	s_and_not1_saveexec_b32 s0, s1
	s_cbranch_execz .LBB312_5
; %bb.4:
	v_cvt_f32_u32_e32 v2, s12
	s_sub_i32 s1, 0, s12
	s_delay_alu instid0(VALU_DEP_1) | instskip(SKIP_2) | instid1(VALU_DEP_1)
	v_rcp_iflag_f32_e32 v2, v2
	s_waitcnt_depctr 0xfff
	v_mul_f32_e32 v2, 0x4f7ffffe, v2
	v_cvt_u32_f32_e32 v2, v2
	s_delay_alu instid0(VALU_DEP_1) | instskip(NEXT) | instid1(VALU_DEP_1)
	v_mul_lo_u32 v3, s1, v2
	v_mul_hi_u32 v3, v2, v3
	s_delay_alu instid0(VALU_DEP_1) | instskip(NEXT) | instid1(VALU_DEP_1)
	v_add_nc_u32_e32 v2, v2, v3
	v_mul_hi_u32 v2, v7, v2
	s_delay_alu instid0(VALU_DEP_1) | instskip(SKIP_1) | instid1(VALU_DEP_2)
	v_mul_lo_u32 v3, v2, s12
	v_add_nc_u32_e32 v4, 1, v2
	v_sub_nc_u32_e32 v3, v7, v3
	s_delay_alu instid0(VALU_DEP_1) | instskip(SKIP_1) | instid1(VALU_DEP_2)
	v_subrev_nc_u32_e32 v5, s12, v3
	v_cmp_le_u32_e32 vcc_lo, s12, v3
	v_cndmask_b32_e32 v3, v3, v5, vcc_lo
	v_dual_mov_b32 v5, 0 :: v_dual_cndmask_b32 v2, v2, v4
	s_delay_alu instid0(VALU_DEP_2) | instskip(NEXT) | instid1(VALU_DEP_2)
	v_cmp_le_u32_e32 vcc_lo, s12, v3
	v_add_nc_u32_e32 v4, 1, v2
	s_delay_alu instid0(VALU_DEP_1)
	v_cndmask_b32_e32 v4, v2, v4, vcc_lo
.LBB312_5:
	s_or_b32 exec_lo, exec_lo, s0
	s_delay_alu instid0(VALU_DEP_1) | instskip(SKIP_2) | instid1(VALU_DEP_2)
	v_add_co_u32 v2, vcc_lo, v4, v6
	v_add_co_ci_u32_e32 v3, vcc_lo, 0, v5, vcc_lo
	s_mul_i32 s0, s10, s9
	v_add_co_u32 v2, vcc_lo, v2, 1
	s_mul_hi_u32 s1, s10, s8
	s_delay_alu instid0(VALU_DEP_2)
	v_add_co_ci_u32_e32 v3, vcc_lo, 0, v3, vcc_lo
	s_add_i32 s1, s1, s0
	s_mul_i32 s0, s10, s8
	s_mov_b32 s11, 0
	s_lshl_b64 s[2:3], s[0:1], 2
	v_cmp_gt_u64_e32 vcc_lo, 2, v[2:3]
	s_add_u32 s13, s6, s2
	v_cmp_ne_u16_e64 s2, s12, 1
	s_addc_u32 s14, s7, s3
	s_lshl_b64 s[0:1], s[0:1], 1
                                        ; kill: def $vgpr4_vgpr5 killed $sgpr0_sgpr1 killed $exec
	s_mov_b32 s15, s11
	v_mov_b32_e32 v5, v3
	s_add_u32 s4, s4, s0
	s_addc_u32 s5, s5, s1
	s_or_b32 s2, vcc_lo, s2
                                        ; implicit-def: $sgpr0_sgpr1
	s_delay_alu instid0(SALU_CYCLE_1) | instskip(NEXT) | instid1(SALU_CYCLE_1)
	s_and_saveexec_b32 s3, s2
	s_xor_b32 s2, exec_lo, s3
; %bb.6:
	s_lshl_b64 s[0:1], s[10:11], 2
	s_mov_b32 s15, exec_lo
	s_or_b32 s0, s0, 2
	s_mul_i32 s1, s1, s8
	s_mul_i32 s3, s0, s9
	s_mul_hi_u32 s16, s0, s8
	s_mul_i32 s0, s0, s8
	s_add_i32 s3, s16, s3
                                        ; implicit-def: $vgpr2_vgpr3
                                        ; implicit-def: $vgpr5
	s_delay_alu instid0(SALU_CYCLE_1)
	s_add_i32 s1, s3, s1
; %bb.7:
	s_or_saveexec_b32 s16, s2
	v_dual_mov_b32 v7, s1 :: v_dual_mov_b32 v6, s0
	s_xor_b32 exec_lo, exec_lo, s16
	s_cbranch_execz .LBB312_11
; %bb.8:
	s_lshl_b64 s[2:3], s[10:11], 2
	v_dual_mov_b32 v9, 0 :: v_dual_and_b32 v4, -2, v2
	s_or_b32 s0, s2, 2
	v_dual_mov_b32 v7, v5 :: v_dual_lshlrev_b32 v8, 1, v0
	s_mul_i32 s2, s0, s9
	s_mul_hi_u32 s11, s0, s8
	s_mul_i32 s3, s3, s8
	s_add_i32 s11, s11, s2
	s_mul_i32 s2, s0, s8
	v_mov_b32_e32 v6, v4
	s_lshl_b32 s10, s12, 2
	s_add_i32 s3, s11, s3
	s_add_u32 s11, s6, s2
	s_mov_b32 s1, 0
	s_addc_u32 s17, s7, s3
.LBB312_9:                              ; =>This Inner Loop Header: Depth=1
	v_add_co_u32 v10, vcc_lo, s13, v8
	v_add_co_ci_u32_e32 v11, vcc_lo, s14, v9, vcc_lo
	v_add_co_u32 v12, vcc_lo, s11, v8
	v_add_co_ci_u32_e32 v13, vcc_lo, s17, v9, vcc_lo
	s_clause 0x1
	global_load_b32 v10, v[10:11], off
	global_load_b32 v11, v[12:13], off
	s_waitcnt vmcnt(1)
	v_and_b32_e32 v12, 0xff00ff, v10
	v_pk_lshrrev_b16 v10, 8, v10 op_sel_hi:[0,1]
	s_waitcnt vmcnt(0)
	v_pk_lshrrev_b16 v13, 8, v11 op_sel_hi:[0,1]
	s_delay_alu instid0(VALU_DEP_3) | instskip(NEXT) | instid1(VALU_DEP_3)
	v_and_b32_e32 v14, 0xffff0000, v12
	v_lshlrev_b32_e32 v15, 8, v10
	v_lshlrev_b32_e32 v12, 16, v12
	s_delay_alu instid0(VALU_DEP_2) | instskip(NEXT) | instid1(VALU_DEP_2)
	v_and_or_b32 v14, 0xff000000, v15, v14
	v_lshl_or_b32 v10, v10, 24, v12
	s_delay_alu instid0(VALU_DEP_2) | instskip(NEXT) | instid1(VALU_DEP_2)
	v_dual_add_f32 v12, 0, v14 :: v_dual_and_b32 v11, 0xff00ff, v11
	v_add_f32_e32 v15, 0, v10
	v_cmp_o_f32_e32 vcc_lo, v10, v10
	v_cmp_o_f32_e64 s0, v14, v14
	s_delay_alu instid0(VALU_DEP_4) | instskip(SKIP_2) | instid1(VALU_DEP_2)
	v_lshlrev_b32_e32 v14, 16, v11
	v_bfe_u32 v16, v12, 16, 1
	v_bfe_u32 v17, v15, 16, 1
	v_add3_u32 v12, v12, v16, 0x7fff
	s_delay_alu instid0(VALU_DEP_2) | instskip(NEXT) | instid1(VALU_DEP_2)
	v_add3_u32 v15, v15, v17, 0x7fff
	v_lshrrev_b32_e32 v12, 16, v12
	s_delay_alu instid0(VALU_DEP_2) | instskip(NEXT) | instid1(VALU_DEP_2)
	v_lshrrev_b32_e32 v15, 16, v15
	v_cndmask_b32_e64 v10, 0x7fc0, v12, s0
	s_delay_alu instid0(VALU_DEP_2) | instskip(SKIP_1) | instid1(VALU_DEP_2)
	v_dual_cndmask_b32 v12, 0x7fc0, v15 :: v_dual_lshlrev_b32 v15, 8, v13
	v_lshl_or_b32 v13, v13, 24, v14
	v_perm_b32 v10, v10, v12, 0x5040100
	s_delay_alu instid0(VALU_DEP_1) | instskip(SKIP_1) | instid1(VALU_DEP_2)
	v_and_b32_e32 v12, 0xff00ff, v10
	v_pk_lshrrev_b16 v10, 8, v10 op_sel_hi:[0,1]
	v_and_b32_e32 v16, 0xffff0000, v12
	v_lshlrev_b32_e32 v12, 16, v12
	s_delay_alu instid0(VALU_DEP_3) | instskip(NEXT) | instid1(VALU_DEP_2)
	v_lshlrev_b32_e32 v17, 8, v10
	v_lshl_or_b32 v12, v10, 24, v12
	v_and_b32_e32 v11, 0xffff0000, v11
	s_delay_alu instid0(VALU_DEP_3) | instskip(SKIP_1) | instid1(VALU_DEP_4)
	v_and_or_b32 v14, 0xff000000, v17, v16
	v_add_co_u32 v10, vcc_lo, s4, v8
	v_add_f32_e32 v12, v12, v13
	s_delay_alu instid0(VALU_DEP_4) | instskip(NEXT) | instid1(VALU_DEP_2)
	v_and_or_b32 v11, 0xff000000, v15, v11
	v_bfe_u32 v15, v12, 16, 1
	s_delay_alu instid0(VALU_DEP_2) | instskip(SKIP_2) | instid1(VALU_DEP_3)
	v_add_f32_e32 v14, v14, v11
	v_add_co_ci_u32_e32 v11, vcc_lo, s5, v9, vcc_lo
	v_add_co_u32 v6, vcc_lo, v6, -2
	v_bfe_u32 v13, v14, 16, 1
	v_add3_u32 v15, v12, v15, 0x7fff
	v_add_co_ci_u32_e32 v7, vcc_lo, -1, v7, vcc_lo
	v_cmp_o_f32_e32 vcc_lo, v12, v12
	s_delay_alu instid0(VALU_DEP_4) | instskip(NEXT) | instid1(VALU_DEP_4)
	v_add3_u32 v13, v14, v13, 0x7fff
	v_lshrrev_b32_e32 v15, 16, v15
	v_cmp_o_f32_e64 s0, v14, v14
	s_delay_alu instid0(VALU_DEP_3) | instskip(NEXT) | instid1(VALU_DEP_1)
	v_lshrrev_b32_e32 v13, 16, v13
	v_cndmask_b32_e64 v12, 0x7fc0, v13, s0
	s_delay_alu instid0(VALU_DEP_4) | instskip(SKIP_2) | instid1(VALU_DEP_1)
	v_cndmask_b32_e32 v13, 0x7fc0, v15, vcc_lo
	v_cmp_eq_u64_e32 vcc_lo, 0, v[6:7]
	v_add_co_u32 v8, s0, v8, s10
	v_add_co_ci_u32_e64 v9, s0, 0, v9, s0
	s_delay_alu instid0(VALU_DEP_4)
	v_perm_b32 v12, v12, v13, 0x5040100
	s_or_b32 s1, vcc_lo, s1
	global_store_b32 v[10:11], v12, off
	s_and_not1_b32 exec_lo, exec_lo, s1
	s_cbranch_execnz .LBB312_9
; %bb.10:
	s_or_b32 exec_lo, exec_lo, s1
	v_mad_u64_u32 v[8:9], null, v4, s12, v[0:1]
	v_cmp_ne_u64_e32 vcc_lo, v[2:3], v[4:5]
	s_and_not1_b32 s0, s15, exec_lo
	s_and_b32 s1, vcc_lo, exec_lo
	s_delay_alu instid0(VALU_DEP_2) | instskip(SKIP_1) | instid1(VALU_DEP_1)
	v_mov_b32_e32 v0, v9
	s_or_b32 s15, s0, s1
	v_mad_u64_u32 v[6:7], null, v5, s12, v[0:1]
	s_delay_alu instid0(VALU_DEP_1) | instskip(SKIP_1) | instid1(VALU_DEP_2)
	v_mov_b32_e32 v9, v6
	v_dual_mov_b32 v7, s3 :: v_dual_mov_b32 v6, s2
	v_dual_mov_b32 v0, v8 :: v_dual_mov_b32 v1, v9
.LBB312_11:
	s_or_b32 exec_lo, exec_lo, s16
	s_delay_alu instid0(SALU_CYCLE_1)
	s_and_b32 exec_lo, exec_lo, s15
	s_cbranch_execz .LBB312_14
; %bb.12:
	v_add_co_u32 v4, vcc_lo, s6, v6
	v_lshlrev_b64 v[2:3], 1, v[0:1]
	v_add_co_ci_u32_e32 v5, vcc_lo, s7, v7, vcc_lo
	s_lshl_b32 s2, s12, 1
	s_mov_b32 s3, 0
.LBB312_13:                             ; =>This Inner Loop Header: Depth=1
	s_delay_alu instid0(VALU_DEP_2) | instskip(NEXT) | instid1(VALU_DEP_3)
	v_add_co_u32 v6, vcc_lo, s13, v2
	v_add_co_ci_u32_e32 v7, vcc_lo, s14, v3, vcc_lo
	global_load_u16 v8, v[6:7], off
	v_add_co_u32 v6, vcc_lo, v4, v2
	v_add_co_ci_u32_e32 v7, vcc_lo, v5, v3, vcc_lo
	global_load_u16 v6, v[6:7], off
	s_waitcnt vmcnt(1)
	v_and_b32_e32 v7, 0xff, v8
	v_lshrrev_b16 v8, 8, v8
	s_delay_alu instid0(VALU_DEP_2) | instskip(NEXT) | instid1(VALU_DEP_1)
	v_lshlrev_b32_e32 v7, 16, v7
	v_lshl_or_b32 v7, v8, 24, v7
	s_delay_alu instid0(VALU_DEP_1) | instskip(SKIP_1) | instid1(VALU_DEP_2)
	v_add_f32_e32 v8, 0, v7
	v_cmp_o_f32_e32 vcc_lo, v7, v7
	v_bfe_u32 v9, v8, 16, 1
	s_delay_alu instid0(VALU_DEP_1) | instskip(NEXT) | instid1(VALU_DEP_1)
	v_add3_u32 v8, v8, v9, 0x7fff
	v_lshrrev_b32_e32 v8, 16, v8
	s_delay_alu instid0(VALU_DEP_1)
	v_cndmask_b32_e32 v7, 0x7fc0, v8, vcc_lo
	s_waitcnt vmcnt(0)
	v_and_b32_e32 v8, 0xff, v6
	v_lshrrev_b16 v6, 8, v6
	v_add_co_u32 v0, vcc_lo, v0, s12
	v_add_co_ci_u32_e32 v1, vcc_lo, 0, v1, vcc_lo
	s_delay_alu instid0(VALU_DEP_4) | instskip(NEXT) | instid1(VALU_DEP_2)
	v_lshlrev_b32_e32 v8, 16, v8
	v_cmp_le_i64_e64 s0, s[8:9], v[0:1]
	s_delay_alu instid0(VALU_DEP_2) | instskip(SKIP_2) | instid1(VALU_DEP_4)
	v_lshl_or_b32 v6, v6, 24, v8
	v_and_b32_e32 v9, 0xff, v7
	v_lshrrev_b16 v7, 8, v7
	s_or_b32 s3, s0, s3
	s_delay_alu instid0(VALU_DEP_2) | instskip(NEXT) | instid1(VALU_DEP_1)
	v_lshlrev_b32_e32 v9, 16, v9
	v_lshl_or_b32 v7, v7, 24, v9
	s_delay_alu instid0(VALU_DEP_1) | instskip(NEXT) | instid1(VALU_DEP_1)
	v_add_f32_e32 v8, v7, v6
	v_bfe_u32 v6, v8, 16, 1
	v_cmp_o_f32_e64 s1, v8, v8
	s_delay_alu instid0(VALU_DEP_2) | instskip(SKIP_2) | instid1(VALU_DEP_3)
	v_add3_u32 v9, v8, v6, 0x7fff
	v_add_co_u32 v6, vcc_lo, s4, v2
	v_add_co_ci_u32_e32 v7, vcc_lo, s5, v3, vcc_lo
	v_lshrrev_b32_e32 v9, 16, v9
	v_add_co_u32 v2, vcc_lo, v2, s2
	v_add_co_ci_u32_e32 v3, vcc_lo, 0, v3, vcc_lo
	s_delay_alu instid0(VALU_DEP_3)
	v_cndmask_b32_e64 v8, 0x7fc0, v9, s1
	global_store_b16 v[6:7], v8, off
	s_and_not1_b32 exec_lo, exec_lo, s3
	s_cbranch_execnz .LBB312_13
.LBB312_14:
	s_nop 0
	s_sendmsg sendmsg(MSG_DEALLOC_VGPRS)
	s_endpgm
	.section	.rodata,"a",@progbits
	.p2align	6, 0x0
	.amdhsa_kernel _ZN4vllm3moe14moe_sum_kernelIN3c108BFloat16ELi2EEEvPT_PKS4_i
		.amdhsa_group_segment_fixed_size 0
		.amdhsa_private_segment_fixed_size 0
		.amdhsa_kernarg_size 280
		.amdhsa_user_sgpr_count 15
		.amdhsa_user_sgpr_dispatch_ptr 0
		.amdhsa_user_sgpr_queue_ptr 0
		.amdhsa_user_sgpr_kernarg_segment_ptr 1
		.amdhsa_user_sgpr_dispatch_id 0
		.amdhsa_user_sgpr_private_segment_size 0
		.amdhsa_wavefront_size32 1
		.amdhsa_uses_dynamic_stack 0
		.amdhsa_enable_private_segment 0
		.amdhsa_system_sgpr_workgroup_id_x 1
		.amdhsa_system_sgpr_workgroup_id_y 0
		.amdhsa_system_sgpr_workgroup_id_z 0
		.amdhsa_system_sgpr_workgroup_info 0
		.amdhsa_system_vgpr_workitem_id 0
		.amdhsa_next_free_vgpr 18
		.amdhsa_next_free_sgpr 18
		.amdhsa_reserve_vcc 1
		.amdhsa_float_round_mode_32 0
		.amdhsa_float_round_mode_16_64 0
		.amdhsa_float_denorm_mode_32 3
		.amdhsa_float_denorm_mode_16_64 3
		.amdhsa_dx10_clamp 1
		.amdhsa_ieee_mode 1
		.amdhsa_fp16_overflow 0
		.amdhsa_workgroup_processor_mode 1
		.amdhsa_memory_ordered 1
		.amdhsa_forward_progress 0
		.amdhsa_shared_vgpr_count 0
		.amdhsa_exception_fp_ieee_invalid_op 0
		.amdhsa_exception_fp_denorm_src 0
		.amdhsa_exception_fp_ieee_div_zero 0
		.amdhsa_exception_fp_ieee_overflow 0
		.amdhsa_exception_fp_ieee_underflow 0
		.amdhsa_exception_fp_ieee_inexact 0
		.amdhsa_exception_int_div_zero 0
	.end_amdhsa_kernel
	.section	.text._ZN4vllm3moe14moe_sum_kernelIN3c108BFloat16ELi2EEEvPT_PKS4_i,"axG",@progbits,_ZN4vllm3moe14moe_sum_kernelIN3c108BFloat16ELi2EEEvPT_PKS4_i,comdat
.Lfunc_end312:
	.size	_ZN4vllm3moe14moe_sum_kernelIN3c108BFloat16ELi2EEEvPT_PKS4_i, .Lfunc_end312-_ZN4vllm3moe14moe_sum_kernelIN3c108BFloat16ELi2EEEvPT_PKS4_i
                                        ; -- End function
	.section	.AMDGPU.csdata,"",@progbits
; Kernel info:
; codeLenInByte = 2228
; NumSgprs: 20
; NumVgprs: 18
; ScratchSize: 0
; MemoryBound: 0
; FloatMode: 240
; IeeeMode: 1
; LDSByteSize: 0 bytes/workgroup (compile time only)
; SGPRBlocks: 2
; VGPRBlocks: 2
; NumSGPRsForWavesPerEU: 20
; NumVGPRsForWavesPerEU: 18
; Occupancy: 16
; WaveLimiterHint : 0
; COMPUTE_PGM_RSRC2:SCRATCH_EN: 0
; COMPUTE_PGM_RSRC2:USER_SGPR: 15
; COMPUTE_PGM_RSRC2:TRAP_HANDLER: 0
; COMPUTE_PGM_RSRC2:TGID_X_EN: 1
; COMPUTE_PGM_RSRC2:TGID_Y_EN: 0
; COMPUTE_PGM_RSRC2:TGID_Z_EN: 0
; COMPUTE_PGM_RSRC2:TIDIG_COMP_CNT: 0
	.section	.text._ZN4vllm3moe14moe_sum_kernelIfLi4EEEvPT_PKS2_i,"axG",@progbits,_ZN4vllm3moe14moe_sum_kernelIfLi4EEEvPT_PKS2_i,comdat
	.protected	_ZN4vllm3moe14moe_sum_kernelIfLi4EEEvPT_PKS2_i ; -- Begin function _ZN4vllm3moe14moe_sum_kernelIfLi4EEEvPT_PKS2_i
	.globl	_ZN4vllm3moe14moe_sum_kernelIfLi4EEEvPT_PKS2_i
	.p2align	8
	.type	_ZN4vllm3moe14moe_sum_kernelIfLi4EEEvPT_PKS2_i,@function
_ZN4vllm3moe14moe_sum_kernelIfLi4EEEvPT_PKS2_i: ; @_ZN4vllm3moe14moe_sum_kernelIfLi4EEEvPT_PKS2_i
; %bb.0:
	s_load_b32 s8, s[0:1], 0x10
	s_mov_b32 s3, exec_lo
	s_waitcnt lgkmcnt(0)
	v_cmpx_gt_i32_e64 s8, v0
	s_cbranch_execz .LBB313_3
; %bb.1:
	s_clause 0x1
	s_load_b128 s[4:7], s[0:1], 0x0
	s_load_b32 s0, s[0:1], 0x24
	s_ashr_i32 s9, s8, 31
	s_mul_hi_u32 s1, s15, s8
	s_mul_i32 s3, s15, s9
	s_mul_i32 s12, s15, s8
	s_add_i32 s13, s1, s3
	s_mov_b32 s2, s15
	s_lshl_b64 s[10:11], s[12:13], 4
	s_mov_b32 s3, 0
	v_dual_mov_b32 v1, 0 :: v_dual_lshlrev_b32 v2, 2, v0
	s_delay_alu instid0(VALU_DEP_1) | instskip(SKIP_4) | instid1(SALU_CYCLE_1)
	v_mov_b32_e32 v3, v1
	s_waitcnt lgkmcnt(0)
	s_add_u32 s1, s6, s10
	s_addc_u32 s10, s7, s11
	s_lshl_b64 s[12:13], s[12:13], 2
	s_add_u32 s4, s4, s12
	s_addc_u32 s5, s5, s13
	s_lshl_b64 s[16:17], s[2:3], 4
	s_and_b32 s2, s0, 0xffff
	s_or_b32 s0, s16, 8
	s_mul_i32 s17, s17, s8
	s_mul_i32 s12, s0, s9
	s_mul_hi_u32 s13, s0, s8
	s_mul_i32 s0, s0, s8
	s_add_i32 s12, s13, s12
	s_lshl_b32 s11, s2, 2
	s_add_i32 s13, s12, s17
	s_add_u32 s12, s6, s0
	s_addc_u32 s13, s7, s13
	s_or_b32 s0, s16, 12
	s_delay_alu instid0(SALU_CYCLE_1) | instskip(SKIP_3) | instid1(SALU_CYCLE_1)
	s_mul_i32 s14, s0, s9
	s_mul_hi_u32 s15, s0, s8
	s_mul_i32 s0, s0, s8
	s_add_i32 s14, s15, s14
	s_add_i32 s15, s14, s17
	s_add_u32 s14, s6, s0
	s_addc_u32 s15, s7, s15
	s_or_b32 s0, s16, 4
	s_delay_alu instid0(SALU_CYCLE_1) | instskip(SKIP_3) | instid1(SALU_CYCLE_1)
	s_mul_i32 s16, s0, s9
	s_mul_hi_u32 s18, s0, s8
	s_mul_i32 s0, s0, s8
	s_add_i32 s16, s18, s16
	s_add_i32 s16, s16, s17
	s_add_u32 s6, s6, s0
	s_addc_u32 s7, s7, s16
	s_set_inst_prefetch_distance 0x1
	.p2align	6
.LBB313_2:                              ; =>This Inner Loop Header: Depth=1
	v_add_co_u32 v4, vcc_lo, s1, v2
	v_add_co_ci_u32_e32 v5, vcc_lo, s10, v3, vcc_lo
	v_add_co_u32 v6, vcc_lo, s6, v2
	v_add_co_ci_u32_e32 v7, vcc_lo, s7, v3, vcc_lo
	s_clause 0x1
	global_load_b32 v8, v[4:5], off
	global_load_b32 v9, v[6:7], off
	v_add_co_u32 v4, vcc_lo, s12, v2
	v_add_co_ci_u32_e32 v5, vcc_lo, s13, v3, vcc_lo
	v_add_co_u32 v6, vcc_lo, s14, v2
	v_add_co_ci_u32_e32 v7, vcc_lo, s15, v3, vcc_lo
	s_clause 0x1
	global_load_b32 v10, v[4:5], off
	global_load_b32 v6, v[6:7], off
	v_add_co_u32 v0, vcc_lo, v0, s2
	v_add_co_ci_u32_e32 v1, vcc_lo, 0, v1, vcc_lo
	s_waitcnt vmcnt(3)
	v_add_f32_e32 v4, 0, v8
	s_waitcnt vmcnt(2)
	s_delay_alu instid0(VALU_DEP_1)
	v_add_f32_e32 v7, v4, v9
	v_add_co_u32 v4, vcc_lo, s4, v2
	v_add_co_ci_u32_e32 v5, vcc_lo, s5, v3, vcc_lo
	v_cmp_le_i64_e32 vcc_lo, s[8:9], v[0:1]
	v_add_co_u32 v2, s0, v2, s11
	s_waitcnt vmcnt(1)
	v_add_f32_e32 v7, v7, v10
	v_add_co_ci_u32_e64 v3, s0, 0, v3, s0
	s_or_b32 s3, vcc_lo, s3
	s_waitcnt vmcnt(0)
	s_delay_alu instid0(VALU_DEP_2)
	v_add_f32_e32 v6, v7, v6
	global_store_b32 v[4:5], v6, off
	s_and_not1_b32 exec_lo, exec_lo, s3
	s_cbranch_execnz .LBB313_2
.LBB313_3:
	s_set_inst_prefetch_distance 0x2
	s_nop 0
	s_sendmsg sendmsg(MSG_DEALLOC_VGPRS)
	s_endpgm
	.section	.rodata,"a",@progbits
	.p2align	6, 0x0
	.amdhsa_kernel _ZN4vllm3moe14moe_sum_kernelIfLi4EEEvPT_PKS2_i
		.amdhsa_group_segment_fixed_size 0
		.amdhsa_private_segment_fixed_size 0
		.amdhsa_kernarg_size 280
		.amdhsa_user_sgpr_count 15
		.amdhsa_user_sgpr_dispatch_ptr 0
		.amdhsa_user_sgpr_queue_ptr 0
		.amdhsa_user_sgpr_kernarg_segment_ptr 1
		.amdhsa_user_sgpr_dispatch_id 0
		.amdhsa_user_sgpr_private_segment_size 0
		.amdhsa_wavefront_size32 1
		.amdhsa_uses_dynamic_stack 0
		.amdhsa_enable_private_segment 0
		.amdhsa_system_sgpr_workgroup_id_x 1
		.amdhsa_system_sgpr_workgroup_id_y 0
		.amdhsa_system_sgpr_workgroup_id_z 0
		.amdhsa_system_sgpr_workgroup_info 0
		.amdhsa_system_vgpr_workitem_id 0
		.amdhsa_next_free_vgpr 11
		.amdhsa_next_free_sgpr 19
		.amdhsa_reserve_vcc 1
		.amdhsa_float_round_mode_32 0
		.amdhsa_float_round_mode_16_64 0
		.amdhsa_float_denorm_mode_32 3
		.amdhsa_float_denorm_mode_16_64 3
		.amdhsa_dx10_clamp 1
		.amdhsa_ieee_mode 1
		.amdhsa_fp16_overflow 0
		.amdhsa_workgroup_processor_mode 1
		.amdhsa_memory_ordered 1
		.amdhsa_forward_progress 0
		.amdhsa_shared_vgpr_count 0
		.amdhsa_exception_fp_ieee_invalid_op 0
		.amdhsa_exception_fp_denorm_src 0
		.amdhsa_exception_fp_ieee_div_zero 0
		.amdhsa_exception_fp_ieee_overflow 0
		.amdhsa_exception_fp_ieee_underflow 0
		.amdhsa_exception_fp_ieee_inexact 0
		.amdhsa_exception_int_div_zero 0
	.end_amdhsa_kernel
	.section	.text._ZN4vllm3moe14moe_sum_kernelIfLi4EEEvPT_PKS2_i,"axG",@progbits,_ZN4vllm3moe14moe_sum_kernelIfLi4EEEvPT_PKS2_i,comdat
.Lfunc_end313:
	.size	_ZN4vllm3moe14moe_sum_kernelIfLi4EEEvPT_PKS2_i, .Lfunc_end313-_ZN4vllm3moe14moe_sum_kernelIfLi4EEEvPT_PKS2_i
                                        ; -- End function
	.section	.AMDGPU.csdata,"",@progbits
; Kernel info:
; codeLenInByte = 456
; NumSgprs: 21
; NumVgprs: 11
; ScratchSize: 0
; MemoryBound: 0
; FloatMode: 240
; IeeeMode: 1
; LDSByteSize: 0 bytes/workgroup (compile time only)
; SGPRBlocks: 2
; VGPRBlocks: 1
; NumSGPRsForWavesPerEU: 21
; NumVGPRsForWavesPerEU: 11
; Occupancy: 16
; WaveLimiterHint : 0
; COMPUTE_PGM_RSRC2:SCRATCH_EN: 0
; COMPUTE_PGM_RSRC2:USER_SGPR: 15
; COMPUTE_PGM_RSRC2:TRAP_HANDLER: 0
; COMPUTE_PGM_RSRC2:TGID_X_EN: 1
; COMPUTE_PGM_RSRC2:TGID_Y_EN: 0
; COMPUTE_PGM_RSRC2:TGID_Z_EN: 0
; COMPUTE_PGM_RSRC2:TIDIG_COMP_CNT: 0
	.section	.text._ZN4vllm3moe14moe_sum_kernelIN3c104HalfELi4EEEvPT_PKS4_i,"axG",@progbits,_ZN4vllm3moe14moe_sum_kernelIN3c104HalfELi4EEEvPT_PKS4_i,comdat
	.protected	_ZN4vllm3moe14moe_sum_kernelIN3c104HalfELi4EEEvPT_PKS4_i ; -- Begin function _ZN4vllm3moe14moe_sum_kernelIN3c104HalfELi4EEEvPT_PKS4_i
	.globl	_ZN4vllm3moe14moe_sum_kernelIN3c104HalfELi4EEEvPT_PKS4_i
	.p2align	8
	.type	_ZN4vllm3moe14moe_sum_kernelIN3c104HalfELi4EEEvPT_PKS4_i,@function
_ZN4vllm3moe14moe_sum_kernelIN3c104HalfELi4EEEvPT_PKS4_i: ; @_ZN4vllm3moe14moe_sum_kernelIN3c104HalfELi4EEEvPT_PKS4_i
; %bb.0:
	s_load_b32 s8, s[0:1], 0x10
	s_mov_b32 s2, exec_lo
	s_waitcnt lgkmcnt(0)
	v_cmpx_gt_i32_e64 s8, v0
	s_cbranch_execz .LBB314_14
; %bb.1:
	s_clause 0x1
	s_load_b32 s2, s[0:1], 0x24
	s_load_b128 s[4:7], s[0:1], 0x0
	s_ashr_i32 s9, s8, 31
	s_mov_b32 s10, s15
	s_mov_b32 s0, exec_lo
	s_waitcnt lgkmcnt(0)
	s_and_b32 s12, s2, 0xffff
	s_delay_alu instid0(SALU_CYCLE_1) | instskip(NEXT) | instid1(VALU_DEP_1)
	v_add_co_u32 v1, s2, v0, s12
	v_add_co_ci_u32_e64 v2, null, 0, 0, s2
	s_delay_alu instid0(VALU_DEP_1) | instskip(SKIP_1) | instid1(VALU_DEP_2)
	v_cmp_gt_i64_e64 s2, s[8:9], v[1:2]
	v_cmp_lt_i64_e32 vcc_lo, s[8:9], v[1:2]
	v_cndmask_b32_e64 v6, 0, 1, s2
	v_cndmask_b32_e32 v3, s9, v2, vcc_lo
	v_cndmask_b32_e32 v4, s8, v1, vcc_lo
	s_delay_alu instid0(VALU_DEP_3) | instskip(SKIP_2) | instid1(VALU_DEP_3)
	v_add_co_u32 v5, vcc_lo, v1, v6
	v_mov_b32_e32 v1, 0
	v_add_co_ci_u32_e32 v2, vcc_lo, 0, v2, vcc_lo
	v_sub_co_u32 v7, vcc_lo, v4, v5
                                        ; implicit-def: $vgpr4_vgpr5
	s_delay_alu instid0(VALU_DEP_2) | instskip(NEXT) | instid1(VALU_DEP_4)
	v_sub_co_ci_u32_e32 v3, vcc_lo, v3, v2, vcc_lo
	v_mov_b32_e32 v2, v1
	s_delay_alu instid0(VALU_DEP_1)
	v_cmpx_ne_u64_e32 0, v[2:3]
	s_xor_b32 s1, exec_lo, s0
	s_cbranch_execz .LBB314_3
; %bb.2:
	v_cvt_f32_u32_e32 v2, s12
	s_sub_u32 s0, 0, s12
	s_subb_u32 s2, 0, 0
	s_delay_alu instid0(VALU_DEP_1) | instskip(NEXT) | instid1(VALU_DEP_1)
	v_fmamk_f32 v2, 0, 0x4f800000, v2
	v_rcp_f32_e32 v2, v2
	s_waitcnt_depctr 0xfff
	v_mul_f32_e32 v2, 0x5f7ffffc, v2
	s_delay_alu instid0(VALU_DEP_1) | instskip(NEXT) | instid1(VALU_DEP_1)
	v_mul_f32_e32 v4, 0x2f800000, v2
	v_trunc_f32_e32 v4, v4
	s_delay_alu instid0(VALU_DEP_1) | instskip(SKIP_1) | instid1(VALU_DEP_2)
	v_fmamk_f32 v2, v4, 0xcf800000, v2
	v_cvt_u32_f32_e32 v4, v4
	v_cvt_u32_f32_e32 v2, v2
	s_delay_alu instid0(VALU_DEP_2) | instskip(NEXT) | instid1(VALU_DEP_2)
	v_mul_lo_u32 v5, s0, v4
	v_mul_hi_u32 v8, s0, v2
	v_mul_lo_u32 v9, s2, v2
	s_delay_alu instid0(VALU_DEP_2) | instskip(SKIP_1) | instid1(VALU_DEP_2)
	v_add_nc_u32_e32 v5, v8, v5
	v_mul_lo_u32 v8, s0, v2
	v_add_nc_u32_e32 v5, v5, v9
	s_delay_alu instid0(VALU_DEP_2) | instskip(NEXT) | instid1(VALU_DEP_2)
	v_mul_hi_u32 v9, v2, v8
	v_mul_lo_u32 v10, v2, v5
	v_mul_hi_u32 v11, v2, v5
	v_mul_hi_u32 v12, v4, v8
	v_mul_lo_u32 v8, v4, v8
	v_mul_hi_u32 v13, v4, v5
	v_mul_lo_u32 v5, v4, v5
	v_add_co_u32 v9, vcc_lo, v9, v10
	v_add_co_ci_u32_e32 v10, vcc_lo, 0, v11, vcc_lo
	s_delay_alu instid0(VALU_DEP_2) | instskip(NEXT) | instid1(VALU_DEP_2)
	v_add_co_u32 v8, vcc_lo, v9, v8
	v_add_co_ci_u32_e32 v8, vcc_lo, v10, v12, vcc_lo
	v_add_co_ci_u32_e32 v9, vcc_lo, 0, v13, vcc_lo
	s_delay_alu instid0(VALU_DEP_2) | instskip(NEXT) | instid1(VALU_DEP_2)
	v_add_co_u32 v5, vcc_lo, v8, v5
	v_add_co_ci_u32_e32 v8, vcc_lo, 0, v9, vcc_lo
	s_delay_alu instid0(VALU_DEP_2) | instskip(NEXT) | instid1(VALU_DEP_2)
	v_add_co_u32 v2, vcc_lo, v2, v5
	v_add_co_ci_u32_e32 v4, vcc_lo, v4, v8, vcc_lo
	s_delay_alu instid0(VALU_DEP_2) | instskip(SKIP_1) | instid1(VALU_DEP_3)
	v_mul_hi_u32 v5, s0, v2
	v_mul_lo_u32 v9, s2, v2
	v_mul_lo_u32 v8, s0, v4
	s_delay_alu instid0(VALU_DEP_1) | instskip(SKIP_1) | instid1(VALU_DEP_2)
	v_add_nc_u32_e32 v5, v5, v8
	v_mul_lo_u32 v8, s0, v2
	v_add_nc_u32_e32 v5, v5, v9
	s_delay_alu instid0(VALU_DEP_2) | instskip(NEXT) | instid1(VALU_DEP_2)
	v_mul_hi_u32 v9, v2, v8
	v_mul_lo_u32 v10, v2, v5
	v_mul_hi_u32 v11, v2, v5
	v_mul_hi_u32 v12, v4, v8
	v_mul_lo_u32 v8, v4, v8
	v_mul_hi_u32 v13, v4, v5
	v_mul_lo_u32 v5, v4, v5
	v_add_co_u32 v9, vcc_lo, v9, v10
	v_add_co_ci_u32_e32 v10, vcc_lo, 0, v11, vcc_lo
	s_delay_alu instid0(VALU_DEP_2) | instskip(NEXT) | instid1(VALU_DEP_2)
	v_add_co_u32 v8, vcc_lo, v9, v8
	v_add_co_ci_u32_e32 v8, vcc_lo, v10, v12, vcc_lo
	v_add_co_ci_u32_e32 v9, vcc_lo, 0, v13, vcc_lo
	s_delay_alu instid0(VALU_DEP_2) | instskip(NEXT) | instid1(VALU_DEP_2)
	v_add_co_u32 v5, vcc_lo, v8, v5
	v_add_co_ci_u32_e32 v8, vcc_lo, 0, v9, vcc_lo
	s_delay_alu instid0(VALU_DEP_2) | instskip(NEXT) | instid1(VALU_DEP_2)
	v_add_co_u32 v2, vcc_lo, v2, v5
	v_add_co_ci_u32_e32 v12, vcc_lo, v4, v8, vcc_lo
	s_delay_alu instid0(VALU_DEP_2) | instskip(SKIP_1) | instid1(VALU_DEP_3)
	v_mul_hi_u32 v13, v7, v2
	v_mad_u64_u32 v[8:9], null, v3, v2, 0
	v_mad_u64_u32 v[4:5], null, v7, v12, 0
	;; [unrolled: 1-line block ×3, first 2 shown]
	s_delay_alu instid0(VALU_DEP_2) | instskip(NEXT) | instid1(VALU_DEP_3)
	v_add_co_u32 v2, vcc_lo, v13, v4
	v_add_co_ci_u32_e32 v4, vcc_lo, 0, v5, vcc_lo
	s_delay_alu instid0(VALU_DEP_2) | instskip(NEXT) | instid1(VALU_DEP_2)
	v_add_co_u32 v2, vcc_lo, v2, v8
	v_add_co_ci_u32_e32 v2, vcc_lo, v4, v9, vcc_lo
	v_add_co_ci_u32_e32 v4, vcc_lo, 0, v11, vcc_lo
	s_delay_alu instid0(VALU_DEP_2) | instskip(NEXT) | instid1(VALU_DEP_2)
	v_add_co_u32 v10, vcc_lo, v2, v10
	v_add_co_ci_u32_e32 v11, vcc_lo, 0, v4, vcc_lo
	s_delay_alu instid0(VALU_DEP_2) | instskip(NEXT) | instid1(VALU_DEP_1)
	v_mad_u64_u32 v[4:5], null, s12, v10, 0
	v_mov_b32_e32 v2, v5
	s_delay_alu instid0(VALU_DEP_1) | instskip(NEXT) | instid1(VALU_DEP_3)
	v_mad_u64_u32 v[8:9], null, s12, v11, v[2:3]
	v_sub_co_u32 v2, vcc_lo, v7, v4
	s_delay_alu instid0(VALU_DEP_2) | instskip(NEXT) | instid1(VALU_DEP_2)
	v_sub_co_ci_u32_e32 v3, vcc_lo, v3, v8, vcc_lo
	v_sub_co_u32 v4, vcc_lo, v2, s12
	s_delay_alu instid0(VALU_DEP_2) | instskip(NEXT) | instid1(VALU_DEP_2)
	v_subrev_co_ci_u32_e32 v5, vcc_lo, 0, v3, vcc_lo
	v_cmp_le_u32_e32 vcc_lo, s12, v4
	v_cmp_eq_u32_e64 s0, 0, v3
	v_cndmask_b32_e64 v4, 0, -1, vcc_lo
	v_add_co_u32 v7, vcc_lo, v10, 2
	v_add_co_ci_u32_e32 v8, vcc_lo, 0, v11, vcc_lo
	v_cmp_le_u32_e32 vcc_lo, s12, v2
	v_cndmask_b32_e64 v2, 0, -1, vcc_lo
	v_cmp_eq_u32_e32 vcc_lo, 0, v5
	s_delay_alu instid0(VALU_DEP_2) | instskip(SKIP_3) | instid1(VALU_DEP_3)
	v_cndmask_b32_e64 v2, -1, v2, s0
	v_cndmask_b32_e32 v4, -1, v4, vcc_lo
	v_add_co_u32 v5, vcc_lo, v10, 1
	v_add_co_ci_u32_e32 v9, vcc_lo, 0, v11, vcc_lo
	v_cmp_ne_u32_e32 vcc_lo, 0, v4
	s_delay_alu instid0(VALU_DEP_2) | instskip(NEXT) | instid1(VALU_DEP_4)
	v_cndmask_b32_e32 v3, v9, v8, vcc_lo
	v_cndmask_b32_e32 v4, v5, v7, vcc_lo
	v_cmp_ne_u32_e32 vcc_lo, 0, v2
                                        ; implicit-def: $vgpr7
	s_delay_alu instid0(VALU_DEP_2)
	v_dual_cndmask_b32 v5, v11, v3 :: v_dual_cndmask_b32 v4, v10, v4
.LBB314_3:
	s_and_not1_saveexec_b32 s0, s1
	s_cbranch_execz .LBB314_5
; %bb.4:
	v_cvt_f32_u32_e32 v2, s12
	s_sub_i32 s1, 0, s12
	s_delay_alu instid0(VALU_DEP_1) | instskip(SKIP_2) | instid1(VALU_DEP_1)
	v_rcp_iflag_f32_e32 v2, v2
	s_waitcnt_depctr 0xfff
	v_mul_f32_e32 v2, 0x4f7ffffe, v2
	v_cvt_u32_f32_e32 v2, v2
	s_delay_alu instid0(VALU_DEP_1) | instskip(NEXT) | instid1(VALU_DEP_1)
	v_mul_lo_u32 v3, s1, v2
	v_mul_hi_u32 v3, v2, v3
	s_delay_alu instid0(VALU_DEP_1) | instskip(NEXT) | instid1(VALU_DEP_1)
	v_add_nc_u32_e32 v2, v2, v3
	v_mul_hi_u32 v2, v7, v2
	s_delay_alu instid0(VALU_DEP_1) | instskip(SKIP_1) | instid1(VALU_DEP_2)
	v_mul_lo_u32 v3, v2, s12
	v_add_nc_u32_e32 v4, 1, v2
	v_sub_nc_u32_e32 v3, v7, v3
	s_delay_alu instid0(VALU_DEP_1) | instskip(SKIP_1) | instid1(VALU_DEP_2)
	v_subrev_nc_u32_e32 v5, s12, v3
	v_cmp_le_u32_e32 vcc_lo, s12, v3
	v_cndmask_b32_e32 v3, v3, v5, vcc_lo
	v_dual_mov_b32 v5, 0 :: v_dual_cndmask_b32 v2, v2, v4
	s_delay_alu instid0(VALU_DEP_2) | instskip(NEXT) | instid1(VALU_DEP_2)
	v_cmp_le_u32_e32 vcc_lo, s12, v3
	v_add_nc_u32_e32 v4, 1, v2
	s_delay_alu instid0(VALU_DEP_1)
	v_cndmask_b32_e32 v4, v2, v4, vcc_lo
.LBB314_5:
	s_or_b32 exec_lo, exec_lo, s0
	s_delay_alu instid0(VALU_DEP_1) | instskip(SKIP_2) | instid1(VALU_DEP_2)
	v_add_co_u32 v2, vcc_lo, v4, v6
	v_add_co_ci_u32_e32 v3, vcc_lo, 0, v5, vcc_lo
	s_mul_i32 s0, s10, s9
	v_add_co_u32 v2, vcc_lo, v2, 1
	s_mul_hi_u32 s1, s10, s8
	s_delay_alu instid0(VALU_DEP_2)
	v_add_co_ci_u32_e32 v3, vcc_lo, 0, v3, vcc_lo
	s_add_i32 s1, s1, s0
	s_mul_i32 s0, s10, s8
	s_mov_b32 s11, 0
	s_lshl_b64 s[2:3], s[0:1], 3
	v_cmp_gt_u64_e32 vcc_lo, 2, v[2:3]
	s_add_u32 s13, s6, s2
	v_cmp_ne_u16_e64 s2, s12, 1
	s_addc_u32 s14, s7, s3
	s_lshl_b64 s[0:1], s[0:1], 1
                                        ; kill: def $vgpr4_vgpr5 killed $sgpr0_sgpr1 killed $exec
	s_mov_b32 s17, s11
	v_mov_b32_e32 v5, v3
	s_add_u32 s15, s4, s0
	s_addc_u32 s16, s5, s1
	s_or_b32 s18, vcc_lo, s2
                                        ; implicit-def: $sgpr0_sgpr1
                                        ; implicit-def: $sgpr2_sgpr3
                                        ; implicit-def: $sgpr4_sgpr5
	s_delay_alu instid0(SALU_CYCLE_1) | instskip(NEXT) | instid1(SALU_CYCLE_1)
	s_and_saveexec_b32 s19, s18
	s_xor_b32 s18, exec_lo, s19
	s_cbranch_execz .LBB314_7
; %bb.6:
	s_lshl_b64 s[2:3], s[10:11], 3
	s_mov_b32 s17, exec_lo
	s_or_b32 s0, s2, 4
	s_mul_i32 s5, s3, s8
	s_mul_i32 s1, s0, s9
	s_mul_hi_u32 s4, s0, s8
	s_or_b32 s20, s2, 2
	s_add_i32 s1, s4, s1
	s_or_b32 s4, s2, 6
	s_mul_hi_u32 s21, s20, s8
	s_mul_i32 s3, s4, s9
	s_mul_hi_u32 s19, s4, s8
	s_add_i32 s1, s1, s5
	s_add_i32 s2, s19, s3
	s_mul_i32 s19, s20, s9
	s_mul_i32 s0, s0, s8
	s_add_i32 s19, s21, s19
	s_add_i32 s3, s2, s5
	s_mul_i32 s2, s4, s8
	s_add_i32 s5, s19, s5
	s_mul_i32 s4, s20, s8
                                        ; implicit-def: $vgpr2_vgpr3
                                        ; implicit-def: $vgpr5
.LBB314_7:
	s_or_saveexec_b32 s18, s18
	v_dual_mov_b32 v7, s1 :: v_dual_mov_b32 v6, s0
	v_dual_mov_b32 v9, s3 :: v_dual_mov_b32 v8, s2
	;; [unrolled: 1-line block ×3, first 2 shown]
	s_xor_b32 exec_lo, exec_lo, s18
	s_cbranch_execz .LBB314_11
; %bb.8:
	s_lshl_b64 s[10:11], s[10:11], 3
	s_lshl_b32 s1, s12, 2
	s_or_b32 s0, s10, 4
	s_mul_i32 s11, s11, s8
	s_mul_i32 s2, s0, s9
	s_mul_hi_u32 s3, s0, s8
	v_dual_mov_b32 v9, 0 :: v_dual_and_b32 v4, -2, v2
	s_add_i32 s3, s3, s2
	s_mul_i32 s2, s0, s8
	s_add_i32 s3, s3, s11
	s_add_u32 s19, s6, s2
	s_addc_u32 s20, s7, s3
	s_or_b32 s0, s10, 6
	v_dual_mov_b32 v7, v5 :: v_dual_lshlrev_b32 v8, 1, v0
	s_mul_i32 s4, s0, s9
	s_mul_hi_u32 s5, s0, s8
	v_mov_b32_e32 v6, v4
	s_add_i32 s5, s5, s4
	s_mul_i32 s4, s0, s8
	s_add_i32 s5, s5, s11
	s_add_u32 s21, s6, s4
	s_addc_u32 s22, s7, s5
	s_or_b32 s0, s10, 2
	s_mov_b32 s23, 0
	s_mul_i32 s10, s0, s9
	s_mul_hi_u32 s24, s0, s8
	s_delay_alu instid0(SALU_CYCLE_1)
	s_add_i32 s24, s24, s10
	s_mul_i32 s10, s0, s8
	s_add_i32 s11, s24, s11
	s_add_u32 s24, s6, s10
	s_addc_u32 s25, s7, s11
	s_set_inst_prefetch_distance 0x1
	.p2align	6
.LBB314_9:                              ; =>This Inner Loop Header: Depth=1
	v_add_co_u32 v10, vcc_lo, s13, v8
	v_add_co_ci_u32_e32 v11, vcc_lo, s14, v9, vcc_lo
	v_add_co_u32 v12, vcc_lo, s24, v8
	v_add_co_ci_u32_e32 v13, vcc_lo, s25, v9, vcc_lo
	s_clause 0x1
	global_load_b32 v14, v[10:11], off
	global_load_b32 v15, v[12:13], off
	v_add_co_u32 v10, vcc_lo, s19, v8
	v_add_co_ci_u32_e32 v11, vcc_lo, s20, v9, vcc_lo
	v_add_co_u32 v12, vcc_lo, s21, v8
	v_add_co_ci_u32_e32 v13, vcc_lo, s22, v9, vcc_lo
	s_clause 0x1
	global_load_b32 v16, v[10:11], off
	global_load_b32 v12, v[12:13], off
	v_add_co_u32 v6, vcc_lo, v6, -2
	v_add_co_ci_u32_e32 v7, vcc_lo, -1, v7, vcc_lo
	s_waitcnt vmcnt(3)
	v_pk_add_f16 v10, v14, 0
	s_waitcnt vmcnt(2)
	s_delay_alu instid0(VALU_DEP_1)
	v_pk_add_f16 v13, v10, v15
	v_add_co_u32 v10, vcc_lo, s15, v8
	v_add_co_ci_u32_e32 v11, vcc_lo, s16, v9, vcc_lo
	v_cmp_eq_u64_e32 vcc_lo, 0, v[6:7]
	v_add_co_u32 v8, s0, v8, s1
	s_waitcnt vmcnt(1)
	v_pk_add_f16 v13, v13, v16
	v_add_co_ci_u32_e64 v9, s0, 0, v9, s0
	s_or_b32 s23, vcc_lo, s23
	s_waitcnt vmcnt(0)
	s_delay_alu instid0(VALU_DEP_2)
	v_pk_add_f16 v12, v13, v12
	global_store_b32 v[10:11], v12, off
	s_and_not1_b32 exec_lo, exec_lo, s23
	s_cbranch_execnz .LBB314_9
; %bb.10:
	s_set_inst_prefetch_distance 0x2
	s_or_b32 exec_lo, exec_lo, s23
	v_mad_u64_u32 v[12:13], null, v4, s12, v[0:1]
	v_cmp_ne_u64_e32 vcc_lo, v[2:3], v[4:5]
	v_dual_mov_b32 v9, s5 :: v_dual_mov_b32 v8, s4
	v_dual_mov_b32 v10, s10 :: v_dual_mov_b32 v11, s11
	s_and_not1_b32 s0, s17, exec_lo
	s_delay_alu instid0(VALU_DEP_4) | instskip(SKIP_1) | instid1(SALU_CYCLE_1)
	v_mov_b32_e32 v0, v13
	s_and_b32 s1, vcc_lo, exec_lo
	s_or_b32 s17, s0, s1
	s_delay_alu instid0(VALU_DEP_1) | instskip(NEXT) | instid1(VALU_DEP_1)
	v_mad_u64_u32 v[6:7], null, v5, s12, v[0:1]
	v_mov_b32_e32 v13, v6
	v_dual_mov_b32 v7, s3 :: v_dual_mov_b32 v6, s2
	s_delay_alu instid0(VALU_DEP_2)
	v_dual_mov_b32 v0, v12 :: v_dual_mov_b32 v1, v13
.LBB314_11:
	s_or_b32 exec_lo, exec_lo, s18
	s_delay_alu instid0(SALU_CYCLE_1)
	s_and_b32 exec_lo, exec_lo, s17
	s_cbranch_execz .LBB314_14
; %bb.12:
	v_add_co_u32 v4, vcc_lo, s6, v6
	v_add_co_ci_u32_e32 v5, vcc_lo, s7, v7, vcc_lo
	v_add_co_u32 v6, vcc_lo, s6, v8
	v_add_co_ci_u32_e32 v7, vcc_lo, s7, v9, vcc_lo
	v_add_co_u32 v8, vcc_lo, s6, v10
	v_lshlrev_b64 v[2:3], 1, v[0:1]
	v_add_co_ci_u32_e32 v9, vcc_lo, s7, v11, vcc_lo
	s_lshl_b32 s1, s12, 1
	s_mov_b32 s2, 0
	s_set_inst_prefetch_distance 0x1
	.p2align	6
.LBB314_13:                             ; =>This Inner Loop Header: Depth=1
	s_delay_alu instid0(VALU_DEP_2)
	v_add_co_u32 v10, vcc_lo, s13, v2
	v_add_co_ci_u32_e32 v11, vcc_lo, s14, v3, vcc_lo
	v_add_co_u32 v12, vcc_lo, v8, v2
	v_add_co_ci_u32_e32 v13, vcc_lo, v9, v3, vcc_lo
	s_clause 0x1
	global_load_u16 v14, v[10:11], off
	global_load_u16 v15, v[12:13], off
	v_add_co_u32 v10, vcc_lo, v4, v2
	v_add_co_ci_u32_e32 v11, vcc_lo, v5, v3, vcc_lo
	v_add_co_u32 v12, vcc_lo, v6, v2
	v_add_co_ci_u32_e32 v13, vcc_lo, v7, v3, vcc_lo
	s_clause 0x1
	global_load_u16 v16, v[10:11], off
	global_load_u16 v12, v[12:13], off
	v_add_co_u32 v0, vcc_lo, v0, s12
	v_add_co_ci_u32_e32 v1, vcc_lo, 0, v1, vcc_lo
	s_waitcnt vmcnt(3)
	v_add_f16_e32 v10, 0, v14
	s_waitcnt vmcnt(2)
	s_delay_alu instid0(VALU_DEP_1)
	v_add_f16_e32 v13, v10, v15
	v_add_co_u32 v10, vcc_lo, s15, v2
	v_add_co_ci_u32_e32 v11, vcc_lo, s16, v3, vcc_lo
	v_cmp_le_i64_e32 vcc_lo, s[8:9], v[0:1]
	v_add_co_u32 v2, s0, v2, s1
	s_waitcnt vmcnt(1)
	v_add_f16_e32 v13, v13, v16
	v_add_co_ci_u32_e64 v3, s0, 0, v3, s0
	s_or_b32 s2, vcc_lo, s2
	s_waitcnt vmcnt(0)
	s_delay_alu instid0(VALU_DEP_2)
	v_add_f16_e32 v12, v13, v12
	global_store_b16 v[10:11], v12, off
	s_and_not1_b32 exec_lo, exec_lo, s2
	s_cbranch_execnz .LBB314_13
.LBB314_14:
	s_set_inst_prefetch_distance 0x2
	s_nop 0
	s_sendmsg sendmsg(MSG_DEALLOC_VGPRS)
	s_endpgm
	.section	.rodata,"a",@progbits
	.p2align	6, 0x0
	.amdhsa_kernel _ZN4vllm3moe14moe_sum_kernelIN3c104HalfELi4EEEvPT_PKS4_i
		.amdhsa_group_segment_fixed_size 0
		.amdhsa_private_segment_fixed_size 0
		.amdhsa_kernarg_size 280
		.amdhsa_user_sgpr_count 15
		.amdhsa_user_sgpr_dispatch_ptr 0
		.amdhsa_user_sgpr_queue_ptr 0
		.amdhsa_user_sgpr_kernarg_segment_ptr 1
		.amdhsa_user_sgpr_dispatch_id 0
		.amdhsa_user_sgpr_private_segment_size 0
		.amdhsa_wavefront_size32 1
		.amdhsa_uses_dynamic_stack 0
		.amdhsa_enable_private_segment 0
		.amdhsa_system_sgpr_workgroup_id_x 1
		.amdhsa_system_sgpr_workgroup_id_y 0
		.amdhsa_system_sgpr_workgroup_id_z 0
		.amdhsa_system_sgpr_workgroup_info 0
		.amdhsa_system_vgpr_workitem_id 0
		.amdhsa_next_free_vgpr 17
		.amdhsa_next_free_sgpr 26
		.amdhsa_reserve_vcc 1
		.amdhsa_float_round_mode_32 0
		.amdhsa_float_round_mode_16_64 0
		.amdhsa_float_denorm_mode_32 3
		.amdhsa_float_denorm_mode_16_64 3
		.amdhsa_dx10_clamp 1
		.amdhsa_ieee_mode 1
		.amdhsa_fp16_overflow 0
		.amdhsa_workgroup_processor_mode 1
		.amdhsa_memory_ordered 1
		.amdhsa_forward_progress 0
		.amdhsa_shared_vgpr_count 0
		.amdhsa_exception_fp_ieee_invalid_op 0
		.amdhsa_exception_fp_denorm_src 0
		.amdhsa_exception_fp_ieee_div_zero 0
		.amdhsa_exception_fp_ieee_overflow 0
		.amdhsa_exception_fp_ieee_underflow 0
		.amdhsa_exception_fp_ieee_inexact 0
		.amdhsa_exception_int_div_zero 0
	.end_amdhsa_kernel
	.section	.text._ZN4vllm3moe14moe_sum_kernelIN3c104HalfELi4EEEvPT_PKS4_i,"axG",@progbits,_ZN4vllm3moe14moe_sum_kernelIN3c104HalfELi4EEEvPT_PKS4_i,comdat
.Lfunc_end314:
	.size	_ZN4vllm3moe14moe_sum_kernelIN3c104HalfELi4EEEvPT_PKS4_i, .Lfunc_end314-_ZN4vllm3moe14moe_sum_kernelIN3c104HalfELi4EEEvPT_PKS4_i
                                        ; -- End function
	.section	.AMDGPU.csdata,"",@progbits
; Kernel info:
; codeLenInByte = 1960
; NumSgprs: 28
; NumVgprs: 17
; ScratchSize: 0
; MemoryBound: 0
; FloatMode: 240
; IeeeMode: 1
; LDSByteSize: 0 bytes/workgroup (compile time only)
; SGPRBlocks: 3
; VGPRBlocks: 2
; NumSGPRsForWavesPerEU: 28
; NumVGPRsForWavesPerEU: 17
; Occupancy: 16
; WaveLimiterHint : 0
; COMPUTE_PGM_RSRC2:SCRATCH_EN: 0
; COMPUTE_PGM_RSRC2:USER_SGPR: 15
; COMPUTE_PGM_RSRC2:TRAP_HANDLER: 0
; COMPUTE_PGM_RSRC2:TGID_X_EN: 1
; COMPUTE_PGM_RSRC2:TGID_Y_EN: 0
; COMPUTE_PGM_RSRC2:TGID_Z_EN: 0
; COMPUTE_PGM_RSRC2:TIDIG_COMP_CNT: 0
	.section	.text._ZN4vllm3moe14moe_sum_kernelIN3c108BFloat16ELi4EEEvPT_PKS4_i,"axG",@progbits,_ZN4vllm3moe14moe_sum_kernelIN3c108BFloat16ELi4EEEvPT_PKS4_i,comdat
	.protected	_ZN4vllm3moe14moe_sum_kernelIN3c108BFloat16ELi4EEEvPT_PKS4_i ; -- Begin function _ZN4vllm3moe14moe_sum_kernelIN3c108BFloat16ELi4EEEvPT_PKS4_i
	.globl	_ZN4vllm3moe14moe_sum_kernelIN3c108BFloat16ELi4EEEvPT_PKS4_i
	.p2align	8
	.type	_ZN4vllm3moe14moe_sum_kernelIN3c108BFloat16ELi4EEEvPT_PKS4_i,@function
_ZN4vllm3moe14moe_sum_kernelIN3c108BFloat16ELi4EEEvPT_PKS4_i: ; @_ZN4vllm3moe14moe_sum_kernelIN3c108BFloat16ELi4EEEvPT_PKS4_i
; %bb.0:
	s_load_b32 s8, s[0:1], 0x10
	s_mov_b32 s2, exec_lo
	s_waitcnt lgkmcnt(0)
	v_cmpx_gt_i32_e64 s8, v0
	s_cbranch_execz .LBB315_14
; %bb.1:
	s_clause 0x1
	s_load_b32 s2, s[0:1], 0x24
	s_load_b128 s[4:7], s[0:1], 0x0
	s_ashr_i32 s9, s8, 31
	s_mov_b32 s10, s15
	s_mov_b32 s0, exec_lo
	s_waitcnt lgkmcnt(0)
	s_and_b32 s12, s2, 0xffff
	s_delay_alu instid0(SALU_CYCLE_1) | instskip(NEXT) | instid1(VALU_DEP_1)
	v_add_co_u32 v1, s2, v0, s12
	v_add_co_ci_u32_e64 v2, null, 0, 0, s2
	s_delay_alu instid0(VALU_DEP_1) | instskip(SKIP_1) | instid1(VALU_DEP_2)
	v_cmp_gt_i64_e64 s2, s[8:9], v[1:2]
	v_cmp_lt_i64_e32 vcc_lo, s[8:9], v[1:2]
	v_cndmask_b32_e64 v6, 0, 1, s2
	v_cndmask_b32_e32 v3, s9, v2, vcc_lo
	v_cndmask_b32_e32 v4, s8, v1, vcc_lo
	s_delay_alu instid0(VALU_DEP_3) | instskip(SKIP_2) | instid1(VALU_DEP_3)
	v_add_co_u32 v5, vcc_lo, v1, v6
	v_mov_b32_e32 v1, 0
	v_add_co_ci_u32_e32 v2, vcc_lo, 0, v2, vcc_lo
	v_sub_co_u32 v7, vcc_lo, v4, v5
                                        ; implicit-def: $vgpr4_vgpr5
	s_delay_alu instid0(VALU_DEP_2) | instskip(NEXT) | instid1(VALU_DEP_4)
	v_sub_co_ci_u32_e32 v3, vcc_lo, v3, v2, vcc_lo
	v_mov_b32_e32 v2, v1
	s_delay_alu instid0(VALU_DEP_1)
	v_cmpx_ne_u64_e32 0, v[2:3]
	s_xor_b32 s1, exec_lo, s0
	s_cbranch_execz .LBB315_3
; %bb.2:
	v_cvt_f32_u32_e32 v2, s12
	s_sub_u32 s0, 0, s12
	s_subb_u32 s2, 0, 0
	s_delay_alu instid0(VALU_DEP_1) | instskip(NEXT) | instid1(VALU_DEP_1)
	v_fmamk_f32 v2, 0, 0x4f800000, v2
	v_rcp_f32_e32 v2, v2
	s_waitcnt_depctr 0xfff
	v_mul_f32_e32 v2, 0x5f7ffffc, v2
	s_delay_alu instid0(VALU_DEP_1) | instskip(NEXT) | instid1(VALU_DEP_1)
	v_mul_f32_e32 v4, 0x2f800000, v2
	v_trunc_f32_e32 v4, v4
	s_delay_alu instid0(VALU_DEP_1) | instskip(SKIP_1) | instid1(VALU_DEP_2)
	v_fmamk_f32 v2, v4, 0xcf800000, v2
	v_cvt_u32_f32_e32 v4, v4
	v_cvt_u32_f32_e32 v2, v2
	s_delay_alu instid0(VALU_DEP_2) | instskip(NEXT) | instid1(VALU_DEP_2)
	v_mul_lo_u32 v5, s0, v4
	v_mul_hi_u32 v8, s0, v2
	v_mul_lo_u32 v9, s2, v2
	s_delay_alu instid0(VALU_DEP_2) | instskip(SKIP_1) | instid1(VALU_DEP_2)
	v_add_nc_u32_e32 v5, v8, v5
	v_mul_lo_u32 v8, s0, v2
	v_add_nc_u32_e32 v5, v5, v9
	s_delay_alu instid0(VALU_DEP_2) | instskip(NEXT) | instid1(VALU_DEP_2)
	v_mul_hi_u32 v9, v2, v8
	v_mul_lo_u32 v10, v2, v5
	v_mul_hi_u32 v11, v2, v5
	v_mul_hi_u32 v12, v4, v8
	v_mul_lo_u32 v8, v4, v8
	v_mul_hi_u32 v13, v4, v5
	v_mul_lo_u32 v5, v4, v5
	v_add_co_u32 v9, vcc_lo, v9, v10
	v_add_co_ci_u32_e32 v10, vcc_lo, 0, v11, vcc_lo
	s_delay_alu instid0(VALU_DEP_2) | instskip(NEXT) | instid1(VALU_DEP_2)
	v_add_co_u32 v8, vcc_lo, v9, v8
	v_add_co_ci_u32_e32 v8, vcc_lo, v10, v12, vcc_lo
	v_add_co_ci_u32_e32 v9, vcc_lo, 0, v13, vcc_lo
	s_delay_alu instid0(VALU_DEP_2) | instskip(NEXT) | instid1(VALU_DEP_2)
	v_add_co_u32 v5, vcc_lo, v8, v5
	v_add_co_ci_u32_e32 v8, vcc_lo, 0, v9, vcc_lo
	s_delay_alu instid0(VALU_DEP_2) | instskip(NEXT) | instid1(VALU_DEP_2)
	v_add_co_u32 v2, vcc_lo, v2, v5
	v_add_co_ci_u32_e32 v4, vcc_lo, v4, v8, vcc_lo
	s_delay_alu instid0(VALU_DEP_2) | instskip(SKIP_1) | instid1(VALU_DEP_3)
	v_mul_hi_u32 v5, s0, v2
	v_mul_lo_u32 v9, s2, v2
	v_mul_lo_u32 v8, s0, v4
	s_delay_alu instid0(VALU_DEP_1) | instskip(SKIP_1) | instid1(VALU_DEP_2)
	v_add_nc_u32_e32 v5, v5, v8
	v_mul_lo_u32 v8, s0, v2
	v_add_nc_u32_e32 v5, v5, v9
	s_delay_alu instid0(VALU_DEP_2) | instskip(NEXT) | instid1(VALU_DEP_2)
	v_mul_hi_u32 v9, v2, v8
	v_mul_lo_u32 v10, v2, v5
	v_mul_hi_u32 v11, v2, v5
	v_mul_hi_u32 v12, v4, v8
	v_mul_lo_u32 v8, v4, v8
	v_mul_hi_u32 v13, v4, v5
	v_mul_lo_u32 v5, v4, v5
	v_add_co_u32 v9, vcc_lo, v9, v10
	v_add_co_ci_u32_e32 v10, vcc_lo, 0, v11, vcc_lo
	s_delay_alu instid0(VALU_DEP_2) | instskip(NEXT) | instid1(VALU_DEP_2)
	v_add_co_u32 v8, vcc_lo, v9, v8
	v_add_co_ci_u32_e32 v8, vcc_lo, v10, v12, vcc_lo
	v_add_co_ci_u32_e32 v9, vcc_lo, 0, v13, vcc_lo
	s_delay_alu instid0(VALU_DEP_2) | instskip(NEXT) | instid1(VALU_DEP_2)
	v_add_co_u32 v5, vcc_lo, v8, v5
	v_add_co_ci_u32_e32 v8, vcc_lo, 0, v9, vcc_lo
	s_delay_alu instid0(VALU_DEP_2) | instskip(NEXT) | instid1(VALU_DEP_2)
	v_add_co_u32 v2, vcc_lo, v2, v5
	v_add_co_ci_u32_e32 v12, vcc_lo, v4, v8, vcc_lo
	s_delay_alu instid0(VALU_DEP_2) | instskip(SKIP_1) | instid1(VALU_DEP_3)
	v_mul_hi_u32 v13, v7, v2
	v_mad_u64_u32 v[8:9], null, v3, v2, 0
	v_mad_u64_u32 v[4:5], null, v7, v12, 0
	;; [unrolled: 1-line block ×3, first 2 shown]
	s_delay_alu instid0(VALU_DEP_2) | instskip(NEXT) | instid1(VALU_DEP_3)
	v_add_co_u32 v2, vcc_lo, v13, v4
	v_add_co_ci_u32_e32 v4, vcc_lo, 0, v5, vcc_lo
	s_delay_alu instid0(VALU_DEP_2) | instskip(NEXT) | instid1(VALU_DEP_2)
	v_add_co_u32 v2, vcc_lo, v2, v8
	v_add_co_ci_u32_e32 v2, vcc_lo, v4, v9, vcc_lo
	v_add_co_ci_u32_e32 v4, vcc_lo, 0, v11, vcc_lo
	s_delay_alu instid0(VALU_DEP_2) | instskip(NEXT) | instid1(VALU_DEP_2)
	v_add_co_u32 v10, vcc_lo, v2, v10
	v_add_co_ci_u32_e32 v11, vcc_lo, 0, v4, vcc_lo
	s_delay_alu instid0(VALU_DEP_2) | instskip(NEXT) | instid1(VALU_DEP_1)
	v_mad_u64_u32 v[4:5], null, s12, v10, 0
	v_mov_b32_e32 v2, v5
	s_delay_alu instid0(VALU_DEP_1) | instskip(NEXT) | instid1(VALU_DEP_3)
	v_mad_u64_u32 v[8:9], null, s12, v11, v[2:3]
	v_sub_co_u32 v2, vcc_lo, v7, v4
	s_delay_alu instid0(VALU_DEP_2) | instskip(NEXT) | instid1(VALU_DEP_2)
	v_sub_co_ci_u32_e32 v3, vcc_lo, v3, v8, vcc_lo
	v_sub_co_u32 v4, vcc_lo, v2, s12
	s_delay_alu instid0(VALU_DEP_2) | instskip(NEXT) | instid1(VALU_DEP_2)
	v_subrev_co_ci_u32_e32 v5, vcc_lo, 0, v3, vcc_lo
	v_cmp_le_u32_e32 vcc_lo, s12, v4
	v_cmp_eq_u32_e64 s0, 0, v3
	v_cndmask_b32_e64 v4, 0, -1, vcc_lo
	v_add_co_u32 v7, vcc_lo, v10, 2
	v_add_co_ci_u32_e32 v8, vcc_lo, 0, v11, vcc_lo
	v_cmp_le_u32_e32 vcc_lo, s12, v2
	v_cndmask_b32_e64 v2, 0, -1, vcc_lo
	v_cmp_eq_u32_e32 vcc_lo, 0, v5
	s_delay_alu instid0(VALU_DEP_2) | instskip(SKIP_3) | instid1(VALU_DEP_3)
	v_cndmask_b32_e64 v2, -1, v2, s0
	v_cndmask_b32_e32 v4, -1, v4, vcc_lo
	v_add_co_u32 v5, vcc_lo, v10, 1
	v_add_co_ci_u32_e32 v9, vcc_lo, 0, v11, vcc_lo
	v_cmp_ne_u32_e32 vcc_lo, 0, v4
	s_delay_alu instid0(VALU_DEP_2) | instskip(NEXT) | instid1(VALU_DEP_4)
	v_cndmask_b32_e32 v3, v9, v8, vcc_lo
	v_cndmask_b32_e32 v4, v5, v7, vcc_lo
	v_cmp_ne_u32_e32 vcc_lo, 0, v2
                                        ; implicit-def: $vgpr7
	s_delay_alu instid0(VALU_DEP_2)
	v_dual_cndmask_b32 v5, v11, v3 :: v_dual_cndmask_b32 v4, v10, v4
.LBB315_3:
	s_and_not1_saveexec_b32 s0, s1
	s_cbranch_execz .LBB315_5
; %bb.4:
	v_cvt_f32_u32_e32 v2, s12
	s_sub_i32 s1, 0, s12
	s_delay_alu instid0(VALU_DEP_1) | instskip(SKIP_2) | instid1(VALU_DEP_1)
	v_rcp_iflag_f32_e32 v2, v2
	s_waitcnt_depctr 0xfff
	v_mul_f32_e32 v2, 0x4f7ffffe, v2
	v_cvt_u32_f32_e32 v2, v2
	s_delay_alu instid0(VALU_DEP_1) | instskip(NEXT) | instid1(VALU_DEP_1)
	v_mul_lo_u32 v3, s1, v2
	v_mul_hi_u32 v3, v2, v3
	s_delay_alu instid0(VALU_DEP_1) | instskip(NEXT) | instid1(VALU_DEP_1)
	v_add_nc_u32_e32 v2, v2, v3
	v_mul_hi_u32 v2, v7, v2
	s_delay_alu instid0(VALU_DEP_1) | instskip(SKIP_1) | instid1(VALU_DEP_2)
	v_mul_lo_u32 v3, v2, s12
	v_add_nc_u32_e32 v4, 1, v2
	v_sub_nc_u32_e32 v3, v7, v3
	s_delay_alu instid0(VALU_DEP_1) | instskip(SKIP_1) | instid1(VALU_DEP_2)
	v_subrev_nc_u32_e32 v5, s12, v3
	v_cmp_le_u32_e32 vcc_lo, s12, v3
	v_cndmask_b32_e32 v3, v3, v5, vcc_lo
	v_dual_mov_b32 v5, 0 :: v_dual_cndmask_b32 v2, v2, v4
	s_delay_alu instid0(VALU_DEP_2) | instskip(NEXT) | instid1(VALU_DEP_2)
	v_cmp_le_u32_e32 vcc_lo, s12, v3
	v_add_nc_u32_e32 v4, 1, v2
	s_delay_alu instid0(VALU_DEP_1)
	v_cndmask_b32_e32 v4, v2, v4, vcc_lo
.LBB315_5:
	s_or_b32 exec_lo, exec_lo, s0
	s_delay_alu instid0(VALU_DEP_1) | instskip(SKIP_2) | instid1(VALU_DEP_2)
	v_add_co_u32 v2, vcc_lo, v4, v6
	v_add_co_ci_u32_e32 v3, vcc_lo, 0, v5, vcc_lo
	s_mul_i32 s0, s10, s9
	v_add_co_u32 v2, vcc_lo, v2, 1
	s_mul_hi_u32 s1, s10, s8
	s_delay_alu instid0(VALU_DEP_2)
	v_add_co_ci_u32_e32 v3, vcc_lo, 0, v3, vcc_lo
	s_add_i32 s1, s1, s0
	s_mul_i32 s0, s10, s8
	s_mov_b32 s11, 0
	s_lshl_b64 s[2:3], s[0:1], 3
	v_cmp_gt_u64_e32 vcc_lo, 2, v[2:3]
	s_add_u32 s13, s6, s2
	v_cmp_ne_u16_e64 s2, s12, 1
	s_addc_u32 s14, s7, s3
	s_lshl_b64 s[0:1], s[0:1], 1
                                        ; kill: def $vgpr4_vgpr5 killed $sgpr0_sgpr1 killed $exec
	s_mov_b32 s17, s11
	v_mov_b32_e32 v5, v3
	s_add_u32 s15, s4, s0
	s_addc_u32 s16, s5, s1
	s_or_b32 s18, vcc_lo, s2
                                        ; implicit-def: $sgpr0_sgpr1
                                        ; implicit-def: $sgpr2_sgpr3
                                        ; implicit-def: $sgpr4_sgpr5
	s_delay_alu instid0(SALU_CYCLE_1) | instskip(NEXT) | instid1(SALU_CYCLE_1)
	s_and_saveexec_b32 s19, s18
	s_xor_b32 s18, exec_lo, s19
	s_cbranch_execz .LBB315_7
; %bb.6:
	s_lshl_b64 s[2:3], s[10:11], 3
	s_mov_b32 s17, exec_lo
	s_or_b32 s0, s2, 4
	s_mul_i32 s5, s3, s8
	s_mul_i32 s1, s0, s9
	s_mul_hi_u32 s4, s0, s8
	s_or_b32 s20, s2, 2
	s_add_i32 s1, s4, s1
	s_or_b32 s4, s2, 6
	s_mul_hi_u32 s21, s20, s8
	s_mul_i32 s3, s4, s9
	s_mul_hi_u32 s19, s4, s8
	s_add_i32 s1, s1, s5
	s_add_i32 s2, s19, s3
	s_mul_i32 s19, s20, s9
	s_mul_i32 s0, s0, s8
	s_add_i32 s19, s21, s19
	s_add_i32 s3, s2, s5
	s_mul_i32 s2, s4, s8
	s_add_i32 s5, s19, s5
	s_mul_i32 s4, s20, s8
                                        ; implicit-def: $vgpr2_vgpr3
                                        ; implicit-def: $vgpr5
.LBB315_7:
	s_or_saveexec_b32 s18, s18
	v_dual_mov_b32 v7, s1 :: v_dual_mov_b32 v6, s0
	v_dual_mov_b32 v9, s3 :: v_dual_mov_b32 v8, s2
	;; [unrolled: 1-line block ×3, first 2 shown]
	s_xor_b32 exec_lo, exec_lo, s18
	s_cbranch_execz .LBB315_11
; %bb.8:
	s_lshl_b64 s[10:11], s[10:11], 3
	s_lshl_b32 s1, s12, 2
	s_or_b32 s0, s10, 4
	s_mul_i32 s11, s11, s8
	s_mul_i32 s2, s0, s9
	s_mul_hi_u32 s3, s0, s8
	v_dual_mov_b32 v9, 0 :: v_dual_and_b32 v4, -2, v2
	s_add_i32 s3, s3, s2
	s_mul_i32 s2, s0, s8
	s_add_i32 s3, s3, s11
	s_add_u32 s19, s6, s2
	s_addc_u32 s20, s7, s3
	s_or_b32 s0, s10, 6
	v_dual_mov_b32 v7, v5 :: v_dual_lshlrev_b32 v8, 1, v0
	s_mul_i32 s4, s0, s9
	s_mul_hi_u32 s5, s0, s8
	v_mov_b32_e32 v6, v4
	s_add_i32 s5, s5, s4
	s_mul_i32 s4, s0, s8
	s_add_i32 s5, s5, s11
	s_add_u32 s21, s6, s4
	s_addc_u32 s22, s7, s5
	s_or_b32 s0, s10, 2
	s_mov_b32 s23, 0
	s_mul_i32 s10, s0, s9
	s_mul_hi_u32 s24, s0, s8
	s_delay_alu instid0(SALU_CYCLE_1)
	s_add_i32 s24, s24, s10
	s_mul_i32 s10, s0, s8
	s_add_i32 s11, s24, s11
	s_add_u32 s24, s6, s10
	s_addc_u32 s25, s7, s11
.LBB315_9:                              ; =>This Inner Loop Header: Depth=1
	v_add_co_u32 v10, vcc_lo, s13, v8
	v_add_co_ci_u32_e32 v11, vcc_lo, s14, v9, vcc_lo
	v_add_co_u32 v12, vcc_lo, s24, v8
	v_add_co_ci_u32_e32 v13, vcc_lo, s25, v9, vcc_lo
	;; [unrolled: 2-line block ×4, first 2 shown]
	s_clause 0x3
	global_load_b32 v10, v[10:11], off
	global_load_b32 v11, v[12:13], off
	;; [unrolled: 1-line block ×4, first 2 shown]
	s_waitcnt vmcnt(3)
	v_pk_lshrrev_b16 v14, 8, v10 op_sel_hi:[0,1]
	s_waitcnt vmcnt(2)
	v_pk_lshrrev_b16 v15, 8, v11 op_sel_hi:[0,1]
	v_and_b32_e32 v11, 0xff00ff, v11
	s_waitcnt vmcnt(1)
	v_pk_lshrrev_b16 v16, 8, v12 op_sel_hi:[0,1]
	s_waitcnt vmcnt(0)
	v_pk_lshrrev_b16 v17, 8, v13 op_sel_hi:[0,1]
	v_lshlrev_b32_e32 v19, 8, v14
	v_lshlrev_b32_e32 v21, 8, v15
	;; [unrolled: 1-line block ×3, first 2 shown]
	v_and_b32_e32 v11, 0xffff0000, v11
	s_delay_alu instid0(VALU_DEP_2) | instskip(NEXT) | instid1(VALU_DEP_2)
	v_lshl_or_b32 v15, v15, 24, v20
	v_and_or_b32 v11, 0xff000000, v21, v11
	v_and_b32_e32 v10, 0xff00ff, v10
	s_delay_alu instid0(VALU_DEP_1) | instskip(SKIP_1) | instid1(VALU_DEP_2)
	v_lshlrev_b32_e32 v18, 16, v10
	v_and_b32_e32 v10, 0xffff0000, v10
	v_lshl_or_b32 v14, v14, 24, v18
	s_delay_alu instid0(VALU_DEP_2) | instskip(NEXT) | instid1(VALU_DEP_2)
	v_and_or_b32 v10, 0xff000000, v19, v10
	v_dual_add_f32 v19, 0, v14 :: v_dual_and_b32 v12, 0xff00ff, v12
	s_delay_alu instid0(VALU_DEP_2) | instskip(SKIP_2) | instid1(VALU_DEP_4)
	v_add_f32_e32 v18, 0, v10
	v_cmp_o_f32_e32 vcc_lo, v14, v14
	v_cmp_o_f32_e64 s0, v10, v10
	v_lshlrev_b32_e32 v22, 16, v12
	v_bfe_u32 v21, v19, 16, 1
	v_bfe_u32 v20, v18, 16, 1
	v_and_b32_e32 v12, 0xffff0000, v12
	s_delay_alu instid0(VALU_DEP_3) | instskip(NEXT) | instid1(VALU_DEP_3)
	v_add3_u32 v19, v19, v21, 0x7fff
	v_add3_u32 v18, v18, v20, 0x7fff
	s_delay_alu instid0(VALU_DEP_2) | instskip(NEXT) | instid1(VALU_DEP_2)
	v_lshrrev_b32_e32 v19, 16, v19
	v_lshrrev_b32_e32 v18, 16, v18
	v_lshlrev_b32_e32 v23, 8, v16
	v_lshl_or_b32 v16, v16, 24, v22
	s_delay_alu instid0(VALU_DEP_4) | instskip(NEXT) | instid1(VALU_DEP_4)
	v_cndmask_b32_e32 v14, 0x7fc0, v19, vcc_lo
	v_cndmask_b32_e64 v10, 0x7fc0, v18, s0
	s_delay_alu instid0(VALU_DEP_4) | instskip(NEXT) | instid1(VALU_DEP_2)
	v_and_or_b32 v12, 0xff000000, v23, v12
	v_perm_b32 v10, v10, v14, 0x5040100
	s_delay_alu instid0(VALU_DEP_1) | instskip(SKIP_1) | instid1(VALU_DEP_2)
	v_and_b32_e32 v14, 0xff00ff, v10
	v_pk_lshrrev_b16 v10, 8, v10 op_sel_hi:[0,1]
	v_and_b32_e32 v18, 0xffff0000, v14
	s_delay_alu instid0(VALU_DEP_2) | instskip(SKIP_1) | instid1(VALU_DEP_2)
	v_lshlrev_b32_e32 v19, 8, v10
	v_lshlrev_b32_e32 v14, 16, v14
	v_and_or_b32 v18, 0xff000000, v19, v18
	s_delay_alu instid0(VALU_DEP_2) | instskip(SKIP_1) | instid1(VALU_DEP_3)
	v_lshl_or_b32 v10, v10, 24, v14
	v_and_b32_e32 v13, 0xff00ff, v13
	v_add_f32_e32 v11, v18, v11
	s_delay_alu instid0(VALU_DEP_3) | instskip(NEXT) | instid1(VALU_DEP_2)
	v_add_f32_e32 v10, v10, v15
	v_bfe_u32 v14, v11, 16, 1
	s_delay_alu instid0(VALU_DEP_2) | instskip(SKIP_2) | instid1(VALU_DEP_4)
	v_bfe_u32 v15, v10, 16, 1
	v_cmp_o_f32_e32 vcc_lo, v10, v10
	v_cmp_o_f32_e64 s0, v11, v11
	v_add3_u32 v14, v11, v14, 0x7fff
	s_delay_alu instid0(VALU_DEP_4) | instskip(NEXT) | instid1(VALU_DEP_2)
	v_add3_u32 v15, v10, v15, 0x7fff
	v_lshrrev_b32_e32 v14, 16, v14
	s_delay_alu instid0(VALU_DEP_2) | instskip(NEXT) | instid1(VALU_DEP_2)
	v_lshrrev_b32_e32 v15, 16, v15
	v_cndmask_b32_e64 v10, 0x7fc0, v14, s0
	s_delay_alu instid0(VALU_DEP_2) | instskip(NEXT) | instid1(VALU_DEP_1)
	v_cndmask_b32_e32 v11, 0x7fc0, v15, vcc_lo
	v_perm_b32 v10, v10, v11, 0x5040100
	s_delay_alu instid0(VALU_DEP_1) | instskip(SKIP_1) | instid1(VALU_DEP_2)
	v_and_b32_e32 v11, 0xff00ff, v10
	v_pk_lshrrev_b16 v10, 8, v10 op_sel_hi:[0,1]
	v_and_b32_e32 v14, 0xffff0000, v11
	s_delay_alu instid0(VALU_DEP_2) | instskip(SKIP_1) | instid1(VALU_DEP_2)
	v_lshlrev_b32_e32 v15, 8, v10
	v_lshlrev_b32_e32 v11, 16, v11
	v_and_or_b32 v14, 0xff000000, v15, v14
	s_delay_alu instid0(VALU_DEP_2) | instskip(NEXT) | instid1(VALU_DEP_2)
	v_lshl_or_b32 v10, v10, 24, v11
	v_add_f32_e32 v11, v14, v12
	s_delay_alu instid0(VALU_DEP_2) | instskip(NEXT) | instid1(VALU_DEP_2)
	v_add_f32_e32 v10, v10, v16
	v_bfe_u32 v12, v11, 16, 1
	s_delay_alu instid0(VALU_DEP_2) | instskip(SKIP_2) | instid1(VALU_DEP_4)
	v_bfe_u32 v14, v10, 16, 1
	v_cmp_o_f32_e32 vcc_lo, v10, v10
	v_cmp_o_f32_e64 s0, v11, v11
	v_add3_u32 v12, v11, v12, 0x7fff
	s_delay_alu instid0(VALU_DEP_4) | instskip(NEXT) | instid1(VALU_DEP_2)
	v_add3_u32 v14, v10, v14, 0x7fff
	v_lshrrev_b32_e32 v12, 16, v12
	s_delay_alu instid0(VALU_DEP_2) | instskip(NEXT) | instid1(VALU_DEP_2)
	v_lshrrev_b32_e32 v14, 16, v14
	v_cndmask_b32_e64 v10, 0x7fc0, v12, s0
	s_delay_alu instid0(VALU_DEP_2) | instskip(SKIP_1) | instid1(VALU_DEP_2)
	v_dual_cndmask_b32 v11, 0x7fc0, v14 :: v_dual_lshlrev_b32 v12, 16, v13
	v_lshlrev_b32_e32 v14, 8, v17
	v_perm_b32 v10, v10, v11, 0x5040100
	v_and_b32_e32 v11, 0xffff0000, v13
	s_delay_alu instid0(VALU_DEP_4) | instskip(NEXT) | instid1(VALU_DEP_3)
	v_lshl_or_b32 v12, v17, 24, v12
	v_and_b32_e32 v13, 0xff00ff, v10
	v_pk_lshrrev_b16 v10, 8, v10 op_sel_hi:[0,1]
	s_delay_alu instid0(VALU_DEP_4) | instskip(NEXT) | instid1(VALU_DEP_3)
	v_and_or_b32 v11, 0xff000000, v14, v11
	v_and_b32_e32 v15, 0xffff0000, v13
	s_delay_alu instid0(VALU_DEP_3) | instskip(SKIP_1) | instid1(VALU_DEP_2)
	v_lshlrev_b32_e32 v16, 8, v10
	v_lshlrev_b32_e32 v13, 16, v13
	v_and_or_b32 v14, 0xff000000, v16, v15
	s_delay_alu instid0(VALU_DEP_2) | instskip(SKIP_1) | instid1(VALU_DEP_3)
	v_lshl_or_b32 v13, v10, 24, v13
	v_add_co_u32 v10, vcc_lo, s15, v8
	v_add_f32_e32 v14, v14, v11
	s_delay_alu instid0(VALU_DEP_3) | instskip(SKIP_2) | instid1(VALU_DEP_4)
	v_add_f32_e32 v12, v13, v12
	v_add_co_ci_u32_e32 v11, vcc_lo, s16, v9, vcc_lo
	v_add_co_u32 v6, vcc_lo, v6, -2
	v_bfe_u32 v13, v14, 16, 1
	s_delay_alu instid0(VALU_DEP_4) | instskip(SKIP_2) | instid1(VALU_DEP_4)
	v_bfe_u32 v15, v12, 16, 1
	v_add_co_ci_u32_e32 v7, vcc_lo, -1, v7, vcc_lo
	v_cmp_o_f32_e32 vcc_lo, v12, v12
	v_add3_u32 v13, v14, v13, 0x7fff
	s_delay_alu instid0(VALU_DEP_4) | instskip(SKIP_1) | instid1(VALU_DEP_3)
	v_add3_u32 v15, v12, v15, 0x7fff
	v_cmp_o_f32_e64 s0, v14, v14
	v_lshrrev_b32_e32 v13, 16, v13
	s_delay_alu instid0(VALU_DEP_3) | instskip(NEXT) | instid1(VALU_DEP_2)
	v_lshrrev_b32_e32 v15, 16, v15
	v_cndmask_b32_e64 v12, 0x7fc0, v13, s0
	s_delay_alu instid0(VALU_DEP_2) | instskip(SKIP_2) | instid1(VALU_DEP_1)
	v_cndmask_b32_e32 v13, 0x7fc0, v15, vcc_lo
	v_cmp_eq_u64_e32 vcc_lo, 0, v[6:7]
	v_add_co_u32 v8, s0, v8, s1
	v_add_co_ci_u32_e64 v9, s0, 0, v9, s0
	s_delay_alu instid0(VALU_DEP_4)
	v_perm_b32 v12, v12, v13, 0x5040100
	s_or_b32 s23, vcc_lo, s23
	global_store_b32 v[10:11], v12, off
	s_and_not1_b32 exec_lo, exec_lo, s23
	s_cbranch_execnz .LBB315_9
; %bb.10:
	s_or_b32 exec_lo, exec_lo, s23
	v_mad_u64_u32 v[12:13], null, v4, s12, v[0:1]
	v_cmp_ne_u64_e32 vcc_lo, v[2:3], v[4:5]
	v_dual_mov_b32 v9, s5 :: v_dual_mov_b32 v8, s4
	v_dual_mov_b32 v10, s10 :: v_dual_mov_b32 v11, s11
	s_and_not1_b32 s0, s17, exec_lo
	s_delay_alu instid0(VALU_DEP_4) | instskip(SKIP_1) | instid1(SALU_CYCLE_1)
	v_mov_b32_e32 v0, v13
	s_and_b32 s1, vcc_lo, exec_lo
	s_or_b32 s17, s0, s1
	s_delay_alu instid0(VALU_DEP_1) | instskip(NEXT) | instid1(VALU_DEP_1)
	v_mad_u64_u32 v[6:7], null, v5, s12, v[0:1]
	v_mov_b32_e32 v13, v6
	v_dual_mov_b32 v7, s3 :: v_dual_mov_b32 v6, s2
	s_delay_alu instid0(VALU_DEP_2)
	v_dual_mov_b32 v0, v12 :: v_dual_mov_b32 v1, v13
.LBB315_11:
	s_or_b32 exec_lo, exec_lo, s18
	s_delay_alu instid0(SALU_CYCLE_1)
	s_and_b32 exec_lo, exec_lo, s17
	s_cbranch_execz .LBB315_14
; %bb.12:
	v_add_co_u32 v4, vcc_lo, s6, v6
	v_add_co_ci_u32_e32 v5, vcc_lo, s7, v7, vcc_lo
	v_add_co_u32 v6, vcc_lo, s6, v8
	v_add_co_ci_u32_e32 v7, vcc_lo, s7, v9, vcc_lo
	v_add_co_u32 v8, vcc_lo, s6, v10
	v_lshlrev_b64 v[2:3], 1, v[0:1]
	v_add_co_ci_u32_e32 v9, vcc_lo, s7, v11, vcc_lo
	s_lshl_b32 s2, s12, 1
	s_mov_b32 s3, 0
.LBB315_13:                             ; =>This Inner Loop Header: Depth=1
	s_delay_alu instid0(VALU_DEP_2) | instskip(NEXT) | instid1(VALU_DEP_3)
	v_add_co_u32 v10, vcc_lo, s13, v2
	v_add_co_ci_u32_e32 v11, vcc_lo, s14, v3, vcc_lo
	global_load_u16 v12, v[10:11], off
	v_add_co_u32 v10, vcc_lo, v8, v2
	v_add_co_ci_u32_e32 v11, vcc_lo, v9, v3, vcc_lo
	global_load_u16 v13, v[10:11], off
	;; [unrolled: 3-line block ×4, first 2 shown]
	s_waitcnt vmcnt(3)
	v_and_b32_e32 v11, 0xff, v12
	v_lshrrev_b16 v12, 8, v12
	s_delay_alu instid0(VALU_DEP_2) | instskip(NEXT) | instid1(VALU_DEP_1)
	v_lshlrev_b32_e32 v11, 16, v11
	v_lshl_or_b32 v11, v12, 24, v11
	s_delay_alu instid0(VALU_DEP_1) | instskip(SKIP_1) | instid1(VALU_DEP_2)
	v_add_f32_e32 v12, 0, v11
	v_cmp_o_f32_e32 vcc_lo, v11, v11
	v_bfe_u32 v15, v12, 16, 1
	s_delay_alu instid0(VALU_DEP_1) | instskip(NEXT) | instid1(VALU_DEP_1)
	v_add3_u32 v12, v12, v15, 0x7fff
	v_lshrrev_b32_e32 v12, 16, v12
	s_delay_alu instid0(VALU_DEP_1) | instskip(SKIP_3) | instid1(VALU_DEP_3)
	v_cndmask_b32_e32 v11, 0x7fc0, v12, vcc_lo
	s_waitcnt vmcnt(2)
	v_and_b32_e32 v12, 0xff, v13
	v_lshrrev_b16 v13, 8, v13
	v_and_b32_e32 v15, 0xff, v11
	s_delay_alu instid0(VALU_DEP_3) | instskip(SKIP_1) | instid1(VALU_DEP_3)
	v_lshlrev_b32_e32 v12, 16, v12
	v_lshrrev_b16 v11, 8, v11
	v_lshlrev_b32_e32 v15, 16, v15
	s_delay_alu instid0(VALU_DEP_3) | instskip(NEXT) | instid1(VALU_DEP_2)
	v_lshl_or_b32 v12, v13, 24, v12
	v_lshl_or_b32 v11, v11, 24, v15
	s_delay_alu instid0(VALU_DEP_1) | instskip(NEXT) | instid1(VALU_DEP_1)
	v_add_f32_e32 v11, v11, v12
	v_bfe_u32 v12, v11, 16, 1
	v_cmp_o_f32_e32 vcc_lo, v11, v11
	s_delay_alu instid0(VALU_DEP_2) | instskip(NEXT) | instid1(VALU_DEP_1)
	v_add3_u32 v12, v11, v12, 0x7fff
	v_lshrrev_b32_e32 v12, 16, v12
	s_delay_alu instid0(VALU_DEP_1) | instskip(SKIP_3) | instid1(VALU_DEP_3)
	v_cndmask_b32_e32 v11, 0x7fc0, v12, vcc_lo
	s_waitcnt vmcnt(1)
	v_and_b32_e32 v12, 0xff, v14
	v_lshrrev_b16 v14, 8, v14
	v_and_b32_e32 v13, 0xff, v11
	s_delay_alu instid0(VALU_DEP_3) | instskip(SKIP_1) | instid1(VALU_DEP_3)
	v_lshlrev_b32_e32 v12, 16, v12
	v_lshrrev_b16 v11, 8, v11
	v_lshlrev_b32_e32 v13, 16, v13
	s_delay_alu instid0(VALU_DEP_3) | instskip(NEXT) | instid1(VALU_DEP_2)
	v_lshl_or_b32 v12, v14, 24, v12
	v_lshl_or_b32 v11, v11, 24, v13
	s_delay_alu instid0(VALU_DEP_1) | instskip(NEXT) | instid1(VALU_DEP_1)
	v_add_f32_e32 v11, v11, v12
	v_bfe_u32 v12, v11, 16, 1
	v_cmp_o_f32_e32 vcc_lo, v11, v11
	s_delay_alu instid0(VALU_DEP_2) | instskip(NEXT) | instid1(VALU_DEP_1)
	v_add3_u32 v12, v11, v12, 0x7fff
	v_lshrrev_b32_e32 v12, 16, v12
	s_delay_alu instid0(VALU_DEP_1)
	v_cndmask_b32_e32 v11, 0x7fc0, v12, vcc_lo
	s_waitcnt vmcnt(0)
	v_and_b32_e32 v12, 0xff, v10
	v_lshrrev_b16 v10, 8, v10
	v_add_co_u32 v0, vcc_lo, v0, s12
	v_and_b32_e32 v13, 0xff, v11
	s_delay_alu instid0(VALU_DEP_4) | instskip(SKIP_2) | instid1(VALU_DEP_4)
	v_lshlrev_b32_e32 v12, 16, v12
	v_lshrrev_b16 v11, 8, v11
	v_add_co_ci_u32_e32 v1, vcc_lo, 0, v1, vcc_lo
	v_lshlrev_b32_e32 v13, 16, v13
	s_delay_alu instid0(VALU_DEP_4) | instskip(NEXT) | instid1(VALU_DEP_3)
	v_lshl_or_b32 v10, v10, 24, v12
	v_cmp_le_i64_e64 s0, s[8:9], v[0:1]
	s_delay_alu instid0(VALU_DEP_3) | instskip(NEXT) | instid1(VALU_DEP_2)
	v_lshl_or_b32 v11, v11, 24, v13
	s_or_b32 s3, s0, s3
	s_delay_alu instid0(VALU_DEP_1) | instskip(NEXT) | instid1(VALU_DEP_1)
	v_add_f32_e32 v12, v11, v10
	v_bfe_u32 v10, v12, 16, 1
	v_cmp_o_f32_e64 s1, v12, v12
	s_delay_alu instid0(VALU_DEP_2) | instskip(SKIP_2) | instid1(VALU_DEP_3)
	v_add3_u32 v13, v12, v10, 0x7fff
	v_add_co_u32 v10, vcc_lo, s15, v2
	v_add_co_ci_u32_e32 v11, vcc_lo, s16, v3, vcc_lo
	v_lshrrev_b32_e32 v13, 16, v13
	v_add_co_u32 v2, vcc_lo, v2, s2
	v_add_co_ci_u32_e32 v3, vcc_lo, 0, v3, vcc_lo
	s_delay_alu instid0(VALU_DEP_3)
	v_cndmask_b32_e64 v12, 0x7fc0, v13, s1
	global_store_b16 v[10:11], v12, off
	s_and_not1_b32 exec_lo, exec_lo, s3
	s_cbranch_execnz .LBB315_13
.LBB315_14:
	s_nop 0
	s_sendmsg sendmsg(MSG_DEALLOC_VGPRS)
	s_endpgm
	.section	.rodata,"a",@progbits
	.p2align	6, 0x0
	.amdhsa_kernel _ZN4vllm3moe14moe_sum_kernelIN3c108BFloat16ELi4EEEvPT_PKS4_i
		.amdhsa_group_segment_fixed_size 0
		.amdhsa_private_segment_fixed_size 0
		.amdhsa_kernarg_size 280
		.amdhsa_user_sgpr_count 15
		.amdhsa_user_sgpr_dispatch_ptr 0
		.amdhsa_user_sgpr_queue_ptr 0
		.amdhsa_user_sgpr_kernarg_segment_ptr 1
		.amdhsa_user_sgpr_dispatch_id 0
		.amdhsa_user_sgpr_private_segment_size 0
		.amdhsa_wavefront_size32 1
		.amdhsa_uses_dynamic_stack 0
		.amdhsa_enable_private_segment 0
		.amdhsa_system_sgpr_workgroup_id_x 1
		.amdhsa_system_sgpr_workgroup_id_y 0
		.amdhsa_system_sgpr_workgroup_id_z 0
		.amdhsa_system_sgpr_workgroup_info 0
		.amdhsa_system_vgpr_workitem_id 0
		.amdhsa_next_free_vgpr 24
		.amdhsa_next_free_sgpr 26
		.amdhsa_reserve_vcc 1
		.amdhsa_float_round_mode_32 0
		.amdhsa_float_round_mode_16_64 0
		.amdhsa_float_denorm_mode_32 3
		.amdhsa_float_denorm_mode_16_64 3
		.amdhsa_dx10_clamp 1
		.amdhsa_ieee_mode 1
		.amdhsa_fp16_overflow 0
		.amdhsa_workgroup_processor_mode 1
		.amdhsa_memory_ordered 1
		.amdhsa_forward_progress 0
		.amdhsa_shared_vgpr_count 0
		.amdhsa_exception_fp_ieee_invalid_op 0
		.amdhsa_exception_fp_denorm_src 0
		.amdhsa_exception_fp_ieee_div_zero 0
		.amdhsa_exception_fp_ieee_overflow 0
		.amdhsa_exception_fp_ieee_underflow 0
		.amdhsa_exception_fp_ieee_inexact 0
		.amdhsa_exception_int_div_zero 0
	.end_amdhsa_kernel
	.section	.text._ZN4vllm3moe14moe_sum_kernelIN3c108BFloat16ELi4EEEvPT_PKS4_i,"axG",@progbits,_ZN4vllm3moe14moe_sum_kernelIN3c108BFloat16ELi4EEEvPT_PKS4_i,comdat
.Lfunc_end315:
	.size	_ZN4vllm3moe14moe_sum_kernelIN3c108BFloat16ELi4EEEvPT_PKS4_i, .Lfunc_end315-_ZN4vllm3moe14moe_sum_kernelIN3c108BFloat16ELi4EEEvPT_PKS4_i
                                        ; -- End function
	.section	.AMDGPU.csdata,"",@progbits
; Kernel info:
; codeLenInByte = 3212
; NumSgprs: 28
; NumVgprs: 24
; ScratchSize: 0
; MemoryBound: 0
; FloatMode: 240
; IeeeMode: 1
; LDSByteSize: 0 bytes/workgroup (compile time only)
; SGPRBlocks: 3
; VGPRBlocks: 2
; NumSGPRsForWavesPerEU: 28
; NumVGPRsForWavesPerEU: 24
; Occupancy: 16
; WaveLimiterHint : 0
; COMPUTE_PGM_RSRC2:SCRATCH_EN: 0
; COMPUTE_PGM_RSRC2:USER_SGPR: 15
; COMPUTE_PGM_RSRC2:TRAP_HANDLER: 0
; COMPUTE_PGM_RSRC2:TGID_X_EN: 1
; COMPUTE_PGM_RSRC2:TGID_Y_EN: 0
; COMPUTE_PGM_RSRC2:TGID_Z_EN: 0
; COMPUTE_PGM_RSRC2:TIDIG_COMP_CNT: 0
	.section	.text._ZN4vllm3moe14moe_sum_kernelIfLi5EEEvPT_PKS2_i,"axG",@progbits,_ZN4vllm3moe14moe_sum_kernelIfLi5EEEvPT_PKS2_i,comdat
	.protected	_ZN4vllm3moe14moe_sum_kernelIfLi5EEEvPT_PKS2_i ; -- Begin function _ZN4vllm3moe14moe_sum_kernelIfLi5EEEvPT_PKS2_i
	.globl	_ZN4vllm3moe14moe_sum_kernelIfLi5EEEvPT_PKS2_i
	.p2align	8
	.type	_ZN4vllm3moe14moe_sum_kernelIfLi5EEEvPT_PKS2_i,@function
_ZN4vllm3moe14moe_sum_kernelIfLi5EEEvPT_PKS2_i: ; @_ZN4vllm3moe14moe_sum_kernelIfLi5EEEvPT_PKS2_i
; %bb.0:
	s_load_b32 s2, s[0:1], 0x10
	s_mov_b32 s3, exec_lo
	s_waitcnt lgkmcnt(0)
	v_cmpx_gt_i32_e64 s2, v0
	s_cbranch_execz .LBB316_3
; %bb.1:
	s_clause 0x1
	s_load_b128 s[4:7], s[0:1], 0x0
	s_load_b32 s0, s[0:1], 0x24
	s_ashr_i32 s3, s2, 31
	s_mul_hi_u32 s9, s15, s2
	s_mul_i32 s8, s15, s2
	s_mul_i32 s15, s15, s3
	s_mul_hi_u32 s10, s8, 20
	s_add_i32 s9, s9, s15
	v_dual_mov_b32 v1, 0 :: v_dual_lshlrev_b32 v2, 2, v0
	s_mul_i32 s11, s9, 20
	s_mul_i32 s12, s8, 20
	s_add_i32 s10, s10, s11
	s_delay_alu instid0(VALU_DEP_1)
	v_mov_b32_e32 v3, v1
	s_mov_b32 s1, 0
	s_waitcnt lgkmcnt(0)
	s_add_u32 s6, s6, s12
	s_addc_u32 s7, s7, s10
	s_lshl_b64 s[8:9], s[8:9], 2
	s_delay_alu instid0(SALU_CYCLE_1)
	s_add_u32 s8, s4, s8
	s_addc_u32 s9, s5, s9
	s_and_b32 s10, s0, 0xffff
	s_lshl_b64 s[4:5], s[2:3], 2
	s_lshl_b32 s11, s10, 2
	s_set_inst_prefetch_distance 0x1
	.p2align	6
.LBB316_2:                              ; =>This Inner Loop Header: Depth=1
	v_add_co_u32 v4, vcc_lo, s6, v2
	v_add_co_ci_u32_e32 v5, vcc_lo, s7, v3, vcc_lo
	s_delay_alu instid0(VALU_DEP_2) | instskip(NEXT) | instid1(VALU_DEP_2)
	v_add_co_u32 v6, vcc_lo, v4, s4
	v_add_co_ci_u32_e32 v7, vcc_lo, s5, v5, vcc_lo
	s_clause 0x1
	global_load_b32 v8, v[4:5], off
	global_load_b32 v9, v[6:7], off
	v_add_co_u32 v4, vcc_lo, v6, s4
	v_add_co_ci_u32_e32 v5, vcc_lo, s5, v7, vcc_lo
	s_delay_alu instid0(VALU_DEP_2) | instskip(NEXT) | instid1(VALU_DEP_2)
	v_add_co_u32 v6, vcc_lo, v4, s4
	v_add_co_ci_u32_e32 v7, vcc_lo, s5, v5, vcc_lo
	global_load_b32 v10, v[4:5], off
	v_add_co_u32 v4, vcc_lo, v6, s4
	v_add_co_ci_u32_e32 v5, vcc_lo, s5, v7, vcc_lo
	v_add_co_u32 v0, vcc_lo, v0, s10
	s_clause 0x1
	global_load_b32 v6, v[6:7], off
	global_load_b32 v7, v[4:5], off
	v_add_co_ci_u32_e32 v1, vcc_lo, 0, v1, vcc_lo
	s_waitcnt vmcnt(4)
	v_add_f32_e32 v4, 0, v8
	s_waitcnt vmcnt(3)
	s_delay_alu instid0(VALU_DEP_1) | instskip(SKIP_1) | instid1(VALU_DEP_1)
	v_add_f32_e32 v4, v4, v9
	s_waitcnt vmcnt(2)
	v_add_f32_e32 v8, v4, v10
	v_add_co_u32 v4, vcc_lo, s8, v2
	v_add_co_ci_u32_e32 v5, vcc_lo, s9, v3, vcc_lo
	v_cmp_le_i64_e32 vcc_lo, s[2:3], v[0:1]
	s_waitcnt vmcnt(1)
	v_add_f32_e32 v6, v8, v6
	v_add_co_u32 v2, s0, v2, s11
	s_delay_alu instid0(VALU_DEP_1) | instskip(SKIP_1) | instid1(VALU_DEP_3)
	v_add_co_ci_u32_e64 v3, s0, 0, v3, s0
	s_waitcnt vmcnt(0)
	v_add_f32_e32 v6, v6, v7
	s_or_b32 s1, vcc_lo, s1
	global_store_b32 v[4:5], v6, off
	s_and_not1_b32 exec_lo, exec_lo, s1
	s_cbranch_execnz .LBB316_2
.LBB316_3:
	s_set_inst_prefetch_distance 0x2
	s_nop 0
	s_sendmsg sendmsg(MSG_DEALLOC_VGPRS)
	s_endpgm
	.section	.rodata,"a",@progbits
	.p2align	6, 0x0
	.amdhsa_kernel _ZN4vllm3moe14moe_sum_kernelIfLi5EEEvPT_PKS2_i
		.amdhsa_group_segment_fixed_size 0
		.amdhsa_private_segment_fixed_size 0
		.amdhsa_kernarg_size 280
		.amdhsa_user_sgpr_count 15
		.amdhsa_user_sgpr_dispatch_ptr 0
		.amdhsa_user_sgpr_queue_ptr 0
		.amdhsa_user_sgpr_kernarg_segment_ptr 1
		.amdhsa_user_sgpr_dispatch_id 0
		.amdhsa_user_sgpr_private_segment_size 0
		.amdhsa_wavefront_size32 1
		.amdhsa_uses_dynamic_stack 0
		.amdhsa_enable_private_segment 0
		.amdhsa_system_sgpr_workgroup_id_x 1
		.amdhsa_system_sgpr_workgroup_id_y 0
		.amdhsa_system_sgpr_workgroup_id_z 0
		.amdhsa_system_sgpr_workgroup_info 0
		.amdhsa_system_vgpr_workitem_id 0
		.amdhsa_next_free_vgpr 11
		.amdhsa_next_free_sgpr 16
		.amdhsa_reserve_vcc 1
		.amdhsa_float_round_mode_32 0
		.amdhsa_float_round_mode_16_64 0
		.amdhsa_float_denorm_mode_32 3
		.amdhsa_float_denorm_mode_16_64 3
		.amdhsa_dx10_clamp 1
		.amdhsa_ieee_mode 1
		.amdhsa_fp16_overflow 0
		.amdhsa_workgroup_processor_mode 1
		.amdhsa_memory_ordered 1
		.amdhsa_forward_progress 0
		.amdhsa_shared_vgpr_count 0
		.amdhsa_exception_fp_ieee_invalid_op 0
		.amdhsa_exception_fp_denorm_src 0
		.amdhsa_exception_fp_ieee_div_zero 0
		.amdhsa_exception_fp_ieee_overflow 0
		.amdhsa_exception_fp_ieee_underflow 0
		.amdhsa_exception_fp_ieee_inexact 0
		.amdhsa_exception_int_div_zero 0
	.end_amdhsa_kernel
	.section	.text._ZN4vllm3moe14moe_sum_kernelIfLi5EEEvPT_PKS2_i,"axG",@progbits,_ZN4vllm3moe14moe_sum_kernelIfLi5EEEvPT_PKS2_i,comdat
.Lfunc_end316:
	.size	_ZN4vllm3moe14moe_sum_kernelIfLi5EEEvPT_PKS2_i, .Lfunc_end316-_ZN4vllm3moe14moe_sum_kernelIfLi5EEEvPT_PKS2_i
                                        ; -- End function
	.section	.AMDGPU.csdata,"",@progbits
; Kernel info:
; codeLenInByte = 396
; NumSgprs: 18
; NumVgprs: 11
; ScratchSize: 0
; MemoryBound: 0
; FloatMode: 240
; IeeeMode: 1
; LDSByteSize: 0 bytes/workgroup (compile time only)
; SGPRBlocks: 2
; VGPRBlocks: 1
; NumSGPRsForWavesPerEU: 18
; NumVGPRsForWavesPerEU: 11
; Occupancy: 16
; WaveLimiterHint : 0
; COMPUTE_PGM_RSRC2:SCRATCH_EN: 0
; COMPUTE_PGM_RSRC2:USER_SGPR: 15
; COMPUTE_PGM_RSRC2:TRAP_HANDLER: 0
; COMPUTE_PGM_RSRC2:TGID_X_EN: 1
; COMPUTE_PGM_RSRC2:TGID_Y_EN: 0
; COMPUTE_PGM_RSRC2:TGID_Z_EN: 0
; COMPUTE_PGM_RSRC2:TIDIG_COMP_CNT: 0
	.section	.text._ZN4vllm3moe14moe_sum_kernelIN3c104HalfELi5EEEvPT_PKS4_i,"axG",@progbits,_ZN4vllm3moe14moe_sum_kernelIN3c104HalfELi5EEEvPT_PKS4_i,comdat
	.protected	_ZN4vllm3moe14moe_sum_kernelIN3c104HalfELi5EEEvPT_PKS4_i ; -- Begin function _ZN4vllm3moe14moe_sum_kernelIN3c104HalfELi5EEEvPT_PKS4_i
	.globl	_ZN4vllm3moe14moe_sum_kernelIN3c104HalfELi5EEEvPT_PKS4_i
	.p2align	8
	.type	_ZN4vllm3moe14moe_sum_kernelIN3c104HalfELi5EEEvPT_PKS4_i,@function
_ZN4vllm3moe14moe_sum_kernelIN3c104HalfELi5EEEvPT_PKS4_i: ; @_ZN4vllm3moe14moe_sum_kernelIN3c104HalfELi5EEEvPT_PKS4_i
; %bb.0:
	s_load_b32 s8, s[0:1], 0x10
	s_mov_b32 s2, exec_lo
	s_waitcnt lgkmcnt(0)
	v_cmpx_gt_i32_e64 s8, v0
	s_cbranch_execz .LBB317_14
; %bb.1:
	s_clause 0x1
	s_load_b32 s2, s[0:1], 0x24
	s_load_b128 s[4:7], s[0:1], 0x0
	s_ashr_i32 s9, s8, 31
	s_mov_b32 s0, exec_lo
	s_waitcnt lgkmcnt(0)
	s_and_b32 s10, s2, 0xffff
	s_delay_alu instid0(SALU_CYCLE_1) | instskip(NEXT) | instid1(VALU_DEP_1)
	v_add_co_u32 v1, s2, v0, s10
	v_add_co_ci_u32_e64 v2, null, 0, 0, s2
	s_delay_alu instid0(VALU_DEP_1) | instskip(SKIP_1) | instid1(VALU_DEP_2)
	v_cmp_gt_i64_e64 s2, s[8:9], v[1:2]
	v_cmp_lt_i64_e32 vcc_lo, s[8:9], v[1:2]
	v_cndmask_b32_e64 v6, 0, 1, s2
	v_cndmask_b32_e32 v3, s9, v2, vcc_lo
	v_cndmask_b32_e32 v4, s8, v1, vcc_lo
	s_delay_alu instid0(VALU_DEP_3) | instskip(SKIP_2) | instid1(VALU_DEP_3)
	v_add_co_u32 v5, vcc_lo, v1, v6
	v_mov_b32_e32 v1, 0
	v_add_co_ci_u32_e32 v2, vcc_lo, 0, v2, vcc_lo
	v_sub_co_u32 v7, vcc_lo, v4, v5
                                        ; implicit-def: $vgpr4_vgpr5
	s_delay_alu instid0(VALU_DEP_2) | instskip(NEXT) | instid1(VALU_DEP_4)
	v_sub_co_ci_u32_e32 v3, vcc_lo, v3, v2, vcc_lo
	v_mov_b32_e32 v2, v1
	s_delay_alu instid0(VALU_DEP_1)
	v_cmpx_ne_u64_e32 0, v[2:3]
	s_xor_b32 s1, exec_lo, s0
	s_cbranch_execz .LBB317_3
; %bb.2:
	v_cvt_f32_u32_e32 v2, s10
	s_sub_u32 s0, 0, s10
	s_subb_u32 s2, 0, 0
	s_delay_alu instid0(VALU_DEP_1) | instskip(NEXT) | instid1(VALU_DEP_1)
	v_fmamk_f32 v2, 0, 0x4f800000, v2
	v_rcp_f32_e32 v2, v2
	s_waitcnt_depctr 0xfff
	v_mul_f32_e32 v2, 0x5f7ffffc, v2
	s_delay_alu instid0(VALU_DEP_1) | instskip(NEXT) | instid1(VALU_DEP_1)
	v_mul_f32_e32 v4, 0x2f800000, v2
	v_trunc_f32_e32 v4, v4
	s_delay_alu instid0(VALU_DEP_1) | instskip(SKIP_1) | instid1(VALU_DEP_2)
	v_fmamk_f32 v2, v4, 0xcf800000, v2
	v_cvt_u32_f32_e32 v4, v4
	v_cvt_u32_f32_e32 v2, v2
	s_delay_alu instid0(VALU_DEP_2) | instskip(NEXT) | instid1(VALU_DEP_2)
	v_mul_lo_u32 v5, s0, v4
	v_mul_hi_u32 v8, s0, v2
	v_mul_lo_u32 v9, s2, v2
	s_delay_alu instid0(VALU_DEP_2) | instskip(SKIP_1) | instid1(VALU_DEP_2)
	v_add_nc_u32_e32 v5, v8, v5
	v_mul_lo_u32 v8, s0, v2
	v_add_nc_u32_e32 v5, v5, v9
	s_delay_alu instid0(VALU_DEP_2) | instskip(NEXT) | instid1(VALU_DEP_2)
	v_mul_hi_u32 v9, v2, v8
	v_mul_lo_u32 v10, v2, v5
	v_mul_hi_u32 v11, v2, v5
	v_mul_hi_u32 v12, v4, v8
	v_mul_lo_u32 v8, v4, v8
	v_mul_hi_u32 v13, v4, v5
	v_mul_lo_u32 v5, v4, v5
	v_add_co_u32 v9, vcc_lo, v9, v10
	v_add_co_ci_u32_e32 v10, vcc_lo, 0, v11, vcc_lo
	s_delay_alu instid0(VALU_DEP_2) | instskip(NEXT) | instid1(VALU_DEP_2)
	v_add_co_u32 v8, vcc_lo, v9, v8
	v_add_co_ci_u32_e32 v8, vcc_lo, v10, v12, vcc_lo
	v_add_co_ci_u32_e32 v9, vcc_lo, 0, v13, vcc_lo
	s_delay_alu instid0(VALU_DEP_2) | instskip(NEXT) | instid1(VALU_DEP_2)
	v_add_co_u32 v5, vcc_lo, v8, v5
	v_add_co_ci_u32_e32 v8, vcc_lo, 0, v9, vcc_lo
	s_delay_alu instid0(VALU_DEP_2) | instskip(NEXT) | instid1(VALU_DEP_2)
	v_add_co_u32 v2, vcc_lo, v2, v5
	v_add_co_ci_u32_e32 v4, vcc_lo, v4, v8, vcc_lo
	s_delay_alu instid0(VALU_DEP_2) | instskip(SKIP_1) | instid1(VALU_DEP_3)
	v_mul_hi_u32 v5, s0, v2
	v_mul_lo_u32 v9, s2, v2
	v_mul_lo_u32 v8, s0, v4
	s_delay_alu instid0(VALU_DEP_1) | instskip(SKIP_1) | instid1(VALU_DEP_2)
	v_add_nc_u32_e32 v5, v5, v8
	v_mul_lo_u32 v8, s0, v2
	v_add_nc_u32_e32 v5, v5, v9
	s_delay_alu instid0(VALU_DEP_2) | instskip(NEXT) | instid1(VALU_DEP_2)
	v_mul_hi_u32 v9, v2, v8
	v_mul_lo_u32 v10, v2, v5
	v_mul_hi_u32 v11, v2, v5
	v_mul_hi_u32 v12, v4, v8
	v_mul_lo_u32 v8, v4, v8
	v_mul_hi_u32 v13, v4, v5
	v_mul_lo_u32 v5, v4, v5
	v_add_co_u32 v9, vcc_lo, v9, v10
	v_add_co_ci_u32_e32 v10, vcc_lo, 0, v11, vcc_lo
	s_delay_alu instid0(VALU_DEP_2) | instskip(NEXT) | instid1(VALU_DEP_2)
	v_add_co_u32 v8, vcc_lo, v9, v8
	v_add_co_ci_u32_e32 v8, vcc_lo, v10, v12, vcc_lo
	v_add_co_ci_u32_e32 v9, vcc_lo, 0, v13, vcc_lo
	s_delay_alu instid0(VALU_DEP_2) | instskip(NEXT) | instid1(VALU_DEP_2)
	v_add_co_u32 v5, vcc_lo, v8, v5
	v_add_co_ci_u32_e32 v8, vcc_lo, 0, v9, vcc_lo
	s_delay_alu instid0(VALU_DEP_2) | instskip(NEXT) | instid1(VALU_DEP_2)
	v_add_co_u32 v2, vcc_lo, v2, v5
	v_add_co_ci_u32_e32 v12, vcc_lo, v4, v8, vcc_lo
	s_delay_alu instid0(VALU_DEP_2) | instskip(SKIP_1) | instid1(VALU_DEP_3)
	v_mul_hi_u32 v13, v7, v2
	v_mad_u64_u32 v[8:9], null, v3, v2, 0
	v_mad_u64_u32 v[4:5], null, v7, v12, 0
	;; [unrolled: 1-line block ×3, first 2 shown]
	s_delay_alu instid0(VALU_DEP_2) | instskip(NEXT) | instid1(VALU_DEP_3)
	v_add_co_u32 v2, vcc_lo, v13, v4
	v_add_co_ci_u32_e32 v4, vcc_lo, 0, v5, vcc_lo
	s_delay_alu instid0(VALU_DEP_2) | instskip(NEXT) | instid1(VALU_DEP_2)
	v_add_co_u32 v2, vcc_lo, v2, v8
	v_add_co_ci_u32_e32 v2, vcc_lo, v4, v9, vcc_lo
	v_add_co_ci_u32_e32 v4, vcc_lo, 0, v11, vcc_lo
	s_delay_alu instid0(VALU_DEP_2) | instskip(NEXT) | instid1(VALU_DEP_2)
	v_add_co_u32 v10, vcc_lo, v2, v10
	v_add_co_ci_u32_e32 v11, vcc_lo, 0, v4, vcc_lo
	s_delay_alu instid0(VALU_DEP_2) | instskip(NEXT) | instid1(VALU_DEP_1)
	v_mad_u64_u32 v[4:5], null, s10, v10, 0
	v_mov_b32_e32 v2, v5
	s_delay_alu instid0(VALU_DEP_1) | instskip(NEXT) | instid1(VALU_DEP_3)
	v_mad_u64_u32 v[8:9], null, s10, v11, v[2:3]
	v_sub_co_u32 v2, vcc_lo, v7, v4
	s_delay_alu instid0(VALU_DEP_2) | instskip(NEXT) | instid1(VALU_DEP_2)
	v_sub_co_ci_u32_e32 v3, vcc_lo, v3, v8, vcc_lo
	v_sub_co_u32 v4, vcc_lo, v2, s10
	s_delay_alu instid0(VALU_DEP_2) | instskip(NEXT) | instid1(VALU_DEP_2)
	v_subrev_co_ci_u32_e32 v5, vcc_lo, 0, v3, vcc_lo
	v_cmp_le_u32_e32 vcc_lo, s10, v4
	v_cmp_eq_u32_e64 s0, 0, v3
	v_cndmask_b32_e64 v4, 0, -1, vcc_lo
	v_add_co_u32 v7, vcc_lo, v10, 2
	v_add_co_ci_u32_e32 v8, vcc_lo, 0, v11, vcc_lo
	v_cmp_le_u32_e32 vcc_lo, s10, v2
	v_cndmask_b32_e64 v2, 0, -1, vcc_lo
	v_cmp_eq_u32_e32 vcc_lo, 0, v5
	s_delay_alu instid0(VALU_DEP_2) | instskip(SKIP_3) | instid1(VALU_DEP_3)
	v_cndmask_b32_e64 v2, -1, v2, s0
	v_cndmask_b32_e32 v4, -1, v4, vcc_lo
	v_add_co_u32 v5, vcc_lo, v10, 1
	v_add_co_ci_u32_e32 v9, vcc_lo, 0, v11, vcc_lo
	v_cmp_ne_u32_e32 vcc_lo, 0, v4
	s_delay_alu instid0(VALU_DEP_2) | instskip(NEXT) | instid1(VALU_DEP_4)
	v_cndmask_b32_e32 v3, v9, v8, vcc_lo
	v_cndmask_b32_e32 v4, v5, v7, vcc_lo
	v_cmp_ne_u32_e32 vcc_lo, 0, v2
                                        ; implicit-def: $vgpr7
	s_delay_alu instid0(VALU_DEP_2)
	v_dual_cndmask_b32 v5, v11, v3 :: v_dual_cndmask_b32 v4, v10, v4
.LBB317_3:
	s_and_not1_saveexec_b32 s0, s1
	s_cbranch_execz .LBB317_5
; %bb.4:
	v_cvt_f32_u32_e32 v2, s10
	s_sub_i32 s1, 0, s10
	s_delay_alu instid0(VALU_DEP_1) | instskip(SKIP_2) | instid1(VALU_DEP_1)
	v_rcp_iflag_f32_e32 v2, v2
	s_waitcnt_depctr 0xfff
	v_mul_f32_e32 v2, 0x4f7ffffe, v2
	v_cvt_u32_f32_e32 v2, v2
	s_delay_alu instid0(VALU_DEP_1) | instskip(NEXT) | instid1(VALU_DEP_1)
	v_mul_lo_u32 v3, s1, v2
	v_mul_hi_u32 v3, v2, v3
	s_delay_alu instid0(VALU_DEP_1) | instskip(NEXT) | instid1(VALU_DEP_1)
	v_add_nc_u32_e32 v2, v2, v3
	v_mul_hi_u32 v2, v7, v2
	s_delay_alu instid0(VALU_DEP_1) | instskip(SKIP_1) | instid1(VALU_DEP_2)
	v_mul_lo_u32 v3, v2, s10
	v_add_nc_u32_e32 v4, 1, v2
	v_sub_nc_u32_e32 v3, v7, v3
	s_delay_alu instid0(VALU_DEP_1) | instskip(SKIP_1) | instid1(VALU_DEP_2)
	v_subrev_nc_u32_e32 v5, s10, v3
	v_cmp_le_u32_e32 vcc_lo, s10, v3
	v_cndmask_b32_e32 v3, v3, v5, vcc_lo
	v_dual_mov_b32 v5, 0 :: v_dual_cndmask_b32 v2, v2, v4
	s_delay_alu instid0(VALU_DEP_2) | instskip(NEXT) | instid1(VALU_DEP_2)
	v_cmp_le_u32_e32 vcc_lo, s10, v3
	v_add_nc_u32_e32 v4, 1, v2
	s_delay_alu instid0(VALU_DEP_1)
	v_cndmask_b32_e32 v4, v2, v4, vcc_lo
.LBB317_5:
	s_or_b32 exec_lo, exec_lo, s0
	s_delay_alu instid0(VALU_DEP_1) | instskip(SKIP_2) | instid1(VALU_DEP_2)
	v_add_co_u32 v2, vcc_lo, v4, v6
	v_add_co_ci_u32_e32 v3, vcc_lo, 0, v5, vcc_lo
	s_mul_i32 s0, s15, s9
	v_add_co_u32 v2, vcc_lo, v2, 1
	s_mul_hi_u32 s1, s15, s8
	s_delay_alu instid0(VALU_DEP_2)
	v_add_co_ci_u32_e32 v3, vcc_lo, 0, v3, vcc_lo
	s_add_i32 s1, s1, s0
	s_mul_i32 s0, s15, s8
	s_mul_i32 s2, s1, 10
	s_mul_hi_u32 s3, s0, 10
	s_mul_i32 s11, s0, 10
	s_add_i32 s3, s3, s2
	v_cmp_gt_u64_e32 vcc_lo, 2, v[2:3]
	s_add_u32 s6, s6, s11
	v_cmp_ne_u16_e64 s2, s10, 1
	s_addc_u32 s7, s7, s3
	s_lshl_b64 s[0:1], s[0:1], 1
                                        ; kill: def $vgpr4_vgpr5 killed $sgpr0_sgpr1 killed $exec
	s_mov_b32 s11, 0
	v_mov_b32_e32 v5, v3
	s_add_u32 s4, s4, s0
	s_addc_u32 s5, s5, s1
	s_or_b32 s2, vcc_lo, s2
                                        ; implicit-def: $sgpr0_sgpr1
	s_delay_alu instid0(SALU_CYCLE_1) | instskip(NEXT) | instid1(SALU_CYCLE_1)
	s_and_saveexec_b32 s3, s2
	s_xor_b32 s2, exec_lo, s3
; %bb.6:
	s_mov_b32 s11, exec_lo
	s_lshl_b64 s[0:1], s[8:9], 1
                                        ; implicit-def: $vgpr2_vgpr3
                                        ; implicit-def: $vgpr5
; %bb.7:
	s_or_saveexec_b32 s12, s2
	v_dual_mov_b32 v7, s1 :: v_dual_mov_b32 v6, s0
	s_xor_b32 exec_lo, exec_lo, s12
	s_cbranch_execz .LBB317_11
; %bb.8:
	v_dual_mov_b32 v9, 0 :: v_dual_and_b32 v4, -2, v2
	v_dual_mov_b32 v7, v5 :: v_dual_lshlrev_b32 v8, 1, v0
	s_lshl_b64 s[2:3], s[8:9], 1
	s_delay_alu instid0(VALU_DEP_2)
	v_mov_b32_e32 v6, v4
	s_mov_b32 s1, 0
	s_lshl_b32 s13, s10, 2
.LBB317_9:                              ; =>This Inner Loop Header: Depth=1
	v_add_co_u32 v10, vcc_lo, s6, v8
	v_add_co_ci_u32_e32 v11, vcc_lo, s7, v9, vcc_lo
	s_delay_alu instid0(VALU_DEP_2) | instskip(NEXT) | instid1(VALU_DEP_2)
	v_add_co_u32 v12, vcc_lo, v10, s2
	v_add_co_ci_u32_e32 v13, vcc_lo, s3, v11, vcc_lo
	s_clause 0x1
	global_load_b32 v14, v[10:11], off
	global_load_b32 v15, v[12:13], off
	v_add_co_u32 v10, vcc_lo, v12, s2
	v_add_co_ci_u32_e32 v11, vcc_lo, s3, v13, vcc_lo
	s_delay_alu instid0(VALU_DEP_2) | instskip(NEXT) | instid1(VALU_DEP_2)
	v_add_co_u32 v12, vcc_lo, v10, s2
	v_add_co_ci_u32_e32 v13, vcc_lo, s3, v11, vcc_lo
	global_load_b32 v16, v[10:11], off
	v_add_co_u32 v10, vcc_lo, v12, s2
	v_add_co_ci_u32_e32 v11, vcc_lo, s3, v13, vcc_lo
	v_add_co_u32 v6, vcc_lo, v6, -2
	s_clause 0x1
	global_load_b32 v12, v[12:13], off
	global_load_b32 v13, v[10:11], off
	v_add_co_ci_u32_e32 v7, vcc_lo, -1, v7, vcc_lo
	s_waitcnt vmcnt(4)
	v_pk_add_f16 v10, v14, 0
	s_waitcnt vmcnt(3)
	s_delay_alu instid0(VALU_DEP_1) | instskip(SKIP_1) | instid1(VALU_DEP_1)
	v_pk_add_f16 v10, v10, v15
	s_waitcnt vmcnt(2)
	v_pk_add_f16 v14, v10, v16
	v_add_co_u32 v10, vcc_lo, s4, v8
	v_add_co_ci_u32_e32 v11, vcc_lo, s5, v9, vcc_lo
	v_cmp_eq_u64_e32 vcc_lo, 0, v[6:7]
	s_waitcnt vmcnt(1)
	v_pk_add_f16 v12, v14, v12
	v_add_co_u32 v8, s0, v8, s13
	s_delay_alu instid0(VALU_DEP_1) | instskip(SKIP_1) | instid1(VALU_DEP_3)
	v_add_co_ci_u32_e64 v9, s0, 0, v9, s0
	s_waitcnt vmcnt(0)
	v_pk_add_f16 v12, v12, v13
	s_or_b32 s1, vcc_lo, s1
	global_store_b32 v[10:11], v12, off
	s_and_not1_b32 exec_lo, exec_lo, s1
	s_cbranch_execnz .LBB317_9
; %bb.10:
	s_or_b32 exec_lo, exec_lo, s1
	v_mad_u64_u32 v[8:9], null, v4, s10, v[0:1]
	v_cmp_ne_u64_e32 vcc_lo, v[2:3], v[4:5]
	s_and_not1_b32 s0, s11, exec_lo
	s_and_b32 s1, vcc_lo, exec_lo
	s_delay_alu instid0(VALU_DEP_2) | instskip(SKIP_1) | instid1(VALU_DEP_1)
	v_mov_b32_e32 v0, v9
	s_or_b32 s11, s0, s1
	v_mad_u64_u32 v[6:7], null, v5, s10, v[0:1]
	s_delay_alu instid0(VALU_DEP_1) | instskip(SKIP_1) | instid1(VALU_DEP_2)
	v_mov_b32_e32 v9, v6
	v_dual_mov_b32 v7, s3 :: v_dual_mov_b32 v6, s2
	v_dual_mov_b32 v0, v8 :: v_dual_mov_b32 v1, v9
.LBB317_11:
	s_or_b32 exec_lo, exec_lo, s12
	s_delay_alu instid0(SALU_CYCLE_1)
	s_and_b32 exec_lo, exec_lo, s11
	s_cbranch_execz .LBB317_14
; %bb.12:
	s_delay_alu instid0(VALU_DEP_1)
	v_lshlrev_b64 v[2:3], 1, v[0:1]
	s_lshl_b32 s1, s10, 1
	s_mov_b32 s2, 0
	s_set_inst_prefetch_distance 0x1
	.p2align	6
.LBB317_13:                             ; =>This Inner Loop Header: Depth=1
	s_delay_alu instid0(VALU_DEP_1) | instskip(NEXT) | instid1(VALU_DEP_2)
	v_add_co_u32 v4, vcc_lo, s6, v2
	v_add_co_ci_u32_e32 v5, vcc_lo, s7, v3, vcc_lo
	s_delay_alu instid0(VALU_DEP_2) | instskip(NEXT) | instid1(VALU_DEP_2)
	v_add_co_u32 v8, vcc_lo, v4, v6
	v_add_co_ci_u32_e32 v9, vcc_lo, v5, v7, vcc_lo
	s_clause 0x1
	global_load_u16 v10, v[4:5], off
	global_load_u16 v11, v[8:9], off
	v_add_co_u32 v4, vcc_lo, v8, v6
	v_add_co_ci_u32_e32 v5, vcc_lo, v9, v7, vcc_lo
	s_delay_alu instid0(VALU_DEP_2) | instskip(NEXT) | instid1(VALU_DEP_2)
	v_add_co_u32 v8, vcc_lo, v4, v6
	v_add_co_ci_u32_e32 v9, vcc_lo, v5, v7, vcc_lo
	global_load_u16 v12, v[4:5], off
	v_add_co_u32 v4, vcc_lo, v8, v6
	v_add_co_ci_u32_e32 v5, vcc_lo, v9, v7, vcc_lo
	v_add_co_u32 v0, vcc_lo, v0, s10
	s_clause 0x1
	global_load_u16 v8, v[8:9], off
	global_load_u16 v9, v[4:5], off
	v_add_co_ci_u32_e32 v1, vcc_lo, 0, v1, vcc_lo
	s_waitcnt vmcnt(4)
	v_add_f16_e32 v4, 0, v10
	s_waitcnt vmcnt(3)
	s_delay_alu instid0(VALU_DEP_1) | instskip(SKIP_1) | instid1(VALU_DEP_1)
	v_add_f16_e32 v4, v4, v11
	s_waitcnt vmcnt(2)
	v_add_f16_e32 v10, v4, v12
	v_add_co_u32 v4, vcc_lo, s4, v2
	v_add_co_ci_u32_e32 v5, vcc_lo, s5, v3, vcc_lo
	v_cmp_le_i64_e32 vcc_lo, s[8:9], v[0:1]
	s_waitcnt vmcnt(1)
	v_add_f16_e32 v8, v10, v8
	v_add_co_u32 v2, s0, v2, s1
	s_delay_alu instid0(VALU_DEP_1) | instskip(SKIP_1) | instid1(VALU_DEP_3)
	v_add_co_ci_u32_e64 v3, s0, 0, v3, s0
	s_waitcnt vmcnt(0)
	v_add_f16_e32 v8, v8, v9
	s_or_b32 s2, vcc_lo, s2
	global_store_b16 v[4:5], v8, off
	s_and_not1_b32 exec_lo, exec_lo, s2
	s_cbranch_execnz .LBB317_13
.LBB317_14:
	s_set_inst_prefetch_distance 0x2
	s_nop 0
	s_sendmsg sendmsg(MSG_DEALLOC_VGPRS)
	s_endpgm
	.section	.rodata,"a",@progbits
	.p2align	6, 0x0
	.amdhsa_kernel _ZN4vllm3moe14moe_sum_kernelIN3c104HalfELi5EEEvPT_PKS4_i
		.amdhsa_group_segment_fixed_size 0
		.amdhsa_private_segment_fixed_size 0
		.amdhsa_kernarg_size 280
		.amdhsa_user_sgpr_count 15
		.amdhsa_user_sgpr_dispatch_ptr 0
		.amdhsa_user_sgpr_queue_ptr 0
		.amdhsa_user_sgpr_kernarg_segment_ptr 1
		.amdhsa_user_sgpr_dispatch_id 0
		.amdhsa_user_sgpr_private_segment_size 0
		.amdhsa_wavefront_size32 1
		.amdhsa_uses_dynamic_stack 0
		.amdhsa_enable_private_segment 0
		.amdhsa_system_sgpr_workgroup_id_x 1
		.amdhsa_system_sgpr_workgroup_id_y 0
		.amdhsa_system_sgpr_workgroup_id_z 0
		.amdhsa_system_sgpr_workgroup_info 0
		.amdhsa_system_vgpr_workitem_id 0
		.amdhsa_next_free_vgpr 17
		.amdhsa_next_free_sgpr 16
		.amdhsa_reserve_vcc 1
		.amdhsa_float_round_mode_32 0
		.amdhsa_float_round_mode_16_64 0
		.amdhsa_float_denorm_mode_32 3
		.amdhsa_float_denorm_mode_16_64 3
		.amdhsa_dx10_clamp 1
		.amdhsa_ieee_mode 1
		.amdhsa_fp16_overflow 0
		.amdhsa_workgroup_processor_mode 1
		.amdhsa_memory_ordered 1
		.amdhsa_forward_progress 0
		.amdhsa_shared_vgpr_count 0
		.amdhsa_exception_fp_ieee_invalid_op 0
		.amdhsa_exception_fp_denorm_src 0
		.amdhsa_exception_fp_ieee_div_zero 0
		.amdhsa_exception_fp_ieee_overflow 0
		.amdhsa_exception_fp_ieee_underflow 0
		.amdhsa_exception_fp_ieee_inexact 0
		.amdhsa_exception_int_div_zero 0
	.end_amdhsa_kernel
	.section	.text._ZN4vllm3moe14moe_sum_kernelIN3c104HalfELi5EEEvPT_PKS4_i,"axG",@progbits,_ZN4vllm3moe14moe_sum_kernelIN3c104HalfELi5EEEvPT_PKS4_i,comdat
.Lfunc_end317:
	.size	_ZN4vllm3moe14moe_sum_kernelIN3c104HalfELi5EEEvPT_PKS4_i, .Lfunc_end317-_ZN4vllm3moe14moe_sum_kernelIN3c104HalfELi5EEEvPT_PKS4_i
                                        ; -- End function
	.section	.AMDGPU.csdata,"",@progbits
; Kernel info:
; codeLenInByte = 1784
; NumSgprs: 18
; NumVgprs: 17
; ScratchSize: 0
; MemoryBound: 0
; FloatMode: 240
; IeeeMode: 1
; LDSByteSize: 0 bytes/workgroup (compile time only)
; SGPRBlocks: 2
; VGPRBlocks: 2
; NumSGPRsForWavesPerEU: 18
; NumVGPRsForWavesPerEU: 17
; Occupancy: 16
; WaveLimiterHint : 0
; COMPUTE_PGM_RSRC2:SCRATCH_EN: 0
; COMPUTE_PGM_RSRC2:USER_SGPR: 15
; COMPUTE_PGM_RSRC2:TRAP_HANDLER: 0
; COMPUTE_PGM_RSRC2:TGID_X_EN: 1
; COMPUTE_PGM_RSRC2:TGID_Y_EN: 0
; COMPUTE_PGM_RSRC2:TGID_Z_EN: 0
; COMPUTE_PGM_RSRC2:TIDIG_COMP_CNT: 0
	.section	.text._ZN4vllm3moe14moe_sum_kernelIN3c108BFloat16ELi5EEEvPT_PKS4_i,"axG",@progbits,_ZN4vllm3moe14moe_sum_kernelIN3c108BFloat16ELi5EEEvPT_PKS4_i,comdat
	.protected	_ZN4vllm3moe14moe_sum_kernelIN3c108BFloat16ELi5EEEvPT_PKS4_i ; -- Begin function _ZN4vllm3moe14moe_sum_kernelIN3c108BFloat16ELi5EEEvPT_PKS4_i
	.globl	_ZN4vllm3moe14moe_sum_kernelIN3c108BFloat16ELi5EEEvPT_PKS4_i
	.p2align	8
	.type	_ZN4vllm3moe14moe_sum_kernelIN3c108BFloat16ELi5EEEvPT_PKS4_i,@function
_ZN4vllm3moe14moe_sum_kernelIN3c108BFloat16ELi5EEEvPT_PKS4_i: ; @_ZN4vllm3moe14moe_sum_kernelIN3c108BFloat16ELi5EEEvPT_PKS4_i
; %bb.0:
	s_load_b32 s8, s[0:1], 0x10
	s_mov_b32 s2, exec_lo
	s_waitcnt lgkmcnt(0)
	v_cmpx_gt_i32_e64 s8, v0
	s_cbranch_execz .LBB318_14
; %bb.1:
	s_clause 0x1
	s_load_b32 s2, s[0:1], 0x24
	s_load_b128 s[4:7], s[0:1], 0x0
	s_ashr_i32 s9, s8, 31
	s_mov_b32 s0, exec_lo
	s_waitcnt lgkmcnt(0)
	s_and_b32 s10, s2, 0xffff
	s_delay_alu instid0(SALU_CYCLE_1) | instskip(NEXT) | instid1(VALU_DEP_1)
	v_add_co_u32 v1, s2, v0, s10
	v_add_co_ci_u32_e64 v2, null, 0, 0, s2
	s_delay_alu instid0(VALU_DEP_1) | instskip(SKIP_1) | instid1(VALU_DEP_2)
	v_cmp_gt_i64_e64 s2, s[8:9], v[1:2]
	v_cmp_lt_i64_e32 vcc_lo, s[8:9], v[1:2]
	v_cndmask_b32_e64 v6, 0, 1, s2
	v_cndmask_b32_e32 v3, s9, v2, vcc_lo
	v_cndmask_b32_e32 v4, s8, v1, vcc_lo
	s_delay_alu instid0(VALU_DEP_3) | instskip(SKIP_2) | instid1(VALU_DEP_3)
	v_add_co_u32 v5, vcc_lo, v1, v6
	v_mov_b32_e32 v1, 0
	v_add_co_ci_u32_e32 v2, vcc_lo, 0, v2, vcc_lo
	v_sub_co_u32 v7, vcc_lo, v4, v5
                                        ; implicit-def: $vgpr4_vgpr5
	s_delay_alu instid0(VALU_DEP_2) | instskip(NEXT) | instid1(VALU_DEP_4)
	v_sub_co_ci_u32_e32 v3, vcc_lo, v3, v2, vcc_lo
	v_mov_b32_e32 v2, v1
	s_delay_alu instid0(VALU_DEP_1)
	v_cmpx_ne_u64_e32 0, v[2:3]
	s_xor_b32 s1, exec_lo, s0
	s_cbranch_execz .LBB318_3
; %bb.2:
	v_cvt_f32_u32_e32 v2, s10
	s_sub_u32 s0, 0, s10
	s_subb_u32 s2, 0, 0
	s_delay_alu instid0(VALU_DEP_1) | instskip(NEXT) | instid1(VALU_DEP_1)
	v_fmamk_f32 v2, 0, 0x4f800000, v2
	v_rcp_f32_e32 v2, v2
	s_waitcnt_depctr 0xfff
	v_mul_f32_e32 v2, 0x5f7ffffc, v2
	s_delay_alu instid0(VALU_DEP_1) | instskip(NEXT) | instid1(VALU_DEP_1)
	v_mul_f32_e32 v4, 0x2f800000, v2
	v_trunc_f32_e32 v4, v4
	s_delay_alu instid0(VALU_DEP_1) | instskip(SKIP_1) | instid1(VALU_DEP_2)
	v_fmamk_f32 v2, v4, 0xcf800000, v2
	v_cvt_u32_f32_e32 v4, v4
	v_cvt_u32_f32_e32 v2, v2
	s_delay_alu instid0(VALU_DEP_2) | instskip(NEXT) | instid1(VALU_DEP_2)
	v_mul_lo_u32 v5, s0, v4
	v_mul_hi_u32 v8, s0, v2
	v_mul_lo_u32 v9, s2, v2
	s_delay_alu instid0(VALU_DEP_2) | instskip(SKIP_1) | instid1(VALU_DEP_2)
	v_add_nc_u32_e32 v5, v8, v5
	v_mul_lo_u32 v8, s0, v2
	v_add_nc_u32_e32 v5, v5, v9
	s_delay_alu instid0(VALU_DEP_2) | instskip(NEXT) | instid1(VALU_DEP_2)
	v_mul_hi_u32 v9, v2, v8
	v_mul_lo_u32 v10, v2, v5
	v_mul_hi_u32 v11, v2, v5
	v_mul_hi_u32 v12, v4, v8
	v_mul_lo_u32 v8, v4, v8
	v_mul_hi_u32 v13, v4, v5
	v_mul_lo_u32 v5, v4, v5
	v_add_co_u32 v9, vcc_lo, v9, v10
	v_add_co_ci_u32_e32 v10, vcc_lo, 0, v11, vcc_lo
	s_delay_alu instid0(VALU_DEP_2) | instskip(NEXT) | instid1(VALU_DEP_2)
	v_add_co_u32 v8, vcc_lo, v9, v8
	v_add_co_ci_u32_e32 v8, vcc_lo, v10, v12, vcc_lo
	v_add_co_ci_u32_e32 v9, vcc_lo, 0, v13, vcc_lo
	s_delay_alu instid0(VALU_DEP_2) | instskip(NEXT) | instid1(VALU_DEP_2)
	v_add_co_u32 v5, vcc_lo, v8, v5
	v_add_co_ci_u32_e32 v8, vcc_lo, 0, v9, vcc_lo
	s_delay_alu instid0(VALU_DEP_2) | instskip(NEXT) | instid1(VALU_DEP_2)
	v_add_co_u32 v2, vcc_lo, v2, v5
	v_add_co_ci_u32_e32 v4, vcc_lo, v4, v8, vcc_lo
	s_delay_alu instid0(VALU_DEP_2) | instskip(SKIP_1) | instid1(VALU_DEP_3)
	v_mul_hi_u32 v5, s0, v2
	v_mul_lo_u32 v9, s2, v2
	v_mul_lo_u32 v8, s0, v4
	s_delay_alu instid0(VALU_DEP_1) | instskip(SKIP_1) | instid1(VALU_DEP_2)
	v_add_nc_u32_e32 v5, v5, v8
	v_mul_lo_u32 v8, s0, v2
	v_add_nc_u32_e32 v5, v5, v9
	s_delay_alu instid0(VALU_DEP_2) | instskip(NEXT) | instid1(VALU_DEP_2)
	v_mul_hi_u32 v9, v2, v8
	v_mul_lo_u32 v10, v2, v5
	v_mul_hi_u32 v11, v2, v5
	v_mul_hi_u32 v12, v4, v8
	v_mul_lo_u32 v8, v4, v8
	v_mul_hi_u32 v13, v4, v5
	v_mul_lo_u32 v5, v4, v5
	v_add_co_u32 v9, vcc_lo, v9, v10
	v_add_co_ci_u32_e32 v10, vcc_lo, 0, v11, vcc_lo
	s_delay_alu instid0(VALU_DEP_2) | instskip(NEXT) | instid1(VALU_DEP_2)
	v_add_co_u32 v8, vcc_lo, v9, v8
	v_add_co_ci_u32_e32 v8, vcc_lo, v10, v12, vcc_lo
	v_add_co_ci_u32_e32 v9, vcc_lo, 0, v13, vcc_lo
	s_delay_alu instid0(VALU_DEP_2) | instskip(NEXT) | instid1(VALU_DEP_2)
	v_add_co_u32 v5, vcc_lo, v8, v5
	v_add_co_ci_u32_e32 v8, vcc_lo, 0, v9, vcc_lo
	s_delay_alu instid0(VALU_DEP_2) | instskip(NEXT) | instid1(VALU_DEP_2)
	v_add_co_u32 v2, vcc_lo, v2, v5
	v_add_co_ci_u32_e32 v12, vcc_lo, v4, v8, vcc_lo
	s_delay_alu instid0(VALU_DEP_2) | instskip(SKIP_1) | instid1(VALU_DEP_3)
	v_mul_hi_u32 v13, v7, v2
	v_mad_u64_u32 v[8:9], null, v3, v2, 0
	v_mad_u64_u32 v[4:5], null, v7, v12, 0
	;; [unrolled: 1-line block ×3, first 2 shown]
	s_delay_alu instid0(VALU_DEP_2) | instskip(NEXT) | instid1(VALU_DEP_3)
	v_add_co_u32 v2, vcc_lo, v13, v4
	v_add_co_ci_u32_e32 v4, vcc_lo, 0, v5, vcc_lo
	s_delay_alu instid0(VALU_DEP_2) | instskip(NEXT) | instid1(VALU_DEP_2)
	v_add_co_u32 v2, vcc_lo, v2, v8
	v_add_co_ci_u32_e32 v2, vcc_lo, v4, v9, vcc_lo
	v_add_co_ci_u32_e32 v4, vcc_lo, 0, v11, vcc_lo
	s_delay_alu instid0(VALU_DEP_2) | instskip(NEXT) | instid1(VALU_DEP_2)
	v_add_co_u32 v10, vcc_lo, v2, v10
	v_add_co_ci_u32_e32 v11, vcc_lo, 0, v4, vcc_lo
	s_delay_alu instid0(VALU_DEP_2) | instskip(NEXT) | instid1(VALU_DEP_1)
	v_mad_u64_u32 v[4:5], null, s10, v10, 0
	v_mov_b32_e32 v2, v5
	s_delay_alu instid0(VALU_DEP_1) | instskip(NEXT) | instid1(VALU_DEP_3)
	v_mad_u64_u32 v[8:9], null, s10, v11, v[2:3]
	v_sub_co_u32 v2, vcc_lo, v7, v4
	s_delay_alu instid0(VALU_DEP_2) | instskip(NEXT) | instid1(VALU_DEP_2)
	v_sub_co_ci_u32_e32 v3, vcc_lo, v3, v8, vcc_lo
	v_sub_co_u32 v4, vcc_lo, v2, s10
	s_delay_alu instid0(VALU_DEP_2) | instskip(NEXT) | instid1(VALU_DEP_2)
	v_subrev_co_ci_u32_e32 v5, vcc_lo, 0, v3, vcc_lo
	v_cmp_le_u32_e32 vcc_lo, s10, v4
	v_cmp_eq_u32_e64 s0, 0, v3
	v_cndmask_b32_e64 v4, 0, -1, vcc_lo
	v_add_co_u32 v7, vcc_lo, v10, 2
	v_add_co_ci_u32_e32 v8, vcc_lo, 0, v11, vcc_lo
	v_cmp_le_u32_e32 vcc_lo, s10, v2
	v_cndmask_b32_e64 v2, 0, -1, vcc_lo
	v_cmp_eq_u32_e32 vcc_lo, 0, v5
	s_delay_alu instid0(VALU_DEP_2) | instskip(SKIP_3) | instid1(VALU_DEP_3)
	v_cndmask_b32_e64 v2, -1, v2, s0
	v_cndmask_b32_e32 v4, -1, v4, vcc_lo
	v_add_co_u32 v5, vcc_lo, v10, 1
	v_add_co_ci_u32_e32 v9, vcc_lo, 0, v11, vcc_lo
	v_cmp_ne_u32_e32 vcc_lo, 0, v4
	s_delay_alu instid0(VALU_DEP_2) | instskip(NEXT) | instid1(VALU_DEP_4)
	v_cndmask_b32_e32 v3, v9, v8, vcc_lo
	v_cndmask_b32_e32 v4, v5, v7, vcc_lo
	v_cmp_ne_u32_e32 vcc_lo, 0, v2
                                        ; implicit-def: $vgpr7
	s_delay_alu instid0(VALU_DEP_2)
	v_dual_cndmask_b32 v5, v11, v3 :: v_dual_cndmask_b32 v4, v10, v4
.LBB318_3:
	s_and_not1_saveexec_b32 s0, s1
	s_cbranch_execz .LBB318_5
; %bb.4:
	v_cvt_f32_u32_e32 v2, s10
	s_sub_i32 s1, 0, s10
	s_delay_alu instid0(VALU_DEP_1) | instskip(SKIP_2) | instid1(VALU_DEP_1)
	v_rcp_iflag_f32_e32 v2, v2
	s_waitcnt_depctr 0xfff
	v_mul_f32_e32 v2, 0x4f7ffffe, v2
	v_cvt_u32_f32_e32 v2, v2
	s_delay_alu instid0(VALU_DEP_1) | instskip(NEXT) | instid1(VALU_DEP_1)
	v_mul_lo_u32 v3, s1, v2
	v_mul_hi_u32 v3, v2, v3
	s_delay_alu instid0(VALU_DEP_1) | instskip(NEXT) | instid1(VALU_DEP_1)
	v_add_nc_u32_e32 v2, v2, v3
	v_mul_hi_u32 v2, v7, v2
	s_delay_alu instid0(VALU_DEP_1) | instskip(SKIP_1) | instid1(VALU_DEP_2)
	v_mul_lo_u32 v3, v2, s10
	v_add_nc_u32_e32 v4, 1, v2
	v_sub_nc_u32_e32 v3, v7, v3
	s_delay_alu instid0(VALU_DEP_1) | instskip(SKIP_1) | instid1(VALU_DEP_2)
	v_subrev_nc_u32_e32 v5, s10, v3
	v_cmp_le_u32_e32 vcc_lo, s10, v3
	v_cndmask_b32_e32 v3, v3, v5, vcc_lo
	v_dual_mov_b32 v5, 0 :: v_dual_cndmask_b32 v2, v2, v4
	s_delay_alu instid0(VALU_DEP_2) | instskip(NEXT) | instid1(VALU_DEP_2)
	v_cmp_le_u32_e32 vcc_lo, s10, v3
	v_add_nc_u32_e32 v4, 1, v2
	s_delay_alu instid0(VALU_DEP_1)
	v_cndmask_b32_e32 v4, v2, v4, vcc_lo
.LBB318_5:
	s_or_b32 exec_lo, exec_lo, s0
	s_delay_alu instid0(VALU_DEP_1) | instskip(SKIP_2) | instid1(VALU_DEP_2)
	v_add_co_u32 v2, vcc_lo, v4, v6
	v_add_co_ci_u32_e32 v3, vcc_lo, 0, v5, vcc_lo
	s_mul_i32 s0, s15, s9
	v_add_co_u32 v2, vcc_lo, v2, 1
	s_mul_hi_u32 s1, s15, s8
	s_delay_alu instid0(VALU_DEP_2)
	v_add_co_ci_u32_e32 v3, vcc_lo, 0, v3, vcc_lo
	s_add_i32 s1, s1, s0
	s_mul_i32 s0, s15, s8
	s_mul_i32 s2, s1, 10
	s_mul_hi_u32 s3, s0, 10
	s_mul_i32 s11, s0, 10
	s_add_i32 s3, s3, s2
	v_cmp_gt_u64_e32 vcc_lo, 2, v[2:3]
	s_add_u32 s6, s6, s11
	v_cmp_ne_u16_e64 s2, s10, 1
	s_addc_u32 s7, s7, s3
	s_lshl_b64 s[0:1], s[0:1], 1
                                        ; kill: def $vgpr4_vgpr5 killed $sgpr0_sgpr1 killed $exec
	s_mov_b32 s11, 0
	v_mov_b32_e32 v5, v3
	s_add_u32 s4, s4, s0
	s_addc_u32 s5, s5, s1
	s_or_b32 s2, vcc_lo, s2
                                        ; implicit-def: $sgpr0_sgpr1
	s_delay_alu instid0(SALU_CYCLE_1) | instskip(NEXT) | instid1(SALU_CYCLE_1)
	s_and_saveexec_b32 s3, s2
	s_xor_b32 s2, exec_lo, s3
; %bb.6:
	s_mov_b32 s11, exec_lo
	s_lshl_b64 s[0:1], s[8:9], 1
                                        ; implicit-def: $vgpr2_vgpr3
                                        ; implicit-def: $vgpr5
; %bb.7:
	s_or_saveexec_b32 s12, s2
	v_dual_mov_b32 v7, s1 :: v_dual_mov_b32 v6, s0
	s_xor_b32 exec_lo, exec_lo, s12
	s_cbranch_execz .LBB318_11
; %bb.8:
	v_dual_mov_b32 v9, 0 :: v_dual_and_b32 v4, -2, v2
	v_dual_mov_b32 v7, v5 :: v_dual_lshlrev_b32 v8, 1, v0
	s_lshl_b64 s[2:3], s[8:9], 1
	s_delay_alu instid0(VALU_DEP_2)
	v_mov_b32_e32 v6, v4
	s_mov_b32 s1, 0
	s_lshl_b32 s13, s10, 2
.LBB318_9:                              ; =>This Inner Loop Header: Depth=1
	v_add_co_u32 v10, vcc_lo, s6, v8
	v_add_co_ci_u32_e32 v11, vcc_lo, s7, v9, vcc_lo
	global_load_b32 v12, v[10:11], off
	v_add_co_u32 v10, vcc_lo, v10, s2
	v_add_co_ci_u32_e32 v11, vcc_lo, s3, v11, vcc_lo
	global_load_b32 v13, v[10:11], off
	v_add_co_u32 v10, vcc_lo, v10, s2
	v_add_co_ci_u32_e32 v11, vcc_lo, s3, v11, vcc_lo
	global_load_b32 v14, v[10:11], off
	v_add_co_u32 v10, vcc_lo, v10, s2
	v_add_co_ci_u32_e32 v11, vcc_lo, s3, v11, vcc_lo
	global_load_b32 v15, v[10:11], off
	v_add_co_u32 v10, vcc_lo, v10, s2
	v_add_co_ci_u32_e32 v11, vcc_lo, s3, v11, vcc_lo
	global_load_b32 v10, v[10:11], off
	s_waitcnt vmcnt(4)
	v_and_b32_e32 v11, 0xff00ff, v12
	v_pk_lshrrev_b16 v12, 8, v12 op_sel_hi:[0,1]
	s_delay_alu instid0(VALU_DEP_2) | instskip(SKIP_1) | instid1(VALU_DEP_1)
	v_and_b32_e32 v16, 0xffff0000, v11
	v_lshlrev_b32_e32 v11, 16, v11
	v_lshl_or_b32 v11, v12, 24, v11
	s_delay_alu instid0(VALU_DEP_1) | instskip(NEXT) | instid1(VALU_DEP_1)
	v_dual_add_f32 v20, 0, v11 :: v_dual_lshlrev_b32 v17, 8, v12
	v_and_or_b32 v16, 0xff000000, v17, v16
	s_waitcnt vmcnt(3)
	v_and_b32_e32 v18, 0xff00ff, v13
	v_pk_lshrrev_b16 v13, 8, v13 op_sel_hi:[0,1]
	s_waitcnt vmcnt(2)
	v_pk_lshrrev_b16 v19, 8, v14 op_sel_hi:[0,1]
	v_dual_add_f32 v21, 0, v16 :: v_dual_and_b32 v14, 0xff00ff, v14
	v_lshlrev_b32_e32 v12, 16, v18
	v_and_b32_e32 v17, 0xffff0000, v18
	v_lshlrev_b32_e32 v18, 8, v13
	s_waitcnt vmcnt(1)
	v_pk_lshrrev_b16 v22, 8, v15 op_sel_hi:[0,1]
	v_bfe_u32 v23, v21, 16, 1
	v_lshl_or_b32 v12, v13, 24, v12
	v_lshlrev_b32_e32 v13, 16, v14
	v_and_or_b32 v17, 0xff000000, v18, v17
	v_and_b32_e32 v14, 0xffff0000, v14
	v_lshlrev_b32_e32 v18, 8, v19
	v_bfe_u32 v24, v20, 16, 1
	v_lshl_or_b32 v13, v19, 24, v13
	v_lshlrev_b32_e32 v19, 8, v22
	v_add3_u32 v21, v21, v23, 0x7fff
	v_and_or_b32 v14, 0xff000000, v18, v14
	v_and_b32_e32 v15, 0xff00ff, v15
	v_add3_u32 v20, v20, v24, 0x7fff
	v_cmp_o_f32_e32 vcc_lo, v11, v11
	v_cmp_o_f32_e64 s0, v16, v16
	s_waitcnt vmcnt(0)
	v_pk_lshrrev_b16 v25, 8, v10 op_sel_hi:[0,1]
	v_lshlrev_b32_e32 v18, 16, v15
	v_and_b32_e32 v15, 0xffff0000, v15
	v_lshrrev_b32_e32 v20, 16, v20
	v_and_b32_e32 v10, 0xff00ff, v10
	s_delay_alu instid0(VALU_DEP_4) | instskip(NEXT) | instid1(VALU_DEP_4)
	v_lshl_or_b32 v18, v22, 24, v18
	v_and_or_b32 v15, 0xff000000, v19, v15
	v_lshrrev_b32_e32 v19, 16, v21
	v_cndmask_b32_e32 v16, 0x7fc0, v20, vcc_lo
	s_delay_alu instid0(VALU_DEP_2) | instskip(NEXT) | instid1(VALU_DEP_1)
	v_cndmask_b32_e64 v11, 0x7fc0, v19, s0
	v_perm_b32 v11, v11, v16, 0x5040100
	s_delay_alu instid0(VALU_DEP_1) | instskip(SKIP_1) | instid1(VALU_DEP_2)
	v_and_b32_e32 v16, 0xff00ff, v11
	v_pk_lshrrev_b16 v11, 8, v11 op_sel_hi:[0,1]
	v_and_b32_e32 v19, 0xffff0000, v16
	s_delay_alu instid0(VALU_DEP_2) | instskip(SKIP_1) | instid1(VALU_DEP_2)
	v_lshlrev_b32_e32 v20, 8, v11
	v_lshlrev_b32_e32 v16, 16, v16
	v_and_or_b32 v19, 0xff000000, v20, v19
	s_delay_alu instid0(VALU_DEP_2) | instskip(NEXT) | instid1(VALU_DEP_2)
	v_lshl_or_b32 v11, v11, 24, v16
	v_add_f32_e32 v16, v19, v17
	s_delay_alu instid0(VALU_DEP_2) | instskip(NEXT) | instid1(VALU_DEP_2)
	v_add_f32_e32 v11, v11, v12
	v_bfe_u32 v12, v16, 16, 1
	s_delay_alu instid0(VALU_DEP_2) | instskip(SKIP_2) | instid1(VALU_DEP_4)
	v_bfe_u32 v17, v11, 16, 1
	v_cmp_o_f32_e32 vcc_lo, v11, v11
	v_cmp_o_f32_e64 s0, v16, v16
	v_add3_u32 v12, v16, v12, 0x7fff
	s_delay_alu instid0(VALU_DEP_4) | instskip(NEXT) | instid1(VALU_DEP_2)
	v_add3_u32 v17, v11, v17, 0x7fff
	v_lshrrev_b32_e32 v12, 16, v12
	s_delay_alu instid0(VALU_DEP_2) | instskip(NEXT) | instid1(VALU_DEP_2)
	v_lshrrev_b32_e32 v17, 16, v17
	v_cndmask_b32_e64 v11, 0x7fc0, v12, s0
	s_delay_alu instid0(VALU_DEP_2) | instskip(NEXT) | instid1(VALU_DEP_1)
	v_cndmask_b32_e32 v12, 0x7fc0, v17, vcc_lo
	v_perm_b32 v11, v11, v12, 0x5040100
	s_delay_alu instid0(VALU_DEP_1) | instskip(SKIP_1) | instid1(VALU_DEP_2)
	v_and_b32_e32 v12, 0xff00ff, v11
	v_pk_lshrrev_b16 v11, 8, v11 op_sel_hi:[0,1]
	v_and_b32_e32 v16, 0xffff0000, v12
	s_delay_alu instid0(VALU_DEP_2) | instskip(SKIP_1) | instid1(VALU_DEP_2)
	v_lshlrev_b32_e32 v17, 8, v11
	v_lshlrev_b32_e32 v12, 16, v12
	v_and_or_b32 v16, 0xff000000, v17, v16
	s_delay_alu instid0(VALU_DEP_2) | instskip(NEXT) | instid1(VALU_DEP_1)
	v_lshl_or_b32 v11, v11, 24, v12
	v_dual_add_f32 v12, v16, v14 :: v_dual_add_f32 v11, v11, v13
	s_delay_alu instid0(VALU_DEP_1) | instskip(NEXT) | instid1(VALU_DEP_2)
	v_bfe_u32 v13, v12, 16, 1
	v_bfe_u32 v14, v11, 16, 1
	v_cmp_o_f32_e32 vcc_lo, v11, v11
	v_cmp_o_f32_e64 s0, v12, v12
	s_delay_alu instid0(VALU_DEP_4) | instskip(NEXT) | instid1(VALU_DEP_4)
	v_add3_u32 v13, v12, v13, 0x7fff
	v_add3_u32 v14, v11, v14, 0x7fff
	s_delay_alu instid0(VALU_DEP_2) | instskip(NEXT) | instid1(VALU_DEP_2)
	v_lshrrev_b32_e32 v13, 16, v13
	v_lshrrev_b32_e32 v14, 16, v14
	s_delay_alu instid0(VALU_DEP_2) | instskip(NEXT) | instid1(VALU_DEP_2)
	v_cndmask_b32_e64 v11, 0x7fc0, v13, s0
	v_cndmask_b32_e32 v12, 0x7fc0, v14, vcc_lo
	s_delay_alu instid0(VALU_DEP_1) | instskip(NEXT) | instid1(VALU_DEP_1)
	v_perm_b32 v11, v11, v12, 0x5040100
	v_and_b32_e32 v12, 0xff00ff, v11
	v_pk_lshrrev_b16 v11, 8, v11 op_sel_hi:[0,1]
	s_delay_alu instid0(VALU_DEP_2) | instskip(NEXT) | instid1(VALU_DEP_2)
	v_and_b32_e32 v13, 0xffff0000, v12
	v_lshlrev_b32_e32 v14, 8, v11
	v_lshlrev_b32_e32 v12, 16, v12
	s_delay_alu instid0(VALU_DEP_2) | instskip(NEXT) | instid1(VALU_DEP_2)
	v_and_or_b32 v13, 0xff000000, v14, v13
	v_lshl_or_b32 v11, v11, 24, v12
	s_delay_alu instid0(VALU_DEP_1) | instskip(NEXT) | instid1(VALU_DEP_1)
	v_dual_add_f32 v12, v13, v15 :: v_dual_add_f32 v11, v11, v18
	v_bfe_u32 v13, v12, 16, 1
	s_delay_alu instid0(VALU_DEP_2) | instskip(SKIP_2) | instid1(VALU_DEP_4)
	v_bfe_u32 v14, v11, 16, 1
	v_cmp_o_f32_e32 vcc_lo, v11, v11
	v_cmp_o_f32_e64 s0, v12, v12
	v_add3_u32 v13, v12, v13, 0x7fff
	s_delay_alu instid0(VALU_DEP_4) | instskip(NEXT) | instid1(VALU_DEP_2)
	v_add3_u32 v14, v11, v14, 0x7fff
	v_lshrrev_b32_e32 v13, 16, v13
	s_delay_alu instid0(VALU_DEP_2) | instskip(NEXT) | instid1(VALU_DEP_2)
	v_lshrrev_b32_e32 v14, 16, v14
	v_cndmask_b32_e64 v11, 0x7fc0, v13, s0
	s_delay_alu instid0(VALU_DEP_2) | instskip(SKIP_3) | instid1(VALU_DEP_4)
	v_cndmask_b32_e32 v12, 0x7fc0, v14, vcc_lo
	v_lshlrev_b32_e32 v13, 16, v10
	v_and_b32_e32 v10, 0xffff0000, v10
	v_lshlrev_b32_e32 v14, 8, v25
	v_perm_b32 v11, v11, v12, 0x5040100
	s_delay_alu instid0(VALU_DEP_4) | instskip(NEXT) | instid1(VALU_DEP_3)
	v_lshl_or_b32 v13, v25, 24, v13
	v_and_or_b32 v14, 0xff000000, v14, v10
	v_add_co_u32 v10, vcc_lo, s4, v8
	s_delay_alu instid0(VALU_DEP_4) | instskip(SKIP_1) | instid1(VALU_DEP_2)
	v_and_b32_e32 v12, 0xff00ff, v11
	v_pk_lshrrev_b16 v11, 8, v11 op_sel_hi:[0,1]
	v_and_b32_e32 v15, 0xffff0000, v12
	s_delay_alu instid0(VALU_DEP_2) | instskip(SKIP_1) | instid1(VALU_DEP_2)
	v_lshlrev_b32_e32 v16, 8, v11
	v_lshlrev_b32_e32 v12, 16, v12
	v_and_or_b32 v15, 0xff000000, v16, v15
	s_delay_alu instid0(VALU_DEP_2) | instskip(NEXT) | instid1(VALU_DEP_2)
	v_lshl_or_b32 v11, v11, 24, v12
	v_add_f32_e32 v12, v15, v14
	s_delay_alu instid0(VALU_DEP_2) | instskip(SKIP_2) | instid1(VALU_DEP_4)
	v_add_f32_e32 v13, v11, v13
	v_add_co_ci_u32_e32 v11, vcc_lo, s5, v9, vcc_lo
	v_add_co_u32 v6, vcc_lo, v6, -2
	v_bfe_u32 v14, v12, 16, 1
	s_delay_alu instid0(VALU_DEP_4) | instskip(SKIP_2) | instid1(VALU_DEP_4)
	v_bfe_u32 v15, v13, 16, 1
	v_add_co_ci_u32_e32 v7, vcc_lo, -1, v7, vcc_lo
	v_cmp_o_f32_e32 vcc_lo, v13, v13
	v_add3_u32 v14, v12, v14, 0x7fff
	s_delay_alu instid0(VALU_DEP_4) | instskip(SKIP_1) | instid1(VALU_DEP_3)
	v_add3_u32 v15, v13, v15, 0x7fff
	v_cmp_o_f32_e64 s0, v12, v12
	v_lshrrev_b32_e32 v14, 16, v14
	s_delay_alu instid0(VALU_DEP_3) | instskip(NEXT) | instid1(VALU_DEP_2)
	v_lshrrev_b32_e32 v15, 16, v15
	v_cndmask_b32_e64 v12, 0x7fc0, v14, s0
	s_delay_alu instid0(VALU_DEP_2) | instskip(SKIP_2) | instid1(VALU_DEP_1)
	v_cndmask_b32_e32 v13, 0x7fc0, v15, vcc_lo
	v_cmp_eq_u64_e32 vcc_lo, 0, v[6:7]
	v_add_co_u32 v8, s0, v8, s13
	v_add_co_ci_u32_e64 v9, s0, 0, v9, s0
	s_delay_alu instid0(VALU_DEP_4)
	v_perm_b32 v12, v12, v13, 0x5040100
	s_or_b32 s1, vcc_lo, s1
	global_store_b32 v[10:11], v12, off
	s_and_not1_b32 exec_lo, exec_lo, s1
	s_cbranch_execnz .LBB318_9
; %bb.10:
	s_or_b32 exec_lo, exec_lo, s1
	v_mad_u64_u32 v[8:9], null, v4, s10, v[0:1]
	v_cmp_ne_u64_e32 vcc_lo, v[2:3], v[4:5]
	s_and_not1_b32 s0, s11, exec_lo
	s_and_b32 s1, vcc_lo, exec_lo
	s_delay_alu instid0(VALU_DEP_2) | instskip(SKIP_1) | instid1(VALU_DEP_1)
	v_mov_b32_e32 v0, v9
	s_or_b32 s11, s0, s1
	v_mad_u64_u32 v[6:7], null, v5, s10, v[0:1]
	s_delay_alu instid0(VALU_DEP_1) | instskip(SKIP_1) | instid1(VALU_DEP_2)
	v_mov_b32_e32 v9, v6
	v_dual_mov_b32 v7, s3 :: v_dual_mov_b32 v6, s2
	v_dual_mov_b32 v0, v8 :: v_dual_mov_b32 v1, v9
.LBB318_11:
	s_or_b32 exec_lo, exec_lo, s12
	s_delay_alu instid0(SALU_CYCLE_1)
	s_and_b32 exec_lo, exec_lo, s11
	s_cbranch_execz .LBB318_14
; %bb.12:
	s_delay_alu instid0(VALU_DEP_1)
	v_lshlrev_b64 v[2:3], 1, v[0:1]
	s_lshl_b32 s2, s10, 1
	s_mov_b32 s3, 0
.LBB318_13:                             ; =>This Inner Loop Header: Depth=1
	s_delay_alu instid0(VALU_DEP_1) | instskip(NEXT) | instid1(VALU_DEP_2)
	v_add_co_u32 v4, vcc_lo, s6, v2
	v_add_co_ci_u32_e32 v5, vcc_lo, s7, v3, vcc_lo
	global_load_u16 v8, v[4:5], off
	v_add_co_u32 v4, vcc_lo, v4, v6
	v_add_co_ci_u32_e32 v5, vcc_lo, v5, v7, vcc_lo
	global_load_u16 v9, v[4:5], off
	;; [unrolled: 3-line block ×5, first 2 shown]
	s_waitcnt vmcnt(4)
	v_and_b32_e32 v5, 0xff, v8
	v_lshrrev_b16 v8, 8, v8
	s_delay_alu instid0(VALU_DEP_2) | instskip(NEXT) | instid1(VALU_DEP_1)
	v_lshlrev_b32_e32 v5, 16, v5
	v_lshl_or_b32 v5, v8, 24, v5
	s_delay_alu instid0(VALU_DEP_1) | instskip(SKIP_1) | instid1(VALU_DEP_2)
	v_add_f32_e32 v8, 0, v5
	v_cmp_o_f32_e32 vcc_lo, v5, v5
	v_bfe_u32 v12, v8, 16, 1
	s_delay_alu instid0(VALU_DEP_1) | instskip(NEXT) | instid1(VALU_DEP_1)
	v_add3_u32 v8, v8, v12, 0x7fff
	v_lshrrev_b32_e32 v8, 16, v8
	s_delay_alu instid0(VALU_DEP_1) | instskip(SKIP_3) | instid1(VALU_DEP_2)
	v_cndmask_b32_e32 v5, 0x7fc0, v8, vcc_lo
	s_waitcnt vmcnt(3)
	v_and_b32_e32 v8, 0xff, v9
	v_lshrrev_b16 v9, 8, v9
	v_lshlrev_b32_e32 v8, 16, v8
	s_delay_alu instid0(VALU_DEP_1) | instskip(SKIP_2) | instid1(VALU_DEP_2)
	v_lshl_or_b32 v8, v9, 24, v8
	v_and_b32_e32 v12, 0xff, v5
	v_lshrrev_b16 v5, 8, v5
	v_lshlrev_b32_e32 v12, 16, v12
	s_delay_alu instid0(VALU_DEP_1) | instskip(NEXT) | instid1(VALU_DEP_1)
	v_lshl_or_b32 v5, v5, 24, v12
	v_add_f32_e32 v5, v5, v8
	s_delay_alu instid0(VALU_DEP_1) | instskip(SKIP_1) | instid1(VALU_DEP_2)
	v_bfe_u32 v8, v5, 16, 1
	v_cmp_o_f32_e32 vcc_lo, v5, v5
	v_add3_u32 v8, v5, v8, 0x7fff
	s_delay_alu instid0(VALU_DEP_1) | instskip(NEXT) | instid1(VALU_DEP_1)
	v_lshrrev_b32_e32 v8, 16, v8
	v_cndmask_b32_e32 v5, 0x7fc0, v8, vcc_lo
	s_waitcnt vmcnt(2)
	v_and_b32_e32 v8, 0xff, v10
	v_lshrrev_b16 v10, 8, v10
	s_delay_alu instid0(VALU_DEP_3) | instskip(NEXT) | instid1(VALU_DEP_3)
	v_and_b32_e32 v9, 0xff, v5
	v_lshlrev_b32_e32 v8, 16, v8
	v_lshrrev_b16 v5, 8, v5
	s_delay_alu instid0(VALU_DEP_3) | instskip(NEXT) | instid1(VALU_DEP_3)
	v_lshlrev_b32_e32 v9, 16, v9
	v_lshl_or_b32 v8, v10, 24, v8
	s_waitcnt vmcnt(1)
	v_lshrrev_b16 v10, 8, v11
	s_delay_alu instid0(VALU_DEP_3) | instskip(NEXT) | instid1(VALU_DEP_1)
	v_lshl_or_b32 v5, v5, 24, v9
	v_add_f32_e32 v5, v5, v8
	s_delay_alu instid0(VALU_DEP_1) | instskip(SKIP_1) | instid1(VALU_DEP_2)
	v_bfe_u32 v8, v5, 16, 1
	v_cmp_o_f32_e32 vcc_lo, v5, v5
	v_add3_u32 v8, v5, v8, 0x7fff
	s_delay_alu instid0(VALU_DEP_1) | instskip(NEXT) | instid1(VALU_DEP_1)
	v_lshrrev_b32_e32 v8, 16, v8
	v_cndmask_b32_e32 v5, 0x7fc0, v8, vcc_lo
	v_and_b32_e32 v8, 0xff, v11
	s_delay_alu instid0(VALU_DEP_2) | instskip(NEXT) | instid1(VALU_DEP_2)
	v_and_b32_e32 v9, 0xff, v5
	v_lshlrev_b32_e32 v8, 16, v8
	v_lshrrev_b16 v5, 8, v5
	s_delay_alu instid0(VALU_DEP_3) | instskip(NEXT) | instid1(VALU_DEP_3)
	v_lshlrev_b32_e32 v9, 16, v9
	v_lshl_or_b32 v8, v10, 24, v8
	s_delay_alu instid0(VALU_DEP_2) | instskip(NEXT) | instid1(VALU_DEP_1)
	v_lshl_or_b32 v5, v5, 24, v9
	v_add_f32_e32 v5, v5, v8
	s_delay_alu instid0(VALU_DEP_1) | instskip(SKIP_1) | instid1(VALU_DEP_2)
	v_bfe_u32 v8, v5, 16, 1
	v_cmp_o_f32_e32 vcc_lo, v5, v5
	v_add3_u32 v8, v5, v8, 0x7fff
	s_delay_alu instid0(VALU_DEP_1) | instskip(NEXT) | instid1(VALU_DEP_1)
	v_lshrrev_b32_e32 v8, 16, v8
	v_cndmask_b32_e32 v5, 0x7fc0, v8, vcc_lo
	s_waitcnt vmcnt(0)
	v_and_b32_e32 v8, 0xff, v4
	v_lshrrev_b16 v4, 8, v4
	v_add_co_u32 v0, vcc_lo, v0, s10
	v_and_b32_e32 v9, 0xff, v5
	s_delay_alu instid0(VALU_DEP_4) | instskip(SKIP_2) | instid1(VALU_DEP_4)
	v_lshlrev_b32_e32 v8, 16, v8
	v_lshrrev_b16 v5, 8, v5
	v_add_co_ci_u32_e32 v1, vcc_lo, 0, v1, vcc_lo
	v_lshlrev_b32_e32 v9, 16, v9
	s_delay_alu instid0(VALU_DEP_4) | instskip(NEXT) | instid1(VALU_DEP_3)
	v_lshl_or_b32 v4, v4, 24, v8
	v_cmp_le_i64_e64 s0, s[8:9], v[0:1]
	s_delay_alu instid0(VALU_DEP_3) | instskip(NEXT) | instid1(VALU_DEP_2)
	v_lshl_or_b32 v5, v5, 24, v9
	s_or_b32 s3, s0, s3
	s_delay_alu instid0(VALU_DEP_1) | instskip(NEXT) | instid1(VALU_DEP_1)
	v_add_f32_e32 v8, v5, v4
	v_bfe_u32 v4, v8, 16, 1
	v_cmp_o_f32_e64 s1, v8, v8
	s_delay_alu instid0(VALU_DEP_2) | instskip(SKIP_2) | instid1(VALU_DEP_3)
	v_add3_u32 v9, v8, v4, 0x7fff
	v_add_co_u32 v4, vcc_lo, s4, v2
	v_add_co_ci_u32_e32 v5, vcc_lo, s5, v3, vcc_lo
	v_lshrrev_b32_e32 v9, 16, v9
	v_add_co_u32 v2, vcc_lo, v2, s2
	v_add_co_ci_u32_e32 v3, vcc_lo, 0, v3, vcc_lo
	s_delay_alu instid0(VALU_DEP_3)
	v_cndmask_b32_e64 v8, 0x7fc0, v9, s1
	global_store_b16 v[4:5], v8, off
	s_and_not1_b32 exec_lo, exec_lo, s3
	s_cbranch_execnz .LBB318_13
.LBB318_14:
	s_nop 0
	s_sendmsg sendmsg(MSG_DEALLOC_VGPRS)
	s_endpgm
	.section	.rodata,"a",@progbits
	.p2align	6, 0x0
	.amdhsa_kernel _ZN4vllm3moe14moe_sum_kernelIN3c108BFloat16ELi5EEEvPT_PKS4_i
		.amdhsa_group_segment_fixed_size 0
		.amdhsa_private_segment_fixed_size 0
		.amdhsa_kernarg_size 280
		.amdhsa_user_sgpr_count 15
		.amdhsa_user_sgpr_dispatch_ptr 0
		.amdhsa_user_sgpr_queue_ptr 0
		.amdhsa_user_sgpr_kernarg_segment_ptr 1
		.amdhsa_user_sgpr_dispatch_id 0
		.amdhsa_user_sgpr_private_segment_size 0
		.amdhsa_wavefront_size32 1
		.amdhsa_uses_dynamic_stack 0
		.amdhsa_enable_private_segment 0
		.amdhsa_system_sgpr_workgroup_id_x 1
		.amdhsa_system_sgpr_workgroup_id_y 0
		.amdhsa_system_sgpr_workgroup_id_z 0
		.amdhsa_system_sgpr_workgroup_info 0
		.amdhsa_system_vgpr_workitem_id 0
		.amdhsa_next_free_vgpr 26
		.amdhsa_next_free_sgpr 16
		.amdhsa_reserve_vcc 1
		.amdhsa_float_round_mode_32 0
		.amdhsa_float_round_mode_16_64 0
		.amdhsa_float_denorm_mode_32 3
		.amdhsa_float_denorm_mode_16_64 3
		.amdhsa_dx10_clamp 1
		.amdhsa_ieee_mode 1
		.amdhsa_fp16_overflow 0
		.amdhsa_workgroup_processor_mode 1
		.amdhsa_memory_ordered 1
		.amdhsa_forward_progress 0
		.amdhsa_shared_vgpr_count 0
		.amdhsa_exception_fp_ieee_invalid_op 0
		.amdhsa_exception_fp_denorm_src 0
		.amdhsa_exception_fp_ieee_div_zero 0
		.amdhsa_exception_fp_ieee_overflow 0
		.amdhsa_exception_fp_ieee_underflow 0
		.amdhsa_exception_fp_ieee_inexact 0
		.amdhsa_exception_int_div_zero 0
	.end_amdhsa_kernel
	.section	.text._ZN4vllm3moe14moe_sum_kernelIN3c108BFloat16ELi5EEEvPT_PKS4_i,"axG",@progbits,_ZN4vllm3moe14moe_sum_kernelIN3c108BFloat16ELi5EEEvPT_PKS4_i,comdat
.Lfunc_end318:
	.size	_ZN4vllm3moe14moe_sum_kernelIN3c108BFloat16ELi5EEEvPT_PKS4_i, .Lfunc_end318-_ZN4vllm3moe14moe_sum_kernelIN3c108BFloat16ELi5EEEvPT_PKS4_i
                                        ; -- End function
	.section	.AMDGPU.csdata,"",@progbits
; Kernel info:
; codeLenInByte = 3340
; NumSgprs: 18
; NumVgprs: 26
; ScratchSize: 0
; MemoryBound: 0
; FloatMode: 240
; IeeeMode: 1
; LDSByteSize: 0 bytes/workgroup (compile time only)
; SGPRBlocks: 2
; VGPRBlocks: 3
; NumSGPRsForWavesPerEU: 18
; NumVGPRsForWavesPerEU: 26
; Occupancy: 16
; WaveLimiterHint : 0
; COMPUTE_PGM_RSRC2:SCRATCH_EN: 0
; COMPUTE_PGM_RSRC2:USER_SGPR: 15
; COMPUTE_PGM_RSRC2:TRAP_HANDLER: 0
; COMPUTE_PGM_RSRC2:TGID_X_EN: 1
; COMPUTE_PGM_RSRC2:TGID_Y_EN: 0
; COMPUTE_PGM_RSRC2:TGID_Z_EN: 0
; COMPUTE_PGM_RSRC2:TIDIG_COMP_CNT: 0
	.text
	.p2alignl 7, 3214868480
	.fill 96, 4, 3214868480
	.type	__const.__assert_fail.fmt,@object ; @__const.__assert_fail.fmt
	.section	.rodata.str1.16,"aMS",@progbits,1
	.p2align	4, 0x0
__const.__assert_fail.fmt:
	.asciz	"%s:%u: %s: Device-side assertion `%s' failed.\n"
	.size	__const.__assert_fail.fmt, 47

	.type	.str.1,@object                  ; @.str.1
	.section	.rodata.str1.1,"aMS",@progbits,1
.str.1:
	.asciz	"indices[idx] >= 0"
	.size	.str.1, 18

	.type	.str.2,@object                  ; @.str.2
.str.2:
	.asciz	"/root/src/amdgpu-assembly/repos/ROCm__aiter/csrc/kernels/topk_softmax_kernels.cu"
	.size	.str.2, 81

	.type	__PRETTY_FUNCTION__._ZN4vllm3moe7moeTopKILi256EEEvPKfPKbPfPiS7_iiiib,@object ; @__PRETTY_FUNCTION__._ZN4vllm3moe7moeTopKILi256EEEvPKfPKbPfPiS7_iiiib
__PRETTY_FUNCTION__._ZN4vllm3moe7moeTopKILi256EEEvPKfPKbPfPiS7_iiiib:
	.asciz	"void vllm::moe::moeTopK(const float *, const bool *, float *, int *, int *, const int, const int, const int, const int, const bool) [TPB = 256]"
	.size	__PRETTY_FUNCTION__._ZN4vllm3moe7moeTopKILi256EEEvPKfPKbPfPiS7_iiiib, 144

	.type	__hip_cuid_42848b68fb9b9105,@object ; @__hip_cuid_42848b68fb9b9105
	.section	.bss,"aw",@nobits
	.globl	__hip_cuid_42848b68fb9b9105
__hip_cuid_42848b68fb9b9105:
	.byte	0                               ; 0x0
	.size	__hip_cuid_42848b68fb9b9105, 1

	.ident	"AMD clang version 19.0.0git (https://github.com/RadeonOpenCompute/llvm-project roc-6.4.0 25133 c7fe45cf4b819c5991fe208aaa96edf142730f1d)"
	.section	".note.GNU-stack","",@progbits
	.addrsig
	.addrsig_sym __hip_cuid_42848b68fb9b9105
	.amdgpu_metadata
---
amdhsa.kernels:
  - .args:           []
    .group_segment_fixed_size: 0
    .kernarg_segment_align: 4
    .kernarg_segment_size: 0
    .language:       OpenCL C
    .language_version:
      - 2
      - 0
    .max_flat_workgroup_size: 1024
    .name:           _ZN7ck_tileL11flush_cacheEv
    .private_segment_fixed_size: 0
    .sgpr_count:     0
    .sgpr_spill_count: 0
    .symbol:         _ZN7ck_tileL11flush_cacheEv.kd
    .uniform_work_group_size: 1
    .uses_dynamic_stack: false
    .vgpr_count:     0
    .vgpr_spill_count: 0
    .wavefront_size: 32
    .workgroup_processor_mode: 1
  - .args:
      - .address_space:  global
        .offset:         0
        .size:           8
        .value_kind:     global_buffer
      - .address_space:  global
        .offset:         8
        .size:           8
        .value_kind:     global_buffer
      - .address_space:  global
        .offset:         16
        .size:           8
        .value_kind:     global_buffer
      - .offset:         24
        .size:           4
        .value_kind:     by_value
      - .address_space:  global
        .offset:         32
        .size:           8
        .value_kind:     global_buffer
      - .address_space:  global
        .offset:         40
        .size:           8
        .value_kind:     global_buffer
      - .offset:         48
        .size:           4
        .value_kind:     by_value
      - .offset:         52
        .size:           4
        .value_kind:     by_value
      - .offset:         56
        .size:           4
        .value_kind:     by_value
      - .offset:         60
        .size:           4
        .value_kind:     by_value
      - .offset:         64
        .size:           4
        .value_kind:     by_value
      - .offset:         68
        .size:           4
        .value_kind:     by_value
    .group_segment_fixed_size: 0
    .kernarg_segment_align: 8
    .kernarg_segment_size: 72
    .language:       OpenCL C
    .language_version:
      - 2
      - 0
    .max_flat_workgroup_size: 256
    .name:           _ZN4vllm3moe17topkGatingSoftmaxIfLi1ELi1ELi8ELi4ELb1ELi0ELNS0_23SharedExpertScoringFuncE0EEEvPKT_PKbPfiPiS9_iiiiii
    .private_segment_fixed_size: 0
    .sgpr_count:     20
    .sgpr_spill_count: 0
    .symbol:         _ZN4vllm3moe17topkGatingSoftmaxIfLi1ELi1ELi8ELi4ELb1ELi0ELNS0_23SharedExpertScoringFuncE0EEEvPKT_PKbPfiPiS9_iiiiii.kd
    .uniform_work_group_size: 1
    .uses_dynamic_stack: false
    .vgpr_count:     16
    .vgpr_spill_count: 0
    .wavefront_size: 32
    .workgroup_processor_mode: 1
  - .args:
      - .address_space:  global
        .offset:         0
        .size:           8
        .value_kind:     global_buffer
      - .address_space:  global
        .offset:         8
        .size:           8
        .value_kind:     global_buffer
      - .address_space:  global
        .offset:         16
        .size:           8
        .value_kind:     global_buffer
      - .offset:         24
        .size:           4
        .value_kind:     by_value
      - .address_space:  global
        .offset:         32
        .size:           8
        .value_kind:     global_buffer
      - .address_space:  global
        .offset:         40
        .size:           8
        .value_kind:     global_buffer
      - .offset:         48
        .size:           4
        .value_kind:     by_value
      - .offset:         52
        .size:           4
        .value_kind:     by_value
      - .offset:         56
        .size:           4
        .value_kind:     by_value
      - .offset:         60
        .size:           4
        .value_kind:     by_value
      - .offset:         64
        .size:           4
        .value_kind:     by_value
      - .offset:         68
        .size:           4
        .value_kind:     by_value
    .group_segment_fixed_size: 0
    .kernarg_segment_align: 8
    .kernarg_segment_size: 72
    .language:       OpenCL C
    .language_version:
      - 2
      - 0
    .max_flat_workgroup_size: 256
    .name:           _ZN4vllm3moe17topkGatingSoftmaxIfLi1ELi1ELi8ELi4ELb0ELi0ELNS0_23SharedExpertScoringFuncE0EEEvPKT_PKbPfiPiS9_iiiiii
    .private_segment_fixed_size: 0
    .sgpr_count:     18
    .sgpr_spill_count: 0
    .symbol:         _ZN4vllm3moe17topkGatingSoftmaxIfLi1ELi1ELi8ELi4ELb0ELi0ELNS0_23SharedExpertScoringFuncE0EEEvPKT_PKbPfiPiS9_iiiiii.kd
    .uniform_work_group_size: 1
    .uses_dynamic_stack: false
    .vgpr_count:     17
    .vgpr_spill_count: 0
    .wavefront_size: 32
    .workgroup_processor_mode: 1
  - .args:
      - .address_space:  global
        .offset:         0
        .size:           8
        .value_kind:     global_buffer
      - .address_space:  global
        .offset:         8
        .size:           8
        .value_kind:     global_buffer
      - .address_space:  global
        .offset:         16
        .size:           8
        .value_kind:     global_buffer
      - .offset:         24
        .size:           4
        .value_kind:     by_value
      - .address_space:  global
        .offset:         32
        .size:           8
        .value_kind:     global_buffer
      - .address_space:  global
        .offset:         40
        .size:           8
        .value_kind:     global_buffer
      - .offset:         48
        .size:           4
        .value_kind:     by_value
      - .offset:         52
        .size:           4
        .value_kind:     by_value
      - .offset:         56
        .size:           4
        .value_kind:     by_value
      - .offset:         60
        .size:           4
        .value_kind:     by_value
      - .offset:         64
        .size:           4
        .value_kind:     by_value
      - .offset:         68
        .size:           4
        .value_kind:     by_value
    .group_segment_fixed_size: 0
    .kernarg_segment_align: 8
    .kernarg_segment_size: 72
    .language:       OpenCL C
    .language_version:
      - 2
      - 0
    .max_flat_workgroup_size: 256
    .name:           _ZN4vllm3moe17topkGatingSoftmaxIfLi1ELi1ELi8ELi4ELb1ELi1ELNS0_23SharedExpertScoringFuncE1EEEvPKT_PKbPfiPiS9_iiiiii
    .private_segment_fixed_size: 0
    .sgpr_count:     18
    .sgpr_spill_count: 0
    .symbol:         _ZN4vllm3moe17topkGatingSoftmaxIfLi1ELi1ELi8ELi4ELb1ELi1ELNS0_23SharedExpertScoringFuncE1EEEvPKT_PKbPfiPiS9_iiiiii.kd
    .uniform_work_group_size: 1
    .uses_dynamic_stack: false
    .vgpr_count:     18
    .vgpr_spill_count: 0
    .wavefront_size: 32
    .workgroup_processor_mode: 1
  - .args:
      - .address_space:  global
        .offset:         0
        .size:           8
        .value_kind:     global_buffer
      - .address_space:  global
        .offset:         8
        .size:           8
        .value_kind:     global_buffer
      - .address_space:  global
        .offset:         16
        .size:           8
        .value_kind:     global_buffer
      - .offset:         24
        .size:           4
        .value_kind:     by_value
      - .address_space:  global
        .offset:         32
        .size:           8
        .value_kind:     global_buffer
      - .address_space:  global
        .offset:         40
        .size:           8
        .value_kind:     global_buffer
      - .offset:         48
        .size:           4
        .value_kind:     by_value
      - .offset:         52
        .size:           4
        .value_kind:     by_value
      - .offset:         56
        .size:           4
        .value_kind:     by_value
      - .offset:         60
        .size:           4
        .value_kind:     by_value
      - .offset:         64
        .size:           4
        .value_kind:     by_value
      - .offset:         68
        .size:           4
        .value_kind:     by_value
    .group_segment_fixed_size: 0
    .kernarg_segment_align: 8
    .kernarg_segment_size: 72
    .language:       OpenCL C
    .language_version:
      - 2
      - 0
    .max_flat_workgroup_size: 256
    .name:           _ZN4vllm3moe17topkGatingSoftmaxIfLi1ELi1ELi8ELi4ELb0ELi1ELNS0_23SharedExpertScoringFuncE1EEEvPKT_PKbPfiPiS9_iiiiii
    .private_segment_fixed_size: 0
    .sgpr_count:     18
    .sgpr_spill_count: 0
    .symbol:         _ZN4vllm3moe17topkGatingSoftmaxIfLi1ELi1ELi8ELi4ELb0ELi1ELNS0_23SharedExpertScoringFuncE1EEEvPKT_PKbPfiPiS9_iiiiii.kd
    .uniform_work_group_size: 1
    .uses_dynamic_stack: false
    .vgpr_count:     17
    .vgpr_spill_count: 0
    .wavefront_size: 32
    .workgroup_processor_mode: 1
  - .args:
      - .address_space:  global
        .offset:         0
        .size:           8
        .value_kind:     global_buffer
      - .address_space:  global
        .offset:         8
        .size:           8
        .value_kind:     global_buffer
      - .address_space:  global
        .offset:         16
        .size:           8
        .value_kind:     global_buffer
      - .offset:         24
        .size:           4
        .value_kind:     by_value
      - .address_space:  global
        .offset:         32
        .size:           8
        .value_kind:     global_buffer
      - .address_space:  global
        .offset:         40
        .size:           8
        .value_kind:     global_buffer
      - .offset:         48
        .size:           4
        .value_kind:     by_value
      - .offset:         52
        .size:           4
        .value_kind:     by_value
      - .offset:         56
        .size:           4
        .value_kind:     by_value
      - .offset:         60
        .size:           4
        .value_kind:     by_value
      - .offset:         64
        .size:           4
        .value_kind:     by_value
      - .offset:         68
        .size:           4
        .value_kind:     by_value
    .group_segment_fixed_size: 0
    .kernarg_segment_align: 8
    .kernarg_segment_size: 72
    .language:       OpenCL C
    .language_version:
      - 2
      - 0
    .max_flat_workgroup_size: 256
    .name:           _ZN4vllm3moe17topkGatingSoftmaxIfLi1ELi1ELi8ELi4ELb1ELi2ELNS0_23SharedExpertScoringFuncE1EEEvPKT_PKbPfiPiS9_iiiiii
    .private_segment_fixed_size: 0
    .sgpr_count:     18
    .sgpr_spill_count: 0
    .symbol:         _ZN4vllm3moe17topkGatingSoftmaxIfLi1ELi1ELi8ELi4ELb1ELi2ELNS0_23SharedExpertScoringFuncE1EEEvPKT_PKbPfiPiS9_iiiiii.kd
    .uniform_work_group_size: 1
    .uses_dynamic_stack: false
    .vgpr_count:     18
    .vgpr_spill_count: 0
    .wavefront_size: 32
    .workgroup_processor_mode: 1
  - .args:
      - .address_space:  global
        .offset:         0
        .size:           8
        .value_kind:     global_buffer
      - .address_space:  global
        .offset:         8
        .size:           8
        .value_kind:     global_buffer
      - .address_space:  global
        .offset:         16
        .size:           8
        .value_kind:     global_buffer
      - .offset:         24
        .size:           4
        .value_kind:     by_value
      - .address_space:  global
        .offset:         32
        .size:           8
        .value_kind:     global_buffer
      - .address_space:  global
        .offset:         40
        .size:           8
        .value_kind:     global_buffer
      - .offset:         48
        .size:           4
        .value_kind:     by_value
      - .offset:         52
        .size:           4
        .value_kind:     by_value
      - .offset:         56
        .size:           4
        .value_kind:     by_value
      - .offset:         60
        .size:           4
        .value_kind:     by_value
      - .offset:         64
        .size:           4
        .value_kind:     by_value
      - .offset:         68
        .size:           4
        .value_kind:     by_value
    .group_segment_fixed_size: 0
    .kernarg_segment_align: 8
    .kernarg_segment_size: 72
    .language:       OpenCL C
    .language_version:
      - 2
      - 0
    .max_flat_workgroup_size: 256
    .name:           _ZN4vllm3moe17topkGatingSoftmaxIfLi1ELi1ELi8ELi4ELb0ELi2ELNS0_23SharedExpertScoringFuncE1EEEvPKT_PKbPfiPiS9_iiiiii
    .private_segment_fixed_size: 0
    .sgpr_count:     18
    .sgpr_spill_count: 0
    .symbol:         _ZN4vllm3moe17topkGatingSoftmaxIfLi1ELi1ELi8ELi4ELb0ELi2ELNS0_23SharedExpertScoringFuncE1EEEvPKT_PKbPfiPiS9_iiiiii.kd
    .uniform_work_group_size: 1
    .uses_dynamic_stack: false
    .vgpr_count:     17
    .vgpr_spill_count: 0
    .wavefront_size: 32
    .workgroup_processor_mode: 1
  - .args:
      - .address_space:  global
        .offset:         0
        .size:           8
        .value_kind:     global_buffer
      - .address_space:  global
        .offset:         8
        .size:           8
        .value_kind:     global_buffer
      - .address_space:  global
        .offset:         16
        .size:           8
        .value_kind:     global_buffer
      - .offset:         24
        .size:           4
        .value_kind:     by_value
      - .address_space:  global
        .offset:         32
        .size:           8
        .value_kind:     global_buffer
      - .address_space:  global
        .offset:         40
        .size:           8
        .value_kind:     global_buffer
      - .offset:         48
        .size:           4
        .value_kind:     by_value
      - .offset:         52
        .size:           4
        .value_kind:     by_value
      - .offset:         56
        .size:           4
        .value_kind:     by_value
      - .offset:         60
        .size:           4
        .value_kind:     by_value
      - .offset:         64
        .size:           4
        .value_kind:     by_value
      - .offset:         68
        .size:           4
        .value_kind:     by_value
    .group_segment_fixed_size: 0
    .kernarg_segment_align: 8
    .kernarg_segment_size: 72
    .language:       OpenCL C
    .language_version:
      - 2
      - 0
    .max_flat_workgroup_size: 256
    .name:           _ZN4vllm3moe17topkGatingSoftmaxIfLi1ELi1ELi8ELi4ELb1ELi4ELNS0_23SharedExpertScoringFuncE1EEEvPKT_PKbPfiPiS9_iiiiii
    .private_segment_fixed_size: 0
    .sgpr_count:     18
    .sgpr_spill_count: 0
    .symbol:         _ZN4vllm3moe17topkGatingSoftmaxIfLi1ELi1ELi8ELi4ELb1ELi4ELNS0_23SharedExpertScoringFuncE1EEEvPKT_PKbPfiPiS9_iiiiii.kd
    .uniform_work_group_size: 1
    .uses_dynamic_stack: false
    .vgpr_count:     18
    .vgpr_spill_count: 0
    .wavefront_size: 32
    .workgroup_processor_mode: 1
  - .args:
      - .address_space:  global
        .offset:         0
        .size:           8
        .value_kind:     global_buffer
      - .address_space:  global
        .offset:         8
        .size:           8
        .value_kind:     global_buffer
      - .address_space:  global
        .offset:         16
        .size:           8
        .value_kind:     global_buffer
      - .offset:         24
        .size:           4
        .value_kind:     by_value
      - .address_space:  global
        .offset:         32
        .size:           8
        .value_kind:     global_buffer
      - .address_space:  global
        .offset:         40
        .size:           8
        .value_kind:     global_buffer
      - .offset:         48
        .size:           4
        .value_kind:     by_value
      - .offset:         52
        .size:           4
        .value_kind:     by_value
      - .offset:         56
        .size:           4
        .value_kind:     by_value
      - .offset:         60
        .size:           4
        .value_kind:     by_value
      - .offset:         64
        .size:           4
        .value_kind:     by_value
      - .offset:         68
        .size:           4
        .value_kind:     by_value
    .group_segment_fixed_size: 0
    .kernarg_segment_align: 8
    .kernarg_segment_size: 72
    .language:       OpenCL C
    .language_version:
      - 2
      - 0
    .max_flat_workgroup_size: 256
    .name:           _ZN4vllm3moe17topkGatingSoftmaxIfLi1ELi1ELi8ELi4ELb0ELi4ELNS0_23SharedExpertScoringFuncE1EEEvPKT_PKbPfiPiS9_iiiiii
    .private_segment_fixed_size: 0
    .sgpr_count:     18
    .sgpr_spill_count: 0
    .symbol:         _ZN4vllm3moe17topkGatingSoftmaxIfLi1ELi1ELi8ELi4ELb0ELi4ELNS0_23SharedExpertScoringFuncE1EEEvPKT_PKbPfiPiS9_iiiiii.kd
    .uniform_work_group_size: 1
    .uses_dynamic_stack: false
    .vgpr_count:     17
    .vgpr_spill_count: 0
    .wavefront_size: 32
    .workgroup_processor_mode: 1
  - .args:
      - .address_space:  global
        .offset:         0
        .size:           8
        .value_kind:     global_buffer
      - .address_space:  global
        .offset:         8
        .size:           8
        .value_kind:     global_buffer
      - .address_space:  global
        .offset:         16
        .size:           8
        .value_kind:     global_buffer
      - .offset:         24
        .size:           4
        .value_kind:     by_value
      - .address_space:  global
        .offset:         32
        .size:           8
        .value_kind:     global_buffer
      - .address_space:  global
        .offset:         40
        .size:           8
        .value_kind:     global_buffer
      - .offset:         48
        .size:           4
        .value_kind:     by_value
      - .offset:         52
        .size:           4
        .value_kind:     by_value
      - .offset:         56
        .size:           4
        .value_kind:     by_value
      - .offset:         60
        .size:           4
        .value_kind:     by_value
      - .offset:         64
        .size:           4
        .value_kind:     by_value
      - .offset:         68
        .size:           4
        .value_kind:     by_value
    .group_segment_fixed_size: 0
    .kernarg_segment_align: 8
    .kernarg_segment_size: 72
    .language:       OpenCL C
    .language_version:
      - 2
      - 0
    .max_flat_workgroup_size: 256
    .name:           _ZN4vllm3moe17topkGatingSoftmaxIfLi1ELi1ELi8ELi4ELb1ELi8ELNS0_23SharedExpertScoringFuncE1EEEvPKT_PKbPfiPiS9_iiiiii
    .private_segment_fixed_size: 0
    .sgpr_count:     18
    .sgpr_spill_count: 0
    .symbol:         _ZN4vllm3moe17topkGatingSoftmaxIfLi1ELi1ELi8ELi4ELb1ELi8ELNS0_23SharedExpertScoringFuncE1EEEvPKT_PKbPfiPiS9_iiiiii.kd
    .uniform_work_group_size: 1
    .uses_dynamic_stack: false
    .vgpr_count:     18
    .vgpr_spill_count: 0
    .wavefront_size: 32
    .workgroup_processor_mode: 1
  - .args:
      - .address_space:  global
        .offset:         0
        .size:           8
        .value_kind:     global_buffer
      - .address_space:  global
        .offset:         8
        .size:           8
        .value_kind:     global_buffer
      - .address_space:  global
        .offset:         16
        .size:           8
        .value_kind:     global_buffer
      - .offset:         24
        .size:           4
        .value_kind:     by_value
      - .address_space:  global
        .offset:         32
        .size:           8
        .value_kind:     global_buffer
      - .address_space:  global
        .offset:         40
        .size:           8
        .value_kind:     global_buffer
      - .offset:         48
        .size:           4
        .value_kind:     by_value
      - .offset:         52
        .size:           4
        .value_kind:     by_value
      - .offset:         56
        .size:           4
        .value_kind:     by_value
      - .offset:         60
        .size:           4
        .value_kind:     by_value
      - .offset:         64
        .size:           4
        .value_kind:     by_value
      - .offset:         68
        .size:           4
        .value_kind:     by_value
    .group_segment_fixed_size: 0
    .kernarg_segment_align: 8
    .kernarg_segment_size: 72
    .language:       OpenCL C
    .language_version:
      - 2
      - 0
    .max_flat_workgroup_size: 256
    .name:           _ZN4vllm3moe17topkGatingSoftmaxIfLi1ELi1ELi8ELi4ELb0ELi8ELNS0_23SharedExpertScoringFuncE1EEEvPKT_PKbPfiPiS9_iiiiii
    .private_segment_fixed_size: 0
    .sgpr_count:     18
    .sgpr_spill_count: 0
    .symbol:         _ZN4vllm3moe17topkGatingSoftmaxIfLi1ELi1ELi8ELi4ELb0ELi8ELNS0_23SharedExpertScoringFuncE1EEEvPKT_PKbPfiPiS9_iiiiii.kd
    .uniform_work_group_size: 1
    .uses_dynamic_stack: false
    .vgpr_count:     17
    .vgpr_spill_count: 0
    .wavefront_size: 32
    .workgroup_processor_mode: 1
  - .args:
      - .address_space:  global
        .offset:         0
        .size:           8
        .value_kind:     global_buffer
      - .address_space:  global
        .offset:         8
        .size:           8
        .value_kind:     global_buffer
      - .address_space:  global
        .offset:         16
        .size:           8
        .value_kind:     global_buffer
      - .offset:         24
        .size:           4
        .value_kind:     by_value
      - .address_space:  global
        .offset:         32
        .size:           8
        .value_kind:     global_buffer
      - .address_space:  global
        .offset:         40
        .size:           8
        .value_kind:     global_buffer
      - .offset:         48
        .size:           4
        .value_kind:     by_value
      - .offset:         52
        .size:           4
        .value_kind:     by_value
      - .offset:         56
        .size:           4
        .value_kind:     by_value
      - .offset:         60
        .size:           4
        .value_kind:     by_value
      - .offset:         64
        .size:           4
        .value_kind:     by_value
      - .offset:         68
        .size:           4
        .value_kind:     by_value
    .group_segment_fixed_size: 0
    .kernarg_segment_align: 8
    .kernarg_segment_size: 72
    .language:       OpenCL C
    .language_version:
      - 2
      - 0
    .max_flat_workgroup_size: 256
    .name:           _ZN4vllm3moe17topkGatingSoftmaxIfLi2ELi2ELi8ELi8ELb1ELi0ELNS0_23SharedExpertScoringFuncE0EEEvPKT_PKbPfiPiS9_iiiiii
    .private_segment_fixed_size: 0
    .sgpr_count:     24
    .sgpr_spill_count: 0
    .symbol:         _ZN4vllm3moe17topkGatingSoftmaxIfLi2ELi2ELi8ELi8ELb1ELi0ELNS0_23SharedExpertScoringFuncE0EEEvPKT_PKbPfiPiS9_iiiiii.kd
    .uniform_work_group_size: 1
    .uses_dynamic_stack: false
    .vgpr_count:     20
    .vgpr_spill_count: 0
    .wavefront_size: 32
    .workgroup_processor_mode: 1
  - .args:
      - .address_space:  global
        .offset:         0
        .size:           8
        .value_kind:     global_buffer
      - .address_space:  global
        .offset:         8
        .size:           8
        .value_kind:     global_buffer
      - .address_space:  global
        .offset:         16
        .size:           8
        .value_kind:     global_buffer
      - .offset:         24
        .size:           4
        .value_kind:     by_value
      - .address_space:  global
        .offset:         32
        .size:           8
        .value_kind:     global_buffer
      - .address_space:  global
        .offset:         40
        .size:           8
        .value_kind:     global_buffer
      - .offset:         48
        .size:           4
        .value_kind:     by_value
      - .offset:         52
        .size:           4
        .value_kind:     by_value
      - .offset:         56
        .size:           4
        .value_kind:     by_value
      - .offset:         60
        .size:           4
        .value_kind:     by_value
      - .offset:         64
        .size:           4
        .value_kind:     by_value
      - .offset:         68
        .size:           4
        .value_kind:     by_value
    .group_segment_fixed_size: 0
    .kernarg_segment_align: 8
    .kernarg_segment_size: 72
    .language:       OpenCL C
    .language_version:
      - 2
      - 0
    .max_flat_workgroup_size: 256
    .name:           _ZN4vllm3moe17topkGatingSoftmaxIfLi2ELi2ELi8ELi8ELb0ELi0ELNS0_23SharedExpertScoringFuncE0EEEvPKT_PKbPfiPiS9_iiiiii
    .private_segment_fixed_size: 0
    .sgpr_count:     19
    .sgpr_spill_count: 0
    .symbol:         _ZN4vllm3moe17topkGatingSoftmaxIfLi2ELi2ELi8ELi8ELb0ELi0ELNS0_23SharedExpertScoringFuncE0EEEvPKT_PKbPfiPiS9_iiiiii.kd
    .uniform_work_group_size: 1
    .uses_dynamic_stack: false
    .vgpr_count:     20
    .vgpr_spill_count: 0
    .wavefront_size: 32
    .workgroup_processor_mode: 1
  - .args:
      - .address_space:  global
        .offset:         0
        .size:           8
        .value_kind:     global_buffer
      - .address_space:  global
        .offset:         8
        .size:           8
        .value_kind:     global_buffer
      - .address_space:  global
        .offset:         16
        .size:           8
        .value_kind:     global_buffer
      - .offset:         24
        .size:           4
        .value_kind:     by_value
      - .address_space:  global
        .offset:         32
        .size:           8
        .value_kind:     global_buffer
      - .address_space:  global
        .offset:         40
        .size:           8
        .value_kind:     global_buffer
      - .offset:         48
        .size:           4
        .value_kind:     by_value
      - .offset:         52
        .size:           4
        .value_kind:     by_value
      - .offset:         56
        .size:           4
        .value_kind:     by_value
      - .offset:         60
        .size:           4
        .value_kind:     by_value
      - .offset:         64
        .size:           4
        .value_kind:     by_value
      - .offset:         68
        .size:           4
        .value_kind:     by_value
    .group_segment_fixed_size: 0
    .kernarg_segment_align: 8
    .kernarg_segment_size: 72
    .language:       OpenCL C
    .language_version:
      - 2
      - 0
    .max_flat_workgroup_size: 256
    .name:           _ZN4vllm3moe17topkGatingSoftmaxIfLi2ELi2ELi8ELi8ELb1ELi1ELNS0_23SharedExpertScoringFuncE1EEEvPKT_PKbPfiPiS9_iiiiii
    .private_segment_fixed_size: 0
    .sgpr_count:     19
    .sgpr_spill_count: 0
    .symbol:         _ZN4vllm3moe17topkGatingSoftmaxIfLi2ELi2ELi8ELi8ELb1ELi1ELNS0_23SharedExpertScoringFuncE1EEEvPKT_PKbPfiPiS9_iiiiii.kd
    .uniform_work_group_size: 1
    .uses_dynamic_stack: false
    .vgpr_count:     20
    .vgpr_spill_count: 0
    .wavefront_size: 32
    .workgroup_processor_mode: 1
  - .args:
      - .address_space:  global
        .offset:         0
        .size:           8
        .value_kind:     global_buffer
      - .address_space:  global
        .offset:         8
        .size:           8
        .value_kind:     global_buffer
      - .address_space:  global
        .offset:         16
        .size:           8
        .value_kind:     global_buffer
      - .offset:         24
        .size:           4
        .value_kind:     by_value
      - .address_space:  global
        .offset:         32
        .size:           8
        .value_kind:     global_buffer
      - .address_space:  global
        .offset:         40
        .size:           8
        .value_kind:     global_buffer
      - .offset:         48
        .size:           4
        .value_kind:     by_value
      - .offset:         52
        .size:           4
        .value_kind:     by_value
      - .offset:         56
        .size:           4
        .value_kind:     by_value
      - .offset:         60
        .size:           4
        .value_kind:     by_value
      - .offset:         64
        .size:           4
        .value_kind:     by_value
      - .offset:         68
        .size:           4
        .value_kind:     by_value
    .group_segment_fixed_size: 0
    .kernarg_segment_align: 8
    .kernarg_segment_size: 72
    .language:       OpenCL C
    .language_version:
      - 2
      - 0
    .max_flat_workgroup_size: 256
    .name:           _ZN4vllm3moe17topkGatingSoftmaxIfLi2ELi2ELi8ELi8ELb0ELi1ELNS0_23SharedExpertScoringFuncE1EEEvPKT_PKbPfiPiS9_iiiiii
    .private_segment_fixed_size: 0
    .sgpr_count:     19
    .sgpr_spill_count: 0
    .symbol:         _ZN4vllm3moe17topkGatingSoftmaxIfLi2ELi2ELi8ELi8ELb0ELi1ELNS0_23SharedExpertScoringFuncE1EEEvPKT_PKbPfiPiS9_iiiiii.kd
    .uniform_work_group_size: 1
    .uses_dynamic_stack: false
    .vgpr_count:     21
    .vgpr_spill_count: 0
    .wavefront_size: 32
    .workgroup_processor_mode: 1
  - .args:
      - .address_space:  global
        .offset:         0
        .size:           8
        .value_kind:     global_buffer
      - .address_space:  global
        .offset:         8
        .size:           8
        .value_kind:     global_buffer
      - .address_space:  global
        .offset:         16
        .size:           8
        .value_kind:     global_buffer
      - .offset:         24
        .size:           4
        .value_kind:     by_value
      - .address_space:  global
        .offset:         32
        .size:           8
        .value_kind:     global_buffer
      - .address_space:  global
        .offset:         40
        .size:           8
        .value_kind:     global_buffer
      - .offset:         48
        .size:           4
        .value_kind:     by_value
      - .offset:         52
        .size:           4
        .value_kind:     by_value
      - .offset:         56
        .size:           4
        .value_kind:     by_value
      - .offset:         60
        .size:           4
        .value_kind:     by_value
      - .offset:         64
        .size:           4
        .value_kind:     by_value
      - .offset:         68
        .size:           4
        .value_kind:     by_value
    .group_segment_fixed_size: 0
    .kernarg_segment_align: 8
    .kernarg_segment_size: 72
    .language:       OpenCL C
    .language_version:
      - 2
      - 0
    .max_flat_workgroup_size: 256
    .name:           _ZN4vllm3moe17topkGatingSoftmaxIfLi2ELi2ELi8ELi8ELb1ELi2ELNS0_23SharedExpertScoringFuncE1EEEvPKT_PKbPfiPiS9_iiiiii
    .private_segment_fixed_size: 0
    .sgpr_count:     19
    .sgpr_spill_count: 0
    .symbol:         _ZN4vllm3moe17topkGatingSoftmaxIfLi2ELi2ELi8ELi8ELb1ELi2ELNS0_23SharedExpertScoringFuncE1EEEvPKT_PKbPfiPiS9_iiiiii.kd
    .uniform_work_group_size: 1
    .uses_dynamic_stack: false
    .vgpr_count:     20
    .vgpr_spill_count: 0
    .wavefront_size: 32
    .workgroup_processor_mode: 1
  - .args:
      - .address_space:  global
        .offset:         0
        .size:           8
        .value_kind:     global_buffer
      - .address_space:  global
        .offset:         8
        .size:           8
        .value_kind:     global_buffer
      - .address_space:  global
        .offset:         16
        .size:           8
        .value_kind:     global_buffer
      - .offset:         24
        .size:           4
        .value_kind:     by_value
      - .address_space:  global
        .offset:         32
        .size:           8
        .value_kind:     global_buffer
      - .address_space:  global
        .offset:         40
        .size:           8
        .value_kind:     global_buffer
      - .offset:         48
        .size:           4
        .value_kind:     by_value
      - .offset:         52
        .size:           4
        .value_kind:     by_value
      - .offset:         56
        .size:           4
        .value_kind:     by_value
      - .offset:         60
        .size:           4
        .value_kind:     by_value
      - .offset:         64
        .size:           4
        .value_kind:     by_value
      - .offset:         68
        .size:           4
        .value_kind:     by_value
    .group_segment_fixed_size: 0
    .kernarg_segment_align: 8
    .kernarg_segment_size: 72
    .language:       OpenCL C
    .language_version:
      - 2
      - 0
    .max_flat_workgroup_size: 256
    .name:           _ZN4vllm3moe17topkGatingSoftmaxIfLi2ELi2ELi8ELi8ELb0ELi2ELNS0_23SharedExpertScoringFuncE1EEEvPKT_PKbPfiPiS9_iiiiii
    .private_segment_fixed_size: 0
    .sgpr_count:     19
    .sgpr_spill_count: 0
    .symbol:         _ZN4vllm3moe17topkGatingSoftmaxIfLi2ELi2ELi8ELi8ELb0ELi2ELNS0_23SharedExpertScoringFuncE1EEEvPKT_PKbPfiPiS9_iiiiii.kd
    .uniform_work_group_size: 1
    .uses_dynamic_stack: false
    .vgpr_count:     21
    .vgpr_spill_count: 0
    .wavefront_size: 32
    .workgroup_processor_mode: 1
  - .args:
      - .address_space:  global
        .offset:         0
        .size:           8
        .value_kind:     global_buffer
      - .address_space:  global
        .offset:         8
        .size:           8
        .value_kind:     global_buffer
      - .address_space:  global
        .offset:         16
        .size:           8
        .value_kind:     global_buffer
      - .offset:         24
        .size:           4
        .value_kind:     by_value
      - .address_space:  global
        .offset:         32
        .size:           8
        .value_kind:     global_buffer
      - .address_space:  global
        .offset:         40
        .size:           8
        .value_kind:     global_buffer
      - .offset:         48
        .size:           4
        .value_kind:     by_value
      - .offset:         52
        .size:           4
        .value_kind:     by_value
      - .offset:         56
        .size:           4
        .value_kind:     by_value
      - .offset:         60
        .size:           4
        .value_kind:     by_value
      - .offset:         64
        .size:           4
        .value_kind:     by_value
      - .offset:         68
        .size:           4
        .value_kind:     by_value
    .group_segment_fixed_size: 0
    .kernarg_segment_align: 8
    .kernarg_segment_size: 72
    .language:       OpenCL C
    .language_version:
      - 2
      - 0
    .max_flat_workgroup_size: 256
    .name:           _ZN4vllm3moe17topkGatingSoftmaxIfLi2ELi2ELi8ELi8ELb1ELi4ELNS0_23SharedExpertScoringFuncE1EEEvPKT_PKbPfiPiS9_iiiiii
    .private_segment_fixed_size: 0
    .sgpr_count:     19
    .sgpr_spill_count: 0
    .symbol:         _ZN4vllm3moe17topkGatingSoftmaxIfLi2ELi2ELi8ELi8ELb1ELi4ELNS0_23SharedExpertScoringFuncE1EEEvPKT_PKbPfiPiS9_iiiiii.kd
    .uniform_work_group_size: 1
    .uses_dynamic_stack: false
    .vgpr_count:     20
    .vgpr_spill_count: 0
    .wavefront_size: 32
    .workgroup_processor_mode: 1
  - .args:
      - .address_space:  global
        .offset:         0
        .size:           8
        .value_kind:     global_buffer
      - .address_space:  global
        .offset:         8
        .size:           8
        .value_kind:     global_buffer
      - .address_space:  global
        .offset:         16
        .size:           8
        .value_kind:     global_buffer
      - .offset:         24
        .size:           4
        .value_kind:     by_value
      - .address_space:  global
        .offset:         32
        .size:           8
        .value_kind:     global_buffer
      - .address_space:  global
        .offset:         40
        .size:           8
        .value_kind:     global_buffer
      - .offset:         48
        .size:           4
        .value_kind:     by_value
      - .offset:         52
        .size:           4
        .value_kind:     by_value
      - .offset:         56
        .size:           4
        .value_kind:     by_value
      - .offset:         60
        .size:           4
        .value_kind:     by_value
      - .offset:         64
        .size:           4
        .value_kind:     by_value
      - .offset:         68
        .size:           4
        .value_kind:     by_value
    .group_segment_fixed_size: 0
    .kernarg_segment_align: 8
    .kernarg_segment_size: 72
    .language:       OpenCL C
    .language_version:
      - 2
      - 0
    .max_flat_workgroup_size: 256
    .name:           _ZN4vllm3moe17topkGatingSoftmaxIfLi2ELi2ELi8ELi8ELb0ELi4ELNS0_23SharedExpertScoringFuncE1EEEvPKT_PKbPfiPiS9_iiiiii
    .private_segment_fixed_size: 0
    .sgpr_count:     19
    .sgpr_spill_count: 0
    .symbol:         _ZN4vllm3moe17topkGatingSoftmaxIfLi2ELi2ELi8ELi8ELb0ELi4ELNS0_23SharedExpertScoringFuncE1EEEvPKT_PKbPfiPiS9_iiiiii.kd
    .uniform_work_group_size: 1
    .uses_dynamic_stack: false
    .vgpr_count:     21
    .vgpr_spill_count: 0
    .wavefront_size: 32
    .workgroup_processor_mode: 1
  - .args:
      - .address_space:  global
        .offset:         0
        .size:           8
        .value_kind:     global_buffer
      - .address_space:  global
        .offset:         8
        .size:           8
        .value_kind:     global_buffer
      - .address_space:  global
        .offset:         16
        .size:           8
        .value_kind:     global_buffer
      - .offset:         24
        .size:           4
        .value_kind:     by_value
      - .address_space:  global
        .offset:         32
        .size:           8
        .value_kind:     global_buffer
      - .address_space:  global
        .offset:         40
        .size:           8
        .value_kind:     global_buffer
      - .offset:         48
        .size:           4
        .value_kind:     by_value
      - .offset:         52
        .size:           4
        .value_kind:     by_value
      - .offset:         56
        .size:           4
        .value_kind:     by_value
      - .offset:         60
        .size:           4
        .value_kind:     by_value
      - .offset:         64
        .size:           4
        .value_kind:     by_value
      - .offset:         68
        .size:           4
        .value_kind:     by_value
    .group_segment_fixed_size: 0
    .kernarg_segment_align: 8
    .kernarg_segment_size: 72
    .language:       OpenCL C
    .language_version:
      - 2
      - 0
    .max_flat_workgroup_size: 256
    .name:           _ZN4vllm3moe17topkGatingSoftmaxIfLi2ELi2ELi8ELi8ELb1ELi8ELNS0_23SharedExpertScoringFuncE1EEEvPKT_PKbPfiPiS9_iiiiii
    .private_segment_fixed_size: 0
    .sgpr_count:     19
    .sgpr_spill_count: 0
    .symbol:         _ZN4vllm3moe17topkGatingSoftmaxIfLi2ELi2ELi8ELi8ELb1ELi8ELNS0_23SharedExpertScoringFuncE1EEEvPKT_PKbPfiPiS9_iiiiii.kd
    .uniform_work_group_size: 1
    .uses_dynamic_stack: false
    .vgpr_count:     20
    .vgpr_spill_count: 0
    .wavefront_size: 32
    .workgroup_processor_mode: 1
  - .args:
      - .address_space:  global
        .offset:         0
        .size:           8
        .value_kind:     global_buffer
      - .address_space:  global
        .offset:         8
        .size:           8
        .value_kind:     global_buffer
      - .address_space:  global
        .offset:         16
        .size:           8
        .value_kind:     global_buffer
      - .offset:         24
        .size:           4
        .value_kind:     by_value
      - .address_space:  global
        .offset:         32
        .size:           8
        .value_kind:     global_buffer
      - .address_space:  global
        .offset:         40
        .size:           8
        .value_kind:     global_buffer
      - .offset:         48
        .size:           4
        .value_kind:     by_value
      - .offset:         52
        .size:           4
        .value_kind:     by_value
      - .offset:         56
        .size:           4
        .value_kind:     by_value
      - .offset:         60
        .size:           4
        .value_kind:     by_value
      - .offset:         64
        .size:           4
        .value_kind:     by_value
      - .offset:         68
        .size:           4
        .value_kind:     by_value
    .group_segment_fixed_size: 0
    .kernarg_segment_align: 8
    .kernarg_segment_size: 72
    .language:       OpenCL C
    .language_version:
      - 2
      - 0
    .max_flat_workgroup_size: 256
    .name:           _ZN4vllm3moe17topkGatingSoftmaxIfLi2ELi2ELi8ELi8ELb0ELi8ELNS0_23SharedExpertScoringFuncE1EEEvPKT_PKbPfiPiS9_iiiiii
    .private_segment_fixed_size: 0
    .sgpr_count:     19
    .sgpr_spill_count: 0
    .symbol:         _ZN4vllm3moe17topkGatingSoftmaxIfLi2ELi2ELi8ELi8ELb0ELi8ELNS0_23SharedExpertScoringFuncE1EEEvPKT_PKbPfiPiS9_iiiiii.kd
    .uniform_work_group_size: 1
    .uses_dynamic_stack: false
    .vgpr_count:     21
    .vgpr_spill_count: 0
    .wavefront_size: 32
    .workgroup_processor_mode: 1
  - .args:
      - .address_space:  global
        .offset:         0
        .size:           8
        .value_kind:     global_buffer
      - .address_space:  global
        .offset:         8
        .size:           8
        .value_kind:     global_buffer
      - .address_space:  global
        .offset:         16
        .size:           8
        .value_kind:     global_buffer
      - .offset:         24
        .size:           4
        .value_kind:     by_value
      - .address_space:  global
        .offset:         32
        .size:           8
        .value_kind:     global_buffer
      - .address_space:  global
        .offset:         40
        .size:           8
        .value_kind:     global_buffer
      - .offset:         48
        .size:           4
        .value_kind:     by_value
      - .offset:         52
        .size:           4
        .value_kind:     by_value
      - .offset:         56
        .size:           4
        .value_kind:     by_value
      - .offset:         60
        .size:           4
        .value_kind:     by_value
      - .offset:         64
        .size:           4
        .value_kind:     by_value
      - .offset:         68
        .size:           4
        .value_kind:     by_value
    .group_segment_fixed_size: 0
    .kernarg_segment_align: 8
    .kernarg_segment_size: 72
    .language:       OpenCL C
    .language_version:
      - 2
      - 0
    .max_flat_workgroup_size: 256
    .name:           _ZN4vllm3moe17topkGatingSoftmaxIfLi4ELi4ELi8ELi16ELb1ELi0ELNS0_23SharedExpertScoringFuncE0EEEvPKT_PKbPfiPiS9_iiiiii
    .private_segment_fixed_size: 0
    .sgpr_count:     22
    .sgpr_spill_count: 0
    .symbol:         _ZN4vllm3moe17topkGatingSoftmaxIfLi4ELi4ELi8ELi16ELb1ELi0ELNS0_23SharedExpertScoringFuncE0EEEvPKT_PKbPfiPiS9_iiiiii.kd
    .uniform_work_group_size: 1
    .uses_dynamic_stack: false
    .vgpr_count:     21
    .vgpr_spill_count: 0
    .wavefront_size: 32
    .workgroup_processor_mode: 1
  - .args:
      - .address_space:  global
        .offset:         0
        .size:           8
        .value_kind:     global_buffer
      - .address_space:  global
        .offset:         8
        .size:           8
        .value_kind:     global_buffer
      - .address_space:  global
        .offset:         16
        .size:           8
        .value_kind:     global_buffer
      - .offset:         24
        .size:           4
        .value_kind:     by_value
      - .address_space:  global
        .offset:         32
        .size:           8
        .value_kind:     global_buffer
      - .address_space:  global
        .offset:         40
        .size:           8
        .value_kind:     global_buffer
      - .offset:         48
        .size:           4
        .value_kind:     by_value
      - .offset:         52
        .size:           4
        .value_kind:     by_value
      - .offset:         56
        .size:           4
        .value_kind:     by_value
      - .offset:         60
        .size:           4
        .value_kind:     by_value
      - .offset:         64
        .size:           4
        .value_kind:     by_value
      - .offset:         68
        .size:           4
        .value_kind:     by_value
    .group_segment_fixed_size: 0
    .kernarg_segment_align: 8
    .kernarg_segment_size: 72
    .language:       OpenCL C
    .language_version:
      - 2
      - 0
    .max_flat_workgroup_size: 256
    .name:           _ZN4vllm3moe17topkGatingSoftmaxIfLi4ELi4ELi8ELi16ELb0ELi0ELNS0_23SharedExpertScoringFuncE0EEEvPKT_PKbPfiPiS9_iiiiii
    .private_segment_fixed_size: 0
    .sgpr_count:     20
    .sgpr_spill_count: 0
    .symbol:         _ZN4vllm3moe17topkGatingSoftmaxIfLi4ELi4ELi8ELi16ELb0ELi0ELNS0_23SharedExpertScoringFuncE0EEEvPKT_PKbPfiPiS9_iiiiii.kd
    .uniform_work_group_size: 1
    .uses_dynamic_stack: false
    .vgpr_count:     22
    .vgpr_spill_count: 0
    .wavefront_size: 32
    .workgroup_processor_mode: 1
  - .args:
      - .address_space:  global
        .offset:         0
        .size:           8
        .value_kind:     global_buffer
      - .address_space:  global
        .offset:         8
        .size:           8
        .value_kind:     global_buffer
      - .address_space:  global
        .offset:         16
        .size:           8
        .value_kind:     global_buffer
      - .offset:         24
        .size:           4
        .value_kind:     by_value
      - .address_space:  global
        .offset:         32
        .size:           8
        .value_kind:     global_buffer
      - .address_space:  global
        .offset:         40
        .size:           8
        .value_kind:     global_buffer
      - .offset:         48
        .size:           4
        .value_kind:     by_value
      - .offset:         52
        .size:           4
        .value_kind:     by_value
      - .offset:         56
        .size:           4
        .value_kind:     by_value
      - .offset:         60
        .size:           4
        .value_kind:     by_value
      - .offset:         64
        .size:           4
        .value_kind:     by_value
      - .offset:         68
        .size:           4
        .value_kind:     by_value
    .group_segment_fixed_size: 0
    .kernarg_segment_align: 8
    .kernarg_segment_size: 72
    .language:       OpenCL C
    .language_version:
      - 2
      - 0
    .max_flat_workgroup_size: 256
    .name:           _ZN4vllm3moe17topkGatingSoftmaxIfLi4ELi4ELi8ELi16ELb1ELi1ELNS0_23SharedExpertScoringFuncE1EEEvPKT_PKbPfiPiS9_iiiiii
    .private_segment_fixed_size: 0
    .sgpr_count:     18
    .sgpr_spill_count: 0
    .symbol:         _ZN4vllm3moe17topkGatingSoftmaxIfLi4ELi4ELi8ELi16ELb1ELi1ELNS0_23SharedExpertScoringFuncE1EEEvPKT_PKbPfiPiS9_iiiiii.kd
    .uniform_work_group_size: 1
    .uses_dynamic_stack: false
    .vgpr_count:     22
    .vgpr_spill_count: 0
    .wavefront_size: 32
    .workgroup_processor_mode: 1
  - .args:
      - .address_space:  global
        .offset:         0
        .size:           8
        .value_kind:     global_buffer
      - .address_space:  global
        .offset:         8
        .size:           8
        .value_kind:     global_buffer
      - .address_space:  global
        .offset:         16
        .size:           8
        .value_kind:     global_buffer
      - .offset:         24
        .size:           4
        .value_kind:     by_value
      - .address_space:  global
        .offset:         32
        .size:           8
        .value_kind:     global_buffer
      - .address_space:  global
        .offset:         40
        .size:           8
        .value_kind:     global_buffer
      - .offset:         48
        .size:           4
        .value_kind:     by_value
      - .offset:         52
        .size:           4
        .value_kind:     by_value
      - .offset:         56
        .size:           4
        .value_kind:     by_value
      - .offset:         60
        .size:           4
        .value_kind:     by_value
      - .offset:         64
        .size:           4
        .value_kind:     by_value
      - .offset:         68
        .size:           4
        .value_kind:     by_value
    .group_segment_fixed_size: 0
    .kernarg_segment_align: 8
    .kernarg_segment_size: 72
    .language:       OpenCL C
    .language_version:
      - 2
      - 0
    .max_flat_workgroup_size: 256
    .name:           _ZN4vllm3moe17topkGatingSoftmaxIfLi4ELi4ELi8ELi16ELb0ELi1ELNS0_23SharedExpertScoringFuncE1EEEvPKT_PKbPfiPiS9_iiiiii
    .private_segment_fixed_size: 0
    .sgpr_count:     19
    .sgpr_spill_count: 0
    .symbol:         _ZN4vllm3moe17topkGatingSoftmaxIfLi4ELi4ELi8ELi16ELb0ELi1ELNS0_23SharedExpertScoringFuncE1EEEvPKT_PKbPfiPiS9_iiiiii.kd
    .uniform_work_group_size: 1
    .uses_dynamic_stack: false
    .vgpr_count:     23
    .vgpr_spill_count: 0
    .wavefront_size: 32
    .workgroup_processor_mode: 1
  - .args:
      - .address_space:  global
        .offset:         0
        .size:           8
        .value_kind:     global_buffer
      - .address_space:  global
        .offset:         8
        .size:           8
        .value_kind:     global_buffer
      - .address_space:  global
        .offset:         16
        .size:           8
        .value_kind:     global_buffer
      - .offset:         24
        .size:           4
        .value_kind:     by_value
      - .address_space:  global
        .offset:         32
        .size:           8
        .value_kind:     global_buffer
      - .address_space:  global
        .offset:         40
        .size:           8
        .value_kind:     global_buffer
      - .offset:         48
        .size:           4
        .value_kind:     by_value
      - .offset:         52
        .size:           4
        .value_kind:     by_value
      - .offset:         56
        .size:           4
        .value_kind:     by_value
      - .offset:         60
        .size:           4
        .value_kind:     by_value
      - .offset:         64
        .size:           4
        .value_kind:     by_value
      - .offset:         68
        .size:           4
        .value_kind:     by_value
    .group_segment_fixed_size: 0
    .kernarg_segment_align: 8
    .kernarg_segment_size: 72
    .language:       OpenCL C
    .language_version:
      - 2
      - 0
    .max_flat_workgroup_size: 256
    .name:           _ZN4vllm3moe17topkGatingSoftmaxIfLi4ELi4ELi8ELi16ELb1ELi2ELNS0_23SharedExpertScoringFuncE1EEEvPKT_PKbPfiPiS9_iiiiii
    .private_segment_fixed_size: 0
    .sgpr_count:     18
    .sgpr_spill_count: 0
    .symbol:         _ZN4vllm3moe17topkGatingSoftmaxIfLi4ELi4ELi8ELi16ELb1ELi2ELNS0_23SharedExpertScoringFuncE1EEEvPKT_PKbPfiPiS9_iiiiii.kd
    .uniform_work_group_size: 1
    .uses_dynamic_stack: false
    .vgpr_count:     22
    .vgpr_spill_count: 0
    .wavefront_size: 32
    .workgroup_processor_mode: 1
  - .args:
      - .address_space:  global
        .offset:         0
        .size:           8
        .value_kind:     global_buffer
      - .address_space:  global
        .offset:         8
        .size:           8
        .value_kind:     global_buffer
      - .address_space:  global
        .offset:         16
        .size:           8
        .value_kind:     global_buffer
      - .offset:         24
        .size:           4
        .value_kind:     by_value
      - .address_space:  global
        .offset:         32
        .size:           8
        .value_kind:     global_buffer
      - .address_space:  global
        .offset:         40
        .size:           8
        .value_kind:     global_buffer
      - .offset:         48
        .size:           4
        .value_kind:     by_value
      - .offset:         52
        .size:           4
        .value_kind:     by_value
      - .offset:         56
        .size:           4
        .value_kind:     by_value
      - .offset:         60
        .size:           4
        .value_kind:     by_value
      - .offset:         64
        .size:           4
        .value_kind:     by_value
      - .offset:         68
        .size:           4
        .value_kind:     by_value
    .group_segment_fixed_size: 0
    .kernarg_segment_align: 8
    .kernarg_segment_size: 72
    .language:       OpenCL C
    .language_version:
      - 2
      - 0
    .max_flat_workgroup_size: 256
    .name:           _ZN4vllm3moe17topkGatingSoftmaxIfLi4ELi4ELi8ELi16ELb0ELi2ELNS0_23SharedExpertScoringFuncE1EEEvPKT_PKbPfiPiS9_iiiiii
    .private_segment_fixed_size: 0
    .sgpr_count:     19
    .sgpr_spill_count: 0
    .symbol:         _ZN4vllm3moe17topkGatingSoftmaxIfLi4ELi4ELi8ELi16ELb0ELi2ELNS0_23SharedExpertScoringFuncE1EEEvPKT_PKbPfiPiS9_iiiiii.kd
    .uniform_work_group_size: 1
    .uses_dynamic_stack: false
    .vgpr_count:     23
    .vgpr_spill_count: 0
    .wavefront_size: 32
    .workgroup_processor_mode: 1
  - .args:
      - .address_space:  global
        .offset:         0
        .size:           8
        .value_kind:     global_buffer
      - .address_space:  global
        .offset:         8
        .size:           8
        .value_kind:     global_buffer
      - .address_space:  global
        .offset:         16
        .size:           8
        .value_kind:     global_buffer
      - .offset:         24
        .size:           4
        .value_kind:     by_value
      - .address_space:  global
        .offset:         32
        .size:           8
        .value_kind:     global_buffer
      - .address_space:  global
        .offset:         40
        .size:           8
        .value_kind:     global_buffer
      - .offset:         48
        .size:           4
        .value_kind:     by_value
      - .offset:         52
        .size:           4
        .value_kind:     by_value
      - .offset:         56
        .size:           4
        .value_kind:     by_value
      - .offset:         60
        .size:           4
        .value_kind:     by_value
      - .offset:         64
        .size:           4
        .value_kind:     by_value
      - .offset:         68
        .size:           4
        .value_kind:     by_value
    .group_segment_fixed_size: 0
    .kernarg_segment_align: 8
    .kernarg_segment_size: 72
    .language:       OpenCL C
    .language_version:
      - 2
      - 0
    .max_flat_workgroup_size: 256
    .name:           _ZN4vllm3moe17topkGatingSoftmaxIfLi4ELi4ELi8ELi16ELb1ELi4ELNS0_23SharedExpertScoringFuncE1EEEvPKT_PKbPfiPiS9_iiiiii
    .private_segment_fixed_size: 0
    .sgpr_count:     18
    .sgpr_spill_count: 0
    .symbol:         _ZN4vllm3moe17topkGatingSoftmaxIfLi4ELi4ELi8ELi16ELb1ELi4ELNS0_23SharedExpertScoringFuncE1EEEvPKT_PKbPfiPiS9_iiiiii.kd
    .uniform_work_group_size: 1
    .uses_dynamic_stack: false
    .vgpr_count:     22
    .vgpr_spill_count: 0
    .wavefront_size: 32
    .workgroup_processor_mode: 1
  - .args:
      - .address_space:  global
        .offset:         0
        .size:           8
        .value_kind:     global_buffer
      - .address_space:  global
        .offset:         8
        .size:           8
        .value_kind:     global_buffer
      - .address_space:  global
        .offset:         16
        .size:           8
        .value_kind:     global_buffer
      - .offset:         24
        .size:           4
        .value_kind:     by_value
      - .address_space:  global
        .offset:         32
        .size:           8
        .value_kind:     global_buffer
      - .address_space:  global
        .offset:         40
        .size:           8
        .value_kind:     global_buffer
      - .offset:         48
        .size:           4
        .value_kind:     by_value
      - .offset:         52
        .size:           4
        .value_kind:     by_value
      - .offset:         56
        .size:           4
        .value_kind:     by_value
      - .offset:         60
        .size:           4
        .value_kind:     by_value
      - .offset:         64
        .size:           4
        .value_kind:     by_value
      - .offset:         68
        .size:           4
        .value_kind:     by_value
    .group_segment_fixed_size: 0
    .kernarg_segment_align: 8
    .kernarg_segment_size: 72
    .language:       OpenCL C
    .language_version:
      - 2
      - 0
    .max_flat_workgroup_size: 256
    .name:           _ZN4vllm3moe17topkGatingSoftmaxIfLi4ELi4ELi8ELi16ELb0ELi4ELNS0_23SharedExpertScoringFuncE1EEEvPKT_PKbPfiPiS9_iiiiii
    .private_segment_fixed_size: 0
    .sgpr_count:     19
    .sgpr_spill_count: 0
    .symbol:         _ZN4vllm3moe17topkGatingSoftmaxIfLi4ELi4ELi8ELi16ELb0ELi4ELNS0_23SharedExpertScoringFuncE1EEEvPKT_PKbPfiPiS9_iiiiii.kd
    .uniform_work_group_size: 1
    .uses_dynamic_stack: false
    .vgpr_count:     23
    .vgpr_spill_count: 0
    .wavefront_size: 32
    .workgroup_processor_mode: 1
  - .args:
      - .address_space:  global
        .offset:         0
        .size:           8
        .value_kind:     global_buffer
      - .address_space:  global
        .offset:         8
        .size:           8
        .value_kind:     global_buffer
      - .address_space:  global
        .offset:         16
        .size:           8
        .value_kind:     global_buffer
      - .offset:         24
        .size:           4
        .value_kind:     by_value
      - .address_space:  global
        .offset:         32
        .size:           8
        .value_kind:     global_buffer
      - .address_space:  global
        .offset:         40
        .size:           8
        .value_kind:     global_buffer
      - .offset:         48
        .size:           4
        .value_kind:     by_value
      - .offset:         52
        .size:           4
        .value_kind:     by_value
      - .offset:         56
        .size:           4
        .value_kind:     by_value
      - .offset:         60
        .size:           4
        .value_kind:     by_value
      - .offset:         64
        .size:           4
        .value_kind:     by_value
      - .offset:         68
        .size:           4
        .value_kind:     by_value
    .group_segment_fixed_size: 0
    .kernarg_segment_align: 8
    .kernarg_segment_size: 72
    .language:       OpenCL C
    .language_version:
      - 2
      - 0
    .max_flat_workgroup_size: 256
    .name:           _ZN4vllm3moe17topkGatingSoftmaxIfLi4ELi4ELi8ELi16ELb1ELi8ELNS0_23SharedExpertScoringFuncE1EEEvPKT_PKbPfiPiS9_iiiiii
    .private_segment_fixed_size: 0
    .sgpr_count:     18
    .sgpr_spill_count: 0
    .symbol:         _ZN4vllm3moe17topkGatingSoftmaxIfLi4ELi4ELi8ELi16ELb1ELi8ELNS0_23SharedExpertScoringFuncE1EEEvPKT_PKbPfiPiS9_iiiiii.kd
    .uniform_work_group_size: 1
    .uses_dynamic_stack: false
    .vgpr_count:     22
    .vgpr_spill_count: 0
    .wavefront_size: 32
    .workgroup_processor_mode: 1
  - .args:
      - .address_space:  global
        .offset:         0
        .size:           8
        .value_kind:     global_buffer
      - .address_space:  global
        .offset:         8
        .size:           8
        .value_kind:     global_buffer
      - .address_space:  global
        .offset:         16
        .size:           8
        .value_kind:     global_buffer
      - .offset:         24
        .size:           4
        .value_kind:     by_value
      - .address_space:  global
        .offset:         32
        .size:           8
        .value_kind:     global_buffer
      - .address_space:  global
        .offset:         40
        .size:           8
        .value_kind:     global_buffer
      - .offset:         48
        .size:           4
        .value_kind:     by_value
      - .offset:         52
        .size:           4
        .value_kind:     by_value
      - .offset:         56
        .size:           4
        .value_kind:     by_value
      - .offset:         60
        .size:           4
        .value_kind:     by_value
      - .offset:         64
        .size:           4
        .value_kind:     by_value
      - .offset:         68
        .size:           4
        .value_kind:     by_value
    .group_segment_fixed_size: 0
    .kernarg_segment_align: 8
    .kernarg_segment_size: 72
    .language:       OpenCL C
    .language_version:
      - 2
      - 0
    .max_flat_workgroup_size: 256
    .name:           _ZN4vllm3moe17topkGatingSoftmaxIfLi4ELi4ELi8ELi16ELb0ELi8ELNS0_23SharedExpertScoringFuncE1EEEvPKT_PKbPfiPiS9_iiiiii
    .private_segment_fixed_size: 0
    .sgpr_count:     19
    .sgpr_spill_count: 0
    .symbol:         _ZN4vllm3moe17topkGatingSoftmaxIfLi4ELi4ELi8ELi16ELb0ELi8ELNS0_23SharedExpertScoringFuncE1EEEvPKT_PKbPfiPiS9_iiiiii.kd
    .uniform_work_group_size: 1
    .uses_dynamic_stack: false
    .vgpr_count:     23
    .vgpr_spill_count: 0
    .wavefront_size: 32
    .workgroup_processor_mode: 1
  - .args:
      - .address_space:  global
        .offset:         0
        .size:           8
        .value_kind:     global_buffer
      - .address_space:  global
        .offset:         8
        .size:           8
        .value_kind:     global_buffer
      - .address_space:  global
        .offset:         16
        .size:           8
        .value_kind:     global_buffer
      - .offset:         24
        .size:           4
        .value_kind:     by_value
      - .address_space:  global
        .offset:         32
        .size:           8
        .value_kind:     global_buffer
      - .address_space:  global
        .offset:         40
        .size:           8
        .value_kind:     global_buffer
      - .offset:         48
        .size:           4
        .value_kind:     by_value
      - .offset:         52
        .size:           4
        .value_kind:     by_value
      - .offset:         56
        .size:           4
        .value_kind:     by_value
      - .offset:         60
        .size:           4
        .value_kind:     by_value
      - .offset:         64
        .size:           4
        .value_kind:     by_value
      - .offset:         68
        .size:           4
        .value_kind:     by_value
    .group_segment_fixed_size: 0
    .kernarg_segment_align: 8
    .kernarg_segment_size: 72
    .language:       OpenCL C
    .language_version:
      - 2
      - 0
    .max_flat_workgroup_size: 256
    .name:           _ZN4vllm3moe17topkGatingSoftmaxIfLi8ELi8ELi8ELi32ELb1ELi0ELNS0_23SharedExpertScoringFuncE0EEEvPKT_PKbPfiPiS9_iiiiii
    .private_segment_fixed_size: 0
    .sgpr_count:     22
    .sgpr_spill_count: 0
    .symbol:         _ZN4vllm3moe17topkGatingSoftmaxIfLi8ELi8ELi8ELi32ELb1ELi0ELNS0_23SharedExpertScoringFuncE0EEEvPKT_PKbPfiPiS9_iiiiii.kd
    .uniform_work_group_size: 1
    .uses_dynamic_stack: false
    .vgpr_count:     25
    .vgpr_spill_count: 0
    .wavefront_size: 32
    .workgroup_processor_mode: 1
  - .args:
      - .address_space:  global
        .offset:         0
        .size:           8
        .value_kind:     global_buffer
      - .address_space:  global
        .offset:         8
        .size:           8
        .value_kind:     global_buffer
      - .address_space:  global
        .offset:         16
        .size:           8
        .value_kind:     global_buffer
      - .offset:         24
        .size:           4
        .value_kind:     by_value
      - .address_space:  global
        .offset:         32
        .size:           8
        .value_kind:     global_buffer
      - .address_space:  global
        .offset:         40
        .size:           8
        .value_kind:     global_buffer
      - .offset:         48
        .size:           4
        .value_kind:     by_value
      - .offset:         52
        .size:           4
        .value_kind:     by_value
      - .offset:         56
        .size:           4
        .value_kind:     by_value
      - .offset:         60
        .size:           4
        .value_kind:     by_value
      - .offset:         64
        .size:           4
        .value_kind:     by_value
      - .offset:         68
        .size:           4
        .value_kind:     by_value
    .group_segment_fixed_size: 0
    .kernarg_segment_align: 8
    .kernarg_segment_size: 72
    .language:       OpenCL C
    .language_version:
      - 2
      - 0
    .max_flat_workgroup_size: 256
    .name:           _ZN4vllm3moe17topkGatingSoftmaxIfLi8ELi8ELi8ELi32ELb0ELi0ELNS0_23SharedExpertScoringFuncE0EEEvPKT_PKbPfiPiS9_iiiiii
    .private_segment_fixed_size: 0
    .sgpr_count:     21
    .sgpr_spill_count: 0
    .symbol:         _ZN4vllm3moe17topkGatingSoftmaxIfLi8ELi8ELi8ELi32ELb0ELi0ELNS0_23SharedExpertScoringFuncE0EEEvPKT_PKbPfiPiS9_iiiiii.kd
    .uniform_work_group_size: 1
    .uses_dynamic_stack: false
    .vgpr_count:     25
    .vgpr_spill_count: 0
    .wavefront_size: 32
    .workgroup_processor_mode: 1
  - .args:
      - .address_space:  global
        .offset:         0
        .size:           8
        .value_kind:     global_buffer
      - .address_space:  global
        .offset:         8
        .size:           8
        .value_kind:     global_buffer
      - .address_space:  global
        .offset:         16
        .size:           8
        .value_kind:     global_buffer
      - .offset:         24
        .size:           4
        .value_kind:     by_value
      - .address_space:  global
        .offset:         32
        .size:           8
        .value_kind:     global_buffer
      - .address_space:  global
        .offset:         40
        .size:           8
        .value_kind:     global_buffer
      - .offset:         48
        .size:           4
        .value_kind:     by_value
      - .offset:         52
        .size:           4
        .value_kind:     by_value
      - .offset:         56
        .size:           4
        .value_kind:     by_value
      - .offset:         60
        .size:           4
        .value_kind:     by_value
      - .offset:         64
        .size:           4
        .value_kind:     by_value
      - .offset:         68
        .size:           4
        .value_kind:     by_value
    .group_segment_fixed_size: 0
    .kernarg_segment_align: 8
    .kernarg_segment_size: 72
    .language:       OpenCL C
    .language_version:
      - 2
      - 0
    .max_flat_workgroup_size: 256
    .name:           _ZN4vllm3moe17topkGatingSoftmaxIfLi8ELi8ELi8ELi32ELb1ELi1ELNS0_23SharedExpertScoringFuncE1EEEvPKT_PKbPfiPiS9_iiiiii
    .private_segment_fixed_size: 0
    .sgpr_count:     18
    .sgpr_spill_count: 0
    .symbol:         _ZN4vllm3moe17topkGatingSoftmaxIfLi8ELi8ELi8ELi32ELb1ELi1ELNS0_23SharedExpertScoringFuncE1EEEvPKT_PKbPfiPiS9_iiiiii.kd
    .uniform_work_group_size: 1
    .uses_dynamic_stack: false
    .vgpr_count:     26
    .vgpr_spill_count: 0
    .wavefront_size: 32
    .workgroup_processor_mode: 1
  - .args:
      - .address_space:  global
        .offset:         0
        .size:           8
        .value_kind:     global_buffer
      - .address_space:  global
        .offset:         8
        .size:           8
        .value_kind:     global_buffer
      - .address_space:  global
        .offset:         16
        .size:           8
        .value_kind:     global_buffer
      - .offset:         24
        .size:           4
        .value_kind:     by_value
      - .address_space:  global
        .offset:         32
        .size:           8
        .value_kind:     global_buffer
      - .address_space:  global
        .offset:         40
        .size:           8
        .value_kind:     global_buffer
      - .offset:         48
        .size:           4
        .value_kind:     by_value
      - .offset:         52
        .size:           4
        .value_kind:     by_value
      - .offset:         56
        .size:           4
        .value_kind:     by_value
      - .offset:         60
        .size:           4
        .value_kind:     by_value
      - .offset:         64
        .size:           4
        .value_kind:     by_value
      - .offset:         68
        .size:           4
        .value_kind:     by_value
    .group_segment_fixed_size: 0
    .kernarg_segment_align: 8
    .kernarg_segment_size: 72
    .language:       OpenCL C
    .language_version:
      - 2
      - 0
    .max_flat_workgroup_size: 256
    .name:           _ZN4vllm3moe17topkGatingSoftmaxIfLi8ELi8ELi8ELi32ELb0ELi1ELNS0_23SharedExpertScoringFuncE1EEEvPKT_PKbPfiPiS9_iiiiii
    .private_segment_fixed_size: 0
    .sgpr_count:     21
    .sgpr_spill_count: 0
    .symbol:         _ZN4vllm3moe17topkGatingSoftmaxIfLi8ELi8ELi8ELi32ELb0ELi1ELNS0_23SharedExpertScoringFuncE1EEEvPKT_PKbPfiPiS9_iiiiii.kd
    .uniform_work_group_size: 1
    .uses_dynamic_stack: false
    .vgpr_count:     26
    .vgpr_spill_count: 0
    .wavefront_size: 32
    .workgroup_processor_mode: 1
  - .args:
      - .address_space:  global
        .offset:         0
        .size:           8
        .value_kind:     global_buffer
      - .address_space:  global
        .offset:         8
        .size:           8
        .value_kind:     global_buffer
      - .address_space:  global
        .offset:         16
        .size:           8
        .value_kind:     global_buffer
      - .offset:         24
        .size:           4
        .value_kind:     by_value
      - .address_space:  global
        .offset:         32
        .size:           8
        .value_kind:     global_buffer
      - .address_space:  global
        .offset:         40
        .size:           8
        .value_kind:     global_buffer
      - .offset:         48
        .size:           4
        .value_kind:     by_value
      - .offset:         52
        .size:           4
        .value_kind:     by_value
      - .offset:         56
        .size:           4
        .value_kind:     by_value
      - .offset:         60
        .size:           4
        .value_kind:     by_value
      - .offset:         64
        .size:           4
        .value_kind:     by_value
      - .offset:         68
        .size:           4
        .value_kind:     by_value
    .group_segment_fixed_size: 0
    .kernarg_segment_align: 8
    .kernarg_segment_size: 72
    .language:       OpenCL C
    .language_version:
      - 2
      - 0
    .max_flat_workgroup_size: 256
    .name:           _ZN4vllm3moe17topkGatingSoftmaxIfLi8ELi8ELi8ELi32ELb1ELi2ELNS0_23SharedExpertScoringFuncE1EEEvPKT_PKbPfiPiS9_iiiiii
    .private_segment_fixed_size: 0
    .sgpr_count:     18
    .sgpr_spill_count: 0
    .symbol:         _ZN4vllm3moe17topkGatingSoftmaxIfLi8ELi8ELi8ELi32ELb1ELi2ELNS0_23SharedExpertScoringFuncE1EEEvPKT_PKbPfiPiS9_iiiiii.kd
    .uniform_work_group_size: 1
    .uses_dynamic_stack: false
    .vgpr_count:     26
    .vgpr_spill_count: 0
    .wavefront_size: 32
    .workgroup_processor_mode: 1
  - .args:
      - .address_space:  global
        .offset:         0
        .size:           8
        .value_kind:     global_buffer
      - .address_space:  global
        .offset:         8
        .size:           8
        .value_kind:     global_buffer
      - .address_space:  global
        .offset:         16
        .size:           8
        .value_kind:     global_buffer
      - .offset:         24
        .size:           4
        .value_kind:     by_value
      - .address_space:  global
        .offset:         32
        .size:           8
        .value_kind:     global_buffer
      - .address_space:  global
        .offset:         40
        .size:           8
        .value_kind:     global_buffer
      - .offset:         48
        .size:           4
        .value_kind:     by_value
      - .offset:         52
        .size:           4
        .value_kind:     by_value
      - .offset:         56
        .size:           4
        .value_kind:     by_value
      - .offset:         60
        .size:           4
        .value_kind:     by_value
      - .offset:         64
        .size:           4
        .value_kind:     by_value
      - .offset:         68
        .size:           4
        .value_kind:     by_value
    .group_segment_fixed_size: 0
    .kernarg_segment_align: 8
    .kernarg_segment_size: 72
    .language:       OpenCL C
    .language_version:
      - 2
      - 0
    .max_flat_workgroup_size: 256
    .name:           _ZN4vllm3moe17topkGatingSoftmaxIfLi8ELi8ELi8ELi32ELb0ELi2ELNS0_23SharedExpertScoringFuncE1EEEvPKT_PKbPfiPiS9_iiiiii
    .private_segment_fixed_size: 0
    .sgpr_count:     21
    .sgpr_spill_count: 0
    .symbol:         _ZN4vllm3moe17topkGatingSoftmaxIfLi8ELi8ELi8ELi32ELb0ELi2ELNS0_23SharedExpertScoringFuncE1EEEvPKT_PKbPfiPiS9_iiiiii.kd
    .uniform_work_group_size: 1
    .uses_dynamic_stack: false
    .vgpr_count:     26
    .vgpr_spill_count: 0
    .wavefront_size: 32
    .workgroup_processor_mode: 1
  - .args:
      - .address_space:  global
        .offset:         0
        .size:           8
        .value_kind:     global_buffer
      - .address_space:  global
        .offset:         8
        .size:           8
        .value_kind:     global_buffer
      - .address_space:  global
        .offset:         16
        .size:           8
        .value_kind:     global_buffer
      - .offset:         24
        .size:           4
        .value_kind:     by_value
      - .address_space:  global
        .offset:         32
        .size:           8
        .value_kind:     global_buffer
      - .address_space:  global
        .offset:         40
        .size:           8
        .value_kind:     global_buffer
      - .offset:         48
        .size:           4
        .value_kind:     by_value
      - .offset:         52
        .size:           4
        .value_kind:     by_value
      - .offset:         56
        .size:           4
        .value_kind:     by_value
      - .offset:         60
        .size:           4
        .value_kind:     by_value
      - .offset:         64
        .size:           4
        .value_kind:     by_value
      - .offset:         68
        .size:           4
        .value_kind:     by_value
    .group_segment_fixed_size: 0
    .kernarg_segment_align: 8
    .kernarg_segment_size: 72
    .language:       OpenCL C
    .language_version:
      - 2
      - 0
    .max_flat_workgroup_size: 256
    .name:           _ZN4vllm3moe17topkGatingSoftmaxIfLi8ELi8ELi8ELi32ELb1ELi4ELNS0_23SharedExpertScoringFuncE1EEEvPKT_PKbPfiPiS9_iiiiii
    .private_segment_fixed_size: 0
    .sgpr_count:     18
    .sgpr_spill_count: 0
    .symbol:         _ZN4vllm3moe17topkGatingSoftmaxIfLi8ELi8ELi8ELi32ELb1ELi4ELNS0_23SharedExpertScoringFuncE1EEEvPKT_PKbPfiPiS9_iiiiii.kd
    .uniform_work_group_size: 1
    .uses_dynamic_stack: false
    .vgpr_count:     26
    .vgpr_spill_count: 0
    .wavefront_size: 32
    .workgroup_processor_mode: 1
  - .args:
      - .address_space:  global
        .offset:         0
        .size:           8
        .value_kind:     global_buffer
      - .address_space:  global
        .offset:         8
        .size:           8
        .value_kind:     global_buffer
      - .address_space:  global
        .offset:         16
        .size:           8
        .value_kind:     global_buffer
      - .offset:         24
        .size:           4
        .value_kind:     by_value
      - .address_space:  global
        .offset:         32
        .size:           8
        .value_kind:     global_buffer
      - .address_space:  global
        .offset:         40
        .size:           8
        .value_kind:     global_buffer
      - .offset:         48
        .size:           4
        .value_kind:     by_value
      - .offset:         52
        .size:           4
        .value_kind:     by_value
      - .offset:         56
        .size:           4
        .value_kind:     by_value
      - .offset:         60
        .size:           4
        .value_kind:     by_value
      - .offset:         64
        .size:           4
        .value_kind:     by_value
      - .offset:         68
        .size:           4
        .value_kind:     by_value
    .group_segment_fixed_size: 0
    .kernarg_segment_align: 8
    .kernarg_segment_size: 72
    .language:       OpenCL C
    .language_version:
      - 2
      - 0
    .max_flat_workgroup_size: 256
    .name:           _ZN4vllm3moe17topkGatingSoftmaxIfLi8ELi8ELi8ELi32ELb0ELi4ELNS0_23SharedExpertScoringFuncE1EEEvPKT_PKbPfiPiS9_iiiiii
    .private_segment_fixed_size: 0
    .sgpr_count:     21
    .sgpr_spill_count: 0
    .symbol:         _ZN4vllm3moe17topkGatingSoftmaxIfLi8ELi8ELi8ELi32ELb0ELi4ELNS0_23SharedExpertScoringFuncE1EEEvPKT_PKbPfiPiS9_iiiiii.kd
    .uniform_work_group_size: 1
    .uses_dynamic_stack: false
    .vgpr_count:     26
    .vgpr_spill_count: 0
    .wavefront_size: 32
    .workgroup_processor_mode: 1
  - .args:
      - .address_space:  global
        .offset:         0
        .size:           8
        .value_kind:     global_buffer
      - .address_space:  global
        .offset:         8
        .size:           8
        .value_kind:     global_buffer
      - .address_space:  global
        .offset:         16
        .size:           8
        .value_kind:     global_buffer
      - .offset:         24
        .size:           4
        .value_kind:     by_value
      - .address_space:  global
        .offset:         32
        .size:           8
        .value_kind:     global_buffer
      - .address_space:  global
        .offset:         40
        .size:           8
        .value_kind:     global_buffer
      - .offset:         48
        .size:           4
        .value_kind:     by_value
      - .offset:         52
        .size:           4
        .value_kind:     by_value
      - .offset:         56
        .size:           4
        .value_kind:     by_value
      - .offset:         60
        .size:           4
        .value_kind:     by_value
      - .offset:         64
        .size:           4
        .value_kind:     by_value
      - .offset:         68
        .size:           4
        .value_kind:     by_value
    .group_segment_fixed_size: 0
    .kernarg_segment_align: 8
    .kernarg_segment_size: 72
    .language:       OpenCL C
    .language_version:
      - 2
      - 0
    .max_flat_workgroup_size: 256
    .name:           _ZN4vllm3moe17topkGatingSoftmaxIfLi8ELi8ELi8ELi32ELb1ELi8ELNS0_23SharedExpertScoringFuncE1EEEvPKT_PKbPfiPiS9_iiiiii
    .private_segment_fixed_size: 0
    .sgpr_count:     18
    .sgpr_spill_count: 0
    .symbol:         _ZN4vllm3moe17topkGatingSoftmaxIfLi8ELi8ELi8ELi32ELb1ELi8ELNS0_23SharedExpertScoringFuncE1EEEvPKT_PKbPfiPiS9_iiiiii.kd
    .uniform_work_group_size: 1
    .uses_dynamic_stack: false
    .vgpr_count:     26
    .vgpr_spill_count: 0
    .wavefront_size: 32
    .workgroup_processor_mode: 1
  - .args:
      - .address_space:  global
        .offset:         0
        .size:           8
        .value_kind:     global_buffer
      - .address_space:  global
        .offset:         8
        .size:           8
        .value_kind:     global_buffer
      - .address_space:  global
        .offset:         16
        .size:           8
        .value_kind:     global_buffer
      - .offset:         24
        .size:           4
        .value_kind:     by_value
      - .address_space:  global
        .offset:         32
        .size:           8
        .value_kind:     global_buffer
      - .address_space:  global
        .offset:         40
        .size:           8
        .value_kind:     global_buffer
      - .offset:         48
        .size:           4
        .value_kind:     by_value
      - .offset:         52
        .size:           4
        .value_kind:     by_value
      - .offset:         56
        .size:           4
        .value_kind:     by_value
      - .offset:         60
        .size:           4
        .value_kind:     by_value
      - .offset:         64
        .size:           4
        .value_kind:     by_value
      - .offset:         68
        .size:           4
        .value_kind:     by_value
    .group_segment_fixed_size: 0
    .kernarg_segment_align: 8
    .kernarg_segment_size: 72
    .language:       OpenCL C
    .language_version:
      - 2
      - 0
    .max_flat_workgroup_size: 256
    .name:           _ZN4vllm3moe17topkGatingSoftmaxIfLi8ELi8ELi8ELi32ELb0ELi8ELNS0_23SharedExpertScoringFuncE1EEEvPKT_PKbPfiPiS9_iiiiii
    .private_segment_fixed_size: 0
    .sgpr_count:     21
    .sgpr_spill_count: 0
    .symbol:         _ZN4vllm3moe17topkGatingSoftmaxIfLi8ELi8ELi8ELi32ELb0ELi8ELNS0_23SharedExpertScoringFuncE1EEEvPKT_PKbPfiPiS9_iiiiii.kd
    .uniform_work_group_size: 1
    .uses_dynamic_stack: false
    .vgpr_count:     26
    .vgpr_spill_count: 0
    .wavefront_size: 32
    .workgroup_processor_mode: 1
  - .args:
      - .address_space:  global
        .offset:         0
        .size:           8
        .value_kind:     global_buffer
      - .address_space:  global
        .offset:         8
        .size:           8
        .value_kind:     global_buffer
      - .address_space:  global
        .offset:         16
        .size:           8
        .value_kind:     global_buffer
      - .offset:         24
        .size:           4
        .value_kind:     by_value
      - .address_space:  global
        .offset:         32
        .size:           8
        .value_kind:     global_buffer
      - .address_space:  global
        .offset:         40
        .size:           8
        .value_kind:     global_buffer
      - .offset:         48
        .size:           4
        .value_kind:     by_value
      - .offset:         52
        .size:           4
        .value_kind:     by_value
      - .offset:         56
        .size:           4
        .value_kind:     by_value
      - .offset:         60
        .size:           4
        .value_kind:     by_value
      - .offset:         64
        .size:           4
        .value_kind:     by_value
      - .offset:         68
        .size:           4
        .value_kind:     by_value
    .group_segment_fixed_size: 0
    .kernarg_segment_align: 8
    .kernarg_segment_size: 72
    .language:       OpenCL C
    .language_version:
      - 2
      - 0
    .max_flat_workgroup_size: 256
    .name:           _ZN4vllm3moe17topkGatingSoftmaxIfLi8ELi16ELi8ELi32ELb1ELi0ELNS0_23SharedExpertScoringFuncE0EEEvPKT_PKbPfiPiS9_iiiiii
    .private_segment_fixed_size: 0
    .sgpr_count:     20
    .sgpr_spill_count: 0
    .symbol:         _ZN4vllm3moe17topkGatingSoftmaxIfLi8ELi16ELi8ELi32ELb1ELi0ELNS0_23SharedExpertScoringFuncE0EEEvPKT_PKbPfiPiS9_iiiiii.kd
    .uniform_work_group_size: 1
    .uses_dynamic_stack: false
    .vgpr_count:     37
    .vgpr_spill_count: 0
    .wavefront_size: 32
    .workgroup_processor_mode: 1
  - .args:
      - .address_space:  global
        .offset:         0
        .size:           8
        .value_kind:     global_buffer
      - .address_space:  global
        .offset:         8
        .size:           8
        .value_kind:     global_buffer
      - .address_space:  global
        .offset:         16
        .size:           8
        .value_kind:     global_buffer
      - .offset:         24
        .size:           4
        .value_kind:     by_value
      - .address_space:  global
        .offset:         32
        .size:           8
        .value_kind:     global_buffer
      - .address_space:  global
        .offset:         40
        .size:           8
        .value_kind:     global_buffer
      - .offset:         48
        .size:           4
        .value_kind:     by_value
      - .offset:         52
        .size:           4
        .value_kind:     by_value
      - .offset:         56
        .size:           4
        .value_kind:     by_value
      - .offset:         60
        .size:           4
        .value_kind:     by_value
      - .offset:         64
        .size:           4
        .value_kind:     by_value
      - .offset:         68
        .size:           4
        .value_kind:     by_value
    .group_segment_fixed_size: 0
    .kernarg_segment_align: 8
    .kernarg_segment_size: 72
    .language:       OpenCL C
    .language_version:
      - 2
      - 0
    .max_flat_workgroup_size: 256
    .name:           _ZN4vllm3moe17topkGatingSoftmaxIfLi8ELi16ELi8ELi32ELb0ELi0ELNS0_23SharedExpertScoringFuncE0EEEvPKT_PKbPfiPiS9_iiiiii
    .private_segment_fixed_size: 0
    .sgpr_count:     21
    .sgpr_spill_count: 0
    .symbol:         _ZN4vllm3moe17topkGatingSoftmaxIfLi8ELi16ELi8ELi32ELb0ELi0ELNS0_23SharedExpertScoringFuncE0EEEvPKT_PKbPfiPiS9_iiiiii.kd
    .uniform_work_group_size: 1
    .uses_dynamic_stack: false
    .vgpr_count:     37
    .vgpr_spill_count: 0
    .wavefront_size: 32
    .workgroup_processor_mode: 1
  - .args:
      - .address_space:  global
        .offset:         0
        .size:           8
        .value_kind:     global_buffer
      - .address_space:  global
        .offset:         8
        .size:           8
        .value_kind:     global_buffer
      - .address_space:  global
        .offset:         16
        .size:           8
        .value_kind:     global_buffer
      - .offset:         24
        .size:           4
        .value_kind:     by_value
      - .address_space:  global
        .offset:         32
        .size:           8
        .value_kind:     global_buffer
      - .address_space:  global
        .offset:         40
        .size:           8
        .value_kind:     global_buffer
      - .offset:         48
        .size:           4
        .value_kind:     by_value
      - .offset:         52
        .size:           4
        .value_kind:     by_value
      - .offset:         56
        .size:           4
        .value_kind:     by_value
      - .offset:         60
        .size:           4
        .value_kind:     by_value
      - .offset:         64
        .size:           4
        .value_kind:     by_value
      - .offset:         68
        .size:           4
        .value_kind:     by_value
    .group_segment_fixed_size: 0
    .kernarg_segment_align: 8
    .kernarg_segment_size: 72
    .language:       OpenCL C
    .language_version:
      - 2
      - 0
    .max_flat_workgroup_size: 256
    .name:           _ZN4vllm3moe17topkGatingSoftmaxIfLi8ELi16ELi8ELi32ELb1ELi1ELNS0_23SharedExpertScoringFuncE1EEEvPKT_PKbPfiPiS9_iiiiii
    .private_segment_fixed_size: 0
    .sgpr_count:     20
    .sgpr_spill_count: 0
    .symbol:         _ZN4vllm3moe17topkGatingSoftmaxIfLi8ELi16ELi8ELi32ELb1ELi1ELNS0_23SharedExpertScoringFuncE1EEEvPKT_PKbPfiPiS9_iiiiii.kd
    .uniform_work_group_size: 1
    .uses_dynamic_stack: false
    .vgpr_count:     37
    .vgpr_spill_count: 0
    .wavefront_size: 32
    .workgroup_processor_mode: 1
  - .args:
      - .address_space:  global
        .offset:         0
        .size:           8
        .value_kind:     global_buffer
      - .address_space:  global
        .offset:         8
        .size:           8
        .value_kind:     global_buffer
      - .address_space:  global
        .offset:         16
        .size:           8
        .value_kind:     global_buffer
      - .offset:         24
        .size:           4
        .value_kind:     by_value
      - .address_space:  global
        .offset:         32
        .size:           8
        .value_kind:     global_buffer
      - .address_space:  global
        .offset:         40
        .size:           8
        .value_kind:     global_buffer
      - .offset:         48
        .size:           4
        .value_kind:     by_value
      - .offset:         52
        .size:           4
        .value_kind:     by_value
      - .offset:         56
        .size:           4
        .value_kind:     by_value
      - .offset:         60
        .size:           4
        .value_kind:     by_value
      - .offset:         64
        .size:           4
        .value_kind:     by_value
      - .offset:         68
        .size:           4
        .value_kind:     by_value
    .group_segment_fixed_size: 0
    .kernarg_segment_align: 8
    .kernarg_segment_size: 72
    .language:       OpenCL C
    .language_version:
      - 2
      - 0
    .max_flat_workgroup_size: 256
    .name:           _ZN4vllm3moe17topkGatingSoftmaxIfLi8ELi16ELi8ELi32ELb0ELi1ELNS0_23SharedExpertScoringFuncE1EEEvPKT_PKbPfiPiS9_iiiiii
    .private_segment_fixed_size: 0
    .sgpr_count:     21
    .sgpr_spill_count: 0
    .symbol:         _ZN4vllm3moe17topkGatingSoftmaxIfLi8ELi16ELi8ELi32ELb0ELi1ELNS0_23SharedExpertScoringFuncE1EEEvPKT_PKbPfiPiS9_iiiiii.kd
    .uniform_work_group_size: 1
    .uses_dynamic_stack: false
    .vgpr_count:     37
    .vgpr_spill_count: 0
    .wavefront_size: 32
    .workgroup_processor_mode: 1
  - .args:
      - .address_space:  global
        .offset:         0
        .size:           8
        .value_kind:     global_buffer
      - .address_space:  global
        .offset:         8
        .size:           8
        .value_kind:     global_buffer
      - .address_space:  global
        .offset:         16
        .size:           8
        .value_kind:     global_buffer
      - .offset:         24
        .size:           4
        .value_kind:     by_value
      - .address_space:  global
        .offset:         32
        .size:           8
        .value_kind:     global_buffer
      - .address_space:  global
        .offset:         40
        .size:           8
        .value_kind:     global_buffer
      - .offset:         48
        .size:           4
        .value_kind:     by_value
      - .offset:         52
        .size:           4
        .value_kind:     by_value
      - .offset:         56
        .size:           4
        .value_kind:     by_value
      - .offset:         60
        .size:           4
        .value_kind:     by_value
      - .offset:         64
        .size:           4
        .value_kind:     by_value
      - .offset:         68
        .size:           4
        .value_kind:     by_value
    .group_segment_fixed_size: 0
    .kernarg_segment_align: 8
    .kernarg_segment_size: 72
    .language:       OpenCL C
    .language_version:
      - 2
      - 0
    .max_flat_workgroup_size: 256
    .name:           _ZN4vllm3moe17topkGatingSoftmaxIfLi8ELi16ELi8ELi32ELb1ELi2ELNS0_23SharedExpertScoringFuncE1EEEvPKT_PKbPfiPiS9_iiiiii
    .private_segment_fixed_size: 0
    .sgpr_count:     20
    .sgpr_spill_count: 0
    .symbol:         _ZN4vllm3moe17topkGatingSoftmaxIfLi8ELi16ELi8ELi32ELb1ELi2ELNS0_23SharedExpertScoringFuncE1EEEvPKT_PKbPfiPiS9_iiiiii.kd
    .uniform_work_group_size: 1
    .uses_dynamic_stack: false
    .vgpr_count:     37
    .vgpr_spill_count: 0
    .wavefront_size: 32
    .workgroup_processor_mode: 1
  - .args:
      - .address_space:  global
        .offset:         0
        .size:           8
        .value_kind:     global_buffer
      - .address_space:  global
        .offset:         8
        .size:           8
        .value_kind:     global_buffer
      - .address_space:  global
        .offset:         16
        .size:           8
        .value_kind:     global_buffer
      - .offset:         24
        .size:           4
        .value_kind:     by_value
      - .address_space:  global
        .offset:         32
        .size:           8
        .value_kind:     global_buffer
      - .address_space:  global
        .offset:         40
        .size:           8
        .value_kind:     global_buffer
      - .offset:         48
        .size:           4
        .value_kind:     by_value
      - .offset:         52
        .size:           4
        .value_kind:     by_value
      - .offset:         56
        .size:           4
        .value_kind:     by_value
      - .offset:         60
        .size:           4
        .value_kind:     by_value
      - .offset:         64
        .size:           4
        .value_kind:     by_value
      - .offset:         68
        .size:           4
        .value_kind:     by_value
    .group_segment_fixed_size: 0
    .kernarg_segment_align: 8
    .kernarg_segment_size: 72
    .language:       OpenCL C
    .language_version:
      - 2
      - 0
    .max_flat_workgroup_size: 256
    .name:           _ZN4vllm3moe17topkGatingSoftmaxIfLi8ELi16ELi8ELi32ELb0ELi2ELNS0_23SharedExpertScoringFuncE1EEEvPKT_PKbPfiPiS9_iiiiii
    .private_segment_fixed_size: 0
    .sgpr_count:     21
    .sgpr_spill_count: 0
    .symbol:         _ZN4vllm3moe17topkGatingSoftmaxIfLi8ELi16ELi8ELi32ELb0ELi2ELNS0_23SharedExpertScoringFuncE1EEEvPKT_PKbPfiPiS9_iiiiii.kd
    .uniform_work_group_size: 1
    .uses_dynamic_stack: false
    .vgpr_count:     37
    .vgpr_spill_count: 0
    .wavefront_size: 32
    .workgroup_processor_mode: 1
  - .args:
      - .address_space:  global
        .offset:         0
        .size:           8
        .value_kind:     global_buffer
      - .address_space:  global
        .offset:         8
        .size:           8
        .value_kind:     global_buffer
      - .address_space:  global
        .offset:         16
        .size:           8
        .value_kind:     global_buffer
      - .offset:         24
        .size:           4
        .value_kind:     by_value
      - .address_space:  global
        .offset:         32
        .size:           8
        .value_kind:     global_buffer
      - .address_space:  global
        .offset:         40
        .size:           8
        .value_kind:     global_buffer
      - .offset:         48
        .size:           4
        .value_kind:     by_value
      - .offset:         52
        .size:           4
        .value_kind:     by_value
      - .offset:         56
        .size:           4
        .value_kind:     by_value
      - .offset:         60
        .size:           4
        .value_kind:     by_value
      - .offset:         64
        .size:           4
        .value_kind:     by_value
      - .offset:         68
        .size:           4
        .value_kind:     by_value
    .group_segment_fixed_size: 0
    .kernarg_segment_align: 8
    .kernarg_segment_size: 72
    .language:       OpenCL C
    .language_version:
      - 2
      - 0
    .max_flat_workgroup_size: 256
    .name:           _ZN4vllm3moe17topkGatingSoftmaxIfLi8ELi16ELi8ELi32ELb1ELi4ELNS0_23SharedExpertScoringFuncE1EEEvPKT_PKbPfiPiS9_iiiiii
    .private_segment_fixed_size: 0
    .sgpr_count:     20
    .sgpr_spill_count: 0
    .symbol:         _ZN4vllm3moe17topkGatingSoftmaxIfLi8ELi16ELi8ELi32ELb1ELi4ELNS0_23SharedExpertScoringFuncE1EEEvPKT_PKbPfiPiS9_iiiiii.kd
    .uniform_work_group_size: 1
    .uses_dynamic_stack: false
    .vgpr_count:     37
    .vgpr_spill_count: 0
    .wavefront_size: 32
    .workgroup_processor_mode: 1
  - .args:
      - .address_space:  global
        .offset:         0
        .size:           8
        .value_kind:     global_buffer
      - .address_space:  global
        .offset:         8
        .size:           8
        .value_kind:     global_buffer
      - .address_space:  global
        .offset:         16
        .size:           8
        .value_kind:     global_buffer
      - .offset:         24
        .size:           4
        .value_kind:     by_value
      - .address_space:  global
        .offset:         32
        .size:           8
        .value_kind:     global_buffer
      - .address_space:  global
        .offset:         40
        .size:           8
        .value_kind:     global_buffer
      - .offset:         48
        .size:           4
        .value_kind:     by_value
      - .offset:         52
        .size:           4
        .value_kind:     by_value
      - .offset:         56
        .size:           4
        .value_kind:     by_value
      - .offset:         60
        .size:           4
        .value_kind:     by_value
      - .offset:         64
        .size:           4
        .value_kind:     by_value
      - .offset:         68
        .size:           4
        .value_kind:     by_value
    .group_segment_fixed_size: 0
    .kernarg_segment_align: 8
    .kernarg_segment_size: 72
    .language:       OpenCL C
    .language_version:
      - 2
      - 0
    .max_flat_workgroup_size: 256
    .name:           _ZN4vllm3moe17topkGatingSoftmaxIfLi8ELi16ELi8ELi32ELb0ELi4ELNS0_23SharedExpertScoringFuncE1EEEvPKT_PKbPfiPiS9_iiiiii
    .private_segment_fixed_size: 0
    .sgpr_count:     21
    .sgpr_spill_count: 0
    .symbol:         _ZN4vllm3moe17topkGatingSoftmaxIfLi8ELi16ELi8ELi32ELb0ELi4ELNS0_23SharedExpertScoringFuncE1EEEvPKT_PKbPfiPiS9_iiiiii.kd
    .uniform_work_group_size: 1
    .uses_dynamic_stack: false
    .vgpr_count:     37
    .vgpr_spill_count: 0
    .wavefront_size: 32
    .workgroup_processor_mode: 1
  - .args:
      - .address_space:  global
        .offset:         0
        .size:           8
        .value_kind:     global_buffer
      - .address_space:  global
        .offset:         8
        .size:           8
        .value_kind:     global_buffer
      - .address_space:  global
        .offset:         16
        .size:           8
        .value_kind:     global_buffer
      - .offset:         24
        .size:           4
        .value_kind:     by_value
      - .address_space:  global
        .offset:         32
        .size:           8
        .value_kind:     global_buffer
      - .address_space:  global
        .offset:         40
        .size:           8
        .value_kind:     global_buffer
      - .offset:         48
        .size:           4
        .value_kind:     by_value
      - .offset:         52
        .size:           4
        .value_kind:     by_value
      - .offset:         56
        .size:           4
        .value_kind:     by_value
      - .offset:         60
        .size:           4
        .value_kind:     by_value
      - .offset:         64
        .size:           4
        .value_kind:     by_value
      - .offset:         68
        .size:           4
        .value_kind:     by_value
    .group_segment_fixed_size: 0
    .kernarg_segment_align: 8
    .kernarg_segment_size: 72
    .language:       OpenCL C
    .language_version:
      - 2
      - 0
    .max_flat_workgroup_size: 256
    .name:           _ZN4vllm3moe17topkGatingSoftmaxIfLi8ELi16ELi8ELi32ELb1ELi8ELNS0_23SharedExpertScoringFuncE1EEEvPKT_PKbPfiPiS9_iiiiii
    .private_segment_fixed_size: 0
    .sgpr_count:     20
    .sgpr_spill_count: 0
    .symbol:         _ZN4vllm3moe17topkGatingSoftmaxIfLi8ELi16ELi8ELi32ELb1ELi8ELNS0_23SharedExpertScoringFuncE1EEEvPKT_PKbPfiPiS9_iiiiii.kd
    .uniform_work_group_size: 1
    .uses_dynamic_stack: false
    .vgpr_count:     37
    .vgpr_spill_count: 0
    .wavefront_size: 32
    .workgroup_processor_mode: 1
  - .args:
      - .address_space:  global
        .offset:         0
        .size:           8
        .value_kind:     global_buffer
      - .address_space:  global
        .offset:         8
        .size:           8
        .value_kind:     global_buffer
      - .address_space:  global
        .offset:         16
        .size:           8
        .value_kind:     global_buffer
      - .offset:         24
        .size:           4
        .value_kind:     by_value
      - .address_space:  global
        .offset:         32
        .size:           8
        .value_kind:     global_buffer
      - .address_space:  global
        .offset:         40
        .size:           8
        .value_kind:     global_buffer
      - .offset:         48
        .size:           4
        .value_kind:     by_value
      - .offset:         52
        .size:           4
        .value_kind:     by_value
      - .offset:         56
        .size:           4
        .value_kind:     by_value
      - .offset:         60
        .size:           4
        .value_kind:     by_value
      - .offset:         64
        .size:           4
        .value_kind:     by_value
      - .offset:         68
        .size:           4
        .value_kind:     by_value
    .group_segment_fixed_size: 0
    .kernarg_segment_align: 8
    .kernarg_segment_size: 72
    .language:       OpenCL C
    .language_version:
      - 2
      - 0
    .max_flat_workgroup_size: 256
    .name:           _ZN4vllm3moe17topkGatingSoftmaxIfLi8ELi16ELi8ELi32ELb0ELi8ELNS0_23SharedExpertScoringFuncE1EEEvPKT_PKbPfiPiS9_iiiiii
    .private_segment_fixed_size: 0
    .sgpr_count:     21
    .sgpr_spill_count: 0
    .symbol:         _ZN4vllm3moe17topkGatingSoftmaxIfLi8ELi16ELi8ELi32ELb0ELi8ELNS0_23SharedExpertScoringFuncE1EEEvPKT_PKbPfiPiS9_iiiiii.kd
    .uniform_work_group_size: 1
    .uses_dynamic_stack: false
    .vgpr_count:     37
    .vgpr_spill_count: 0
    .wavefront_size: 32
    .workgroup_processor_mode: 1
  - .args:
      - .address_space:  global
        .offset:         0
        .size:           8
        .value_kind:     global_buffer
      - .address_space:  global
        .offset:         8
        .size:           8
        .value_kind:     global_buffer
      - .address_space:  global
        .offset:         16
        .size:           8
        .value_kind:     global_buffer
      - .offset:         24
        .size:           4
        .value_kind:     by_value
      - .address_space:  global
        .offset:         32
        .size:           8
        .value_kind:     global_buffer
      - .address_space:  global
        .offset:         40
        .size:           8
        .value_kind:     global_buffer
      - .offset:         48
        .size:           4
        .value_kind:     by_value
      - .offset:         52
        .size:           4
        .value_kind:     by_value
      - .offset:         56
        .size:           4
        .value_kind:     by_value
      - .offset:         60
        .size:           4
        .value_kind:     by_value
      - .offset:         64
        .size:           4
        .value_kind:     by_value
      - .offset:         68
        .size:           4
        .value_kind:     by_value
    .group_segment_fixed_size: 0
    .kernarg_segment_align: 8
    .kernarg_segment_size: 72
    .language:       OpenCL C
    .language_version:
      - 2
      - 0
    .max_flat_workgroup_size: 256
    .name:           _ZN4vllm3moe17topkGatingSoftmaxIfLi8ELi32ELi8ELi32ELb1ELi0ELNS0_23SharedExpertScoringFuncE0EEEvPKT_PKbPfiPiS9_iiiiii
    .private_segment_fixed_size: 0
    .sgpr_count:     21
    .sgpr_spill_count: 0
    .symbol:         _ZN4vllm3moe17topkGatingSoftmaxIfLi8ELi32ELi8ELi32ELb1ELi0ELNS0_23SharedExpertScoringFuncE0EEEvPKT_PKbPfiPiS9_iiiiii.kd
    .uniform_work_group_size: 1
    .uses_dynamic_stack: false
    .vgpr_count:     37
    .vgpr_spill_count: 0
    .wavefront_size: 32
    .workgroup_processor_mode: 1
  - .args:
      - .address_space:  global
        .offset:         0
        .size:           8
        .value_kind:     global_buffer
      - .address_space:  global
        .offset:         8
        .size:           8
        .value_kind:     global_buffer
      - .address_space:  global
        .offset:         16
        .size:           8
        .value_kind:     global_buffer
      - .offset:         24
        .size:           4
        .value_kind:     by_value
      - .address_space:  global
        .offset:         32
        .size:           8
        .value_kind:     global_buffer
      - .address_space:  global
        .offset:         40
        .size:           8
        .value_kind:     global_buffer
      - .offset:         48
        .size:           4
        .value_kind:     by_value
      - .offset:         52
        .size:           4
        .value_kind:     by_value
      - .offset:         56
        .size:           4
        .value_kind:     by_value
      - .offset:         60
        .size:           4
        .value_kind:     by_value
      - .offset:         64
        .size:           4
        .value_kind:     by_value
      - .offset:         68
        .size:           4
        .value_kind:     by_value
    .group_segment_fixed_size: 0
    .kernarg_segment_align: 8
    .kernarg_segment_size: 72
    .language:       OpenCL C
    .language_version:
      - 2
      - 0
    .max_flat_workgroup_size: 256
    .name:           _ZN4vllm3moe17topkGatingSoftmaxIfLi8ELi32ELi8ELi32ELb0ELi0ELNS0_23SharedExpertScoringFuncE0EEEvPKT_PKbPfiPiS9_iiiiii
    .private_segment_fixed_size: 0
    .sgpr_count:     21
    .sgpr_spill_count: 0
    .symbol:         _ZN4vllm3moe17topkGatingSoftmaxIfLi8ELi32ELi8ELi32ELb0ELi0ELNS0_23SharedExpertScoringFuncE0EEEvPKT_PKbPfiPiS9_iiiiii.kd
    .uniform_work_group_size: 1
    .uses_dynamic_stack: false
    .vgpr_count:     37
    .vgpr_spill_count: 0
    .wavefront_size: 32
    .workgroup_processor_mode: 1
  - .args:
      - .address_space:  global
        .offset:         0
        .size:           8
        .value_kind:     global_buffer
      - .address_space:  global
        .offset:         8
        .size:           8
        .value_kind:     global_buffer
      - .address_space:  global
        .offset:         16
        .size:           8
        .value_kind:     global_buffer
      - .offset:         24
        .size:           4
        .value_kind:     by_value
      - .address_space:  global
        .offset:         32
        .size:           8
        .value_kind:     global_buffer
      - .address_space:  global
        .offset:         40
        .size:           8
        .value_kind:     global_buffer
      - .offset:         48
        .size:           4
        .value_kind:     by_value
      - .offset:         52
        .size:           4
        .value_kind:     by_value
      - .offset:         56
        .size:           4
        .value_kind:     by_value
      - .offset:         60
        .size:           4
        .value_kind:     by_value
      - .offset:         64
        .size:           4
        .value_kind:     by_value
      - .offset:         68
        .size:           4
        .value_kind:     by_value
    .group_segment_fixed_size: 0
    .kernarg_segment_align: 8
    .kernarg_segment_size: 72
    .language:       OpenCL C
    .language_version:
      - 2
      - 0
    .max_flat_workgroup_size: 256
    .name:           _ZN4vllm3moe17topkGatingSoftmaxIfLi8ELi32ELi8ELi32ELb1ELi1ELNS0_23SharedExpertScoringFuncE1EEEvPKT_PKbPfiPiS9_iiiiii
    .private_segment_fixed_size: 0
    .sgpr_count:     21
    .sgpr_spill_count: 0
    .symbol:         _ZN4vllm3moe17topkGatingSoftmaxIfLi8ELi32ELi8ELi32ELb1ELi1ELNS0_23SharedExpertScoringFuncE1EEEvPKT_PKbPfiPiS9_iiiiii.kd
    .uniform_work_group_size: 1
    .uses_dynamic_stack: false
    .vgpr_count:     37
    .vgpr_spill_count: 0
    .wavefront_size: 32
    .workgroup_processor_mode: 1
  - .args:
      - .address_space:  global
        .offset:         0
        .size:           8
        .value_kind:     global_buffer
      - .address_space:  global
        .offset:         8
        .size:           8
        .value_kind:     global_buffer
      - .address_space:  global
        .offset:         16
        .size:           8
        .value_kind:     global_buffer
      - .offset:         24
        .size:           4
        .value_kind:     by_value
      - .address_space:  global
        .offset:         32
        .size:           8
        .value_kind:     global_buffer
      - .address_space:  global
        .offset:         40
        .size:           8
        .value_kind:     global_buffer
      - .offset:         48
        .size:           4
        .value_kind:     by_value
      - .offset:         52
        .size:           4
        .value_kind:     by_value
      - .offset:         56
        .size:           4
        .value_kind:     by_value
      - .offset:         60
        .size:           4
        .value_kind:     by_value
      - .offset:         64
        .size:           4
        .value_kind:     by_value
      - .offset:         68
        .size:           4
        .value_kind:     by_value
    .group_segment_fixed_size: 0
    .kernarg_segment_align: 8
    .kernarg_segment_size: 72
    .language:       OpenCL C
    .language_version:
      - 2
      - 0
    .max_flat_workgroup_size: 256
    .name:           _ZN4vllm3moe17topkGatingSoftmaxIfLi8ELi32ELi8ELi32ELb0ELi1ELNS0_23SharedExpertScoringFuncE1EEEvPKT_PKbPfiPiS9_iiiiii
    .private_segment_fixed_size: 0
    .sgpr_count:     21
    .sgpr_spill_count: 0
    .symbol:         _ZN4vllm3moe17topkGatingSoftmaxIfLi8ELi32ELi8ELi32ELb0ELi1ELNS0_23SharedExpertScoringFuncE1EEEvPKT_PKbPfiPiS9_iiiiii.kd
    .uniform_work_group_size: 1
    .uses_dynamic_stack: false
    .vgpr_count:     37
    .vgpr_spill_count: 0
    .wavefront_size: 32
    .workgroup_processor_mode: 1
  - .args:
      - .address_space:  global
        .offset:         0
        .size:           8
        .value_kind:     global_buffer
      - .address_space:  global
        .offset:         8
        .size:           8
        .value_kind:     global_buffer
      - .address_space:  global
        .offset:         16
        .size:           8
        .value_kind:     global_buffer
      - .offset:         24
        .size:           4
        .value_kind:     by_value
      - .address_space:  global
        .offset:         32
        .size:           8
        .value_kind:     global_buffer
      - .address_space:  global
        .offset:         40
        .size:           8
        .value_kind:     global_buffer
      - .offset:         48
        .size:           4
        .value_kind:     by_value
      - .offset:         52
        .size:           4
        .value_kind:     by_value
      - .offset:         56
        .size:           4
        .value_kind:     by_value
      - .offset:         60
        .size:           4
        .value_kind:     by_value
      - .offset:         64
        .size:           4
        .value_kind:     by_value
      - .offset:         68
        .size:           4
        .value_kind:     by_value
    .group_segment_fixed_size: 0
    .kernarg_segment_align: 8
    .kernarg_segment_size: 72
    .language:       OpenCL C
    .language_version:
      - 2
      - 0
    .max_flat_workgroup_size: 256
    .name:           _ZN4vllm3moe17topkGatingSoftmaxIfLi8ELi32ELi8ELi32ELb1ELi2ELNS0_23SharedExpertScoringFuncE1EEEvPKT_PKbPfiPiS9_iiiiii
    .private_segment_fixed_size: 0
    .sgpr_count:     21
    .sgpr_spill_count: 0
    .symbol:         _ZN4vllm3moe17topkGatingSoftmaxIfLi8ELi32ELi8ELi32ELb1ELi2ELNS0_23SharedExpertScoringFuncE1EEEvPKT_PKbPfiPiS9_iiiiii.kd
    .uniform_work_group_size: 1
    .uses_dynamic_stack: false
    .vgpr_count:     37
    .vgpr_spill_count: 0
    .wavefront_size: 32
    .workgroup_processor_mode: 1
  - .args:
      - .address_space:  global
        .offset:         0
        .size:           8
        .value_kind:     global_buffer
      - .address_space:  global
        .offset:         8
        .size:           8
        .value_kind:     global_buffer
      - .address_space:  global
        .offset:         16
        .size:           8
        .value_kind:     global_buffer
      - .offset:         24
        .size:           4
        .value_kind:     by_value
      - .address_space:  global
        .offset:         32
        .size:           8
        .value_kind:     global_buffer
      - .address_space:  global
        .offset:         40
        .size:           8
        .value_kind:     global_buffer
      - .offset:         48
        .size:           4
        .value_kind:     by_value
      - .offset:         52
        .size:           4
        .value_kind:     by_value
      - .offset:         56
        .size:           4
        .value_kind:     by_value
      - .offset:         60
        .size:           4
        .value_kind:     by_value
      - .offset:         64
        .size:           4
        .value_kind:     by_value
      - .offset:         68
        .size:           4
        .value_kind:     by_value
    .group_segment_fixed_size: 0
    .kernarg_segment_align: 8
    .kernarg_segment_size: 72
    .language:       OpenCL C
    .language_version:
      - 2
      - 0
    .max_flat_workgroup_size: 256
    .name:           _ZN4vllm3moe17topkGatingSoftmaxIfLi8ELi32ELi8ELi32ELb0ELi2ELNS0_23SharedExpertScoringFuncE1EEEvPKT_PKbPfiPiS9_iiiiii
    .private_segment_fixed_size: 0
    .sgpr_count:     21
    .sgpr_spill_count: 0
    .symbol:         _ZN4vllm3moe17topkGatingSoftmaxIfLi8ELi32ELi8ELi32ELb0ELi2ELNS0_23SharedExpertScoringFuncE1EEEvPKT_PKbPfiPiS9_iiiiii.kd
    .uniform_work_group_size: 1
    .uses_dynamic_stack: false
    .vgpr_count:     37
    .vgpr_spill_count: 0
    .wavefront_size: 32
    .workgroup_processor_mode: 1
  - .args:
      - .address_space:  global
        .offset:         0
        .size:           8
        .value_kind:     global_buffer
      - .address_space:  global
        .offset:         8
        .size:           8
        .value_kind:     global_buffer
      - .address_space:  global
        .offset:         16
        .size:           8
        .value_kind:     global_buffer
      - .offset:         24
        .size:           4
        .value_kind:     by_value
      - .address_space:  global
        .offset:         32
        .size:           8
        .value_kind:     global_buffer
      - .address_space:  global
        .offset:         40
        .size:           8
        .value_kind:     global_buffer
      - .offset:         48
        .size:           4
        .value_kind:     by_value
      - .offset:         52
        .size:           4
        .value_kind:     by_value
      - .offset:         56
        .size:           4
        .value_kind:     by_value
      - .offset:         60
        .size:           4
        .value_kind:     by_value
      - .offset:         64
        .size:           4
        .value_kind:     by_value
      - .offset:         68
        .size:           4
        .value_kind:     by_value
    .group_segment_fixed_size: 0
    .kernarg_segment_align: 8
    .kernarg_segment_size: 72
    .language:       OpenCL C
    .language_version:
      - 2
      - 0
    .max_flat_workgroup_size: 256
    .name:           _ZN4vllm3moe17topkGatingSoftmaxIfLi8ELi32ELi8ELi32ELb1ELi4ELNS0_23SharedExpertScoringFuncE1EEEvPKT_PKbPfiPiS9_iiiiii
    .private_segment_fixed_size: 0
    .sgpr_count:     21
    .sgpr_spill_count: 0
    .symbol:         _ZN4vllm3moe17topkGatingSoftmaxIfLi8ELi32ELi8ELi32ELb1ELi4ELNS0_23SharedExpertScoringFuncE1EEEvPKT_PKbPfiPiS9_iiiiii.kd
    .uniform_work_group_size: 1
    .uses_dynamic_stack: false
    .vgpr_count:     37
    .vgpr_spill_count: 0
    .wavefront_size: 32
    .workgroup_processor_mode: 1
  - .args:
      - .address_space:  global
        .offset:         0
        .size:           8
        .value_kind:     global_buffer
      - .address_space:  global
        .offset:         8
        .size:           8
        .value_kind:     global_buffer
      - .address_space:  global
        .offset:         16
        .size:           8
        .value_kind:     global_buffer
      - .offset:         24
        .size:           4
        .value_kind:     by_value
      - .address_space:  global
        .offset:         32
        .size:           8
        .value_kind:     global_buffer
      - .address_space:  global
        .offset:         40
        .size:           8
        .value_kind:     global_buffer
      - .offset:         48
        .size:           4
        .value_kind:     by_value
      - .offset:         52
        .size:           4
        .value_kind:     by_value
      - .offset:         56
        .size:           4
        .value_kind:     by_value
      - .offset:         60
        .size:           4
        .value_kind:     by_value
      - .offset:         64
        .size:           4
        .value_kind:     by_value
      - .offset:         68
        .size:           4
        .value_kind:     by_value
    .group_segment_fixed_size: 0
    .kernarg_segment_align: 8
    .kernarg_segment_size: 72
    .language:       OpenCL C
    .language_version:
      - 2
      - 0
    .max_flat_workgroup_size: 256
    .name:           _ZN4vllm3moe17topkGatingSoftmaxIfLi8ELi32ELi8ELi32ELb0ELi4ELNS0_23SharedExpertScoringFuncE1EEEvPKT_PKbPfiPiS9_iiiiii
    .private_segment_fixed_size: 0
    .sgpr_count:     21
    .sgpr_spill_count: 0
    .symbol:         _ZN4vllm3moe17topkGatingSoftmaxIfLi8ELi32ELi8ELi32ELb0ELi4ELNS0_23SharedExpertScoringFuncE1EEEvPKT_PKbPfiPiS9_iiiiii.kd
    .uniform_work_group_size: 1
    .uses_dynamic_stack: false
    .vgpr_count:     37
    .vgpr_spill_count: 0
    .wavefront_size: 32
    .workgroup_processor_mode: 1
  - .args:
      - .address_space:  global
        .offset:         0
        .size:           8
        .value_kind:     global_buffer
      - .address_space:  global
        .offset:         8
        .size:           8
        .value_kind:     global_buffer
      - .address_space:  global
        .offset:         16
        .size:           8
        .value_kind:     global_buffer
      - .offset:         24
        .size:           4
        .value_kind:     by_value
      - .address_space:  global
        .offset:         32
        .size:           8
        .value_kind:     global_buffer
      - .address_space:  global
        .offset:         40
        .size:           8
        .value_kind:     global_buffer
      - .offset:         48
        .size:           4
        .value_kind:     by_value
      - .offset:         52
        .size:           4
        .value_kind:     by_value
      - .offset:         56
        .size:           4
        .value_kind:     by_value
      - .offset:         60
        .size:           4
        .value_kind:     by_value
      - .offset:         64
        .size:           4
        .value_kind:     by_value
      - .offset:         68
        .size:           4
        .value_kind:     by_value
    .group_segment_fixed_size: 0
    .kernarg_segment_align: 8
    .kernarg_segment_size: 72
    .language:       OpenCL C
    .language_version:
      - 2
      - 0
    .max_flat_workgroup_size: 256
    .name:           _ZN4vllm3moe17topkGatingSoftmaxIfLi8ELi32ELi8ELi32ELb1ELi8ELNS0_23SharedExpertScoringFuncE1EEEvPKT_PKbPfiPiS9_iiiiii
    .private_segment_fixed_size: 0
    .sgpr_count:     21
    .sgpr_spill_count: 0
    .symbol:         _ZN4vllm3moe17topkGatingSoftmaxIfLi8ELi32ELi8ELi32ELb1ELi8ELNS0_23SharedExpertScoringFuncE1EEEvPKT_PKbPfiPiS9_iiiiii.kd
    .uniform_work_group_size: 1
    .uses_dynamic_stack: false
    .vgpr_count:     37
    .vgpr_spill_count: 0
    .wavefront_size: 32
    .workgroup_processor_mode: 1
  - .args:
      - .address_space:  global
        .offset:         0
        .size:           8
        .value_kind:     global_buffer
      - .address_space:  global
        .offset:         8
        .size:           8
        .value_kind:     global_buffer
      - .address_space:  global
        .offset:         16
        .size:           8
        .value_kind:     global_buffer
      - .offset:         24
        .size:           4
        .value_kind:     by_value
      - .address_space:  global
        .offset:         32
        .size:           8
        .value_kind:     global_buffer
      - .address_space:  global
        .offset:         40
        .size:           8
        .value_kind:     global_buffer
      - .offset:         48
        .size:           4
        .value_kind:     by_value
      - .offset:         52
        .size:           4
        .value_kind:     by_value
      - .offset:         56
        .size:           4
        .value_kind:     by_value
      - .offset:         60
        .size:           4
        .value_kind:     by_value
      - .offset:         64
        .size:           4
        .value_kind:     by_value
      - .offset:         68
        .size:           4
        .value_kind:     by_value
    .group_segment_fixed_size: 0
    .kernarg_segment_align: 8
    .kernarg_segment_size: 72
    .language:       OpenCL C
    .language_version:
      - 2
      - 0
    .max_flat_workgroup_size: 256
    .name:           _ZN4vllm3moe17topkGatingSoftmaxIfLi8ELi32ELi8ELi32ELb0ELi8ELNS0_23SharedExpertScoringFuncE1EEEvPKT_PKbPfiPiS9_iiiiii
    .private_segment_fixed_size: 0
    .sgpr_count:     21
    .sgpr_spill_count: 0
    .symbol:         _ZN4vllm3moe17topkGatingSoftmaxIfLi8ELi32ELi8ELi32ELb0ELi8ELNS0_23SharedExpertScoringFuncE1EEEvPKT_PKbPfiPiS9_iiiiii.kd
    .uniform_work_group_size: 1
    .uses_dynamic_stack: false
    .vgpr_count:     37
    .vgpr_spill_count: 0
    .wavefront_size: 32
    .workgroup_processor_mode: 1
  - .args:
      - .address_space:  global
        .offset:         0
        .size:           8
        .value_kind:     global_buffer
      - .address_space:  global
        .offset:         8
        .size:           8
        .value_kind:     global_buffer
      - .address_space:  global
        .offset:         16
        .size:           8
        .value_kind:     global_buffer
      - .offset:         24
        .size:           4
        .value_kind:     by_value
      - .address_space:  global
        .offset:         32
        .size:           8
        .value_kind:     global_buffer
      - .address_space:  global
        .offset:         40
        .size:           8
        .value_kind:     global_buffer
      - .offset:         48
        .size:           4
        .value_kind:     by_value
      - .offset:         52
        .size:           4
        .value_kind:     by_value
      - .offset:         56
        .size:           4
        .value_kind:     by_value
      - .offset:         60
        .size:           4
        .value_kind:     by_value
      - .offset:         64
        .size:           4
        .value_kind:     by_value
      - .offset:         68
        .size:           4
        .value_kind:     by_value
    .group_segment_fixed_size: 0
    .kernarg_segment_align: 8
    .kernarg_segment_size: 72
    .language:       OpenCL C
    .language_version:
      - 2
      - 0
    .max_flat_workgroup_size: 256
    .name:           _ZN4vllm3moe17topkGatingSoftmaxIfLi8ELi64ELi8ELi32ELb1ELi0ELNS0_23SharedExpertScoringFuncE0EEEvPKT_PKbPfiPiS9_iiiiii
    .private_segment_fixed_size: 0
    .sgpr_count:     21
    .sgpr_spill_count: 0
    .symbol:         _ZN4vllm3moe17topkGatingSoftmaxIfLi8ELi64ELi8ELi32ELb1ELi0ELNS0_23SharedExpertScoringFuncE0EEEvPKT_PKbPfiPiS9_iiiiii.kd
    .uniform_work_group_size: 1
    .uses_dynamic_stack: false
    .vgpr_count:     37
    .vgpr_spill_count: 0
    .wavefront_size: 32
    .workgroup_processor_mode: 1
  - .args:
      - .address_space:  global
        .offset:         0
        .size:           8
        .value_kind:     global_buffer
      - .address_space:  global
        .offset:         8
        .size:           8
        .value_kind:     global_buffer
      - .address_space:  global
        .offset:         16
        .size:           8
        .value_kind:     global_buffer
      - .offset:         24
        .size:           4
        .value_kind:     by_value
      - .address_space:  global
        .offset:         32
        .size:           8
        .value_kind:     global_buffer
      - .address_space:  global
        .offset:         40
        .size:           8
        .value_kind:     global_buffer
      - .offset:         48
        .size:           4
        .value_kind:     by_value
      - .offset:         52
        .size:           4
        .value_kind:     by_value
      - .offset:         56
        .size:           4
        .value_kind:     by_value
      - .offset:         60
        .size:           4
        .value_kind:     by_value
      - .offset:         64
        .size:           4
        .value_kind:     by_value
      - .offset:         68
        .size:           4
        .value_kind:     by_value
    .group_segment_fixed_size: 0
    .kernarg_segment_align: 8
    .kernarg_segment_size: 72
    .language:       OpenCL C
    .language_version:
      - 2
      - 0
    .max_flat_workgroup_size: 256
    .name:           _ZN4vllm3moe17topkGatingSoftmaxIfLi8ELi64ELi8ELi32ELb0ELi0ELNS0_23SharedExpertScoringFuncE0EEEvPKT_PKbPfiPiS9_iiiiii
    .private_segment_fixed_size: 0
    .sgpr_count:     21
    .sgpr_spill_count: 0
    .symbol:         _ZN4vllm3moe17topkGatingSoftmaxIfLi8ELi64ELi8ELi32ELb0ELi0ELNS0_23SharedExpertScoringFuncE0EEEvPKT_PKbPfiPiS9_iiiiii.kd
    .uniform_work_group_size: 1
    .uses_dynamic_stack: false
    .vgpr_count:     37
    .vgpr_spill_count: 0
    .wavefront_size: 32
    .workgroup_processor_mode: 1
  - .args:
      - .address_space:  global
        .offset:         0
        .size:           8
        .value_kind:     global_buffer
      - .address_space:  global
        .offset:         8
        .size:           8
        .value_kind:     global_buffer
      - .address_space:  global
        .offset:         16
        .size:           8
        .value_kind:     global_buffer
      - .offset:         24
        .size:           4
        .value_kind:     by_value
      - .address_space:  global
        .offset:         32
        .size:           8
        .value_kind:     global_buffer
      - .address_space:  global
        .offset:         40
        .size:           8
        .value_kind:     global_buffer
      - .offset:         48
        .size:           4
        .value_kind:     by_value
      - .offset:         52
        .size:           4
        .value_kind:     by_value
      - .offset:         56
        .size:           4
        .value_kind:     by_value
      - .offset:         60
        .size:           4
        .value_kind:     by_value
      - .offset:         64
        .size:           4
        .value_kind:     by_value
      - .offset:         68
        .size:           4
        .value_kind:     by_value
    .group_segment_fixed_size: 0
    .kernarg_segment_align: 8
    .kernarg_segment_size: 72
    .language:       OpenCL C
    .language_version:
      - 2
      - 0
    .max_flat_workgroup_size: 256
    .name:           _ZN4vllm3moe17topkGatingSoftmaxIfLi8ELi64ELi8ELi32ELb1ELi1ELNS0_23SharedExpertScoringFuncE1EEEvPKT_PKbPfiPiS9_iiiiii
    .private_segment_fixed_size: 0
    .sgpr_count:     21
    .sgpr_spill_count: 0
    .symbol:         _ZN4vllm3moe17topkGatingSoftmaxIfLi8ELi64ELi8ELi32ELb1ELi1ELNS0_23SharedExpertScoringFuncE1EEEvPKT_PKbPfiPiS9_iiiiii.kd
    .uniform_work_group_size: 1
    .uses_dynamic_stack: false
    .vgpr_count:     37
    .vgpr_spill_count: 0
    .wavefront_size: 32
    .workgroup_processor_mode: 1
  - .args:
      - .address_space:  global
        .offset:         0
        .size:           8
        .value_kind:     global_buffer
      - .address_space:  global
        .offset:         8
        .size:           8
        .value_kind:     global_buffer
      - .address_space:  global
        .offset:         16
        .size:           8
        .value_kind:     global_buffer
      - .offset:         24
        .size:           4
        .value_kind:     by_value
      - .address_space:  global
        .offset:         32
        .size:           8
        .value_kind:     global_buffer
      - .address_space:  global
        .offset:         40
        .size:           8
        .value_kind:     global_buffer
      - .offset:         48
        .size:           4
        .value_kind:     by_value
      - .offset:         52
        .size:           4
        .value_kind:     by_value
      - .offset:         56
        .size:           4
        .value_kind:     by_value
      - .offset:         60
        .size:           4
        .value_kind:     by_value
      - .offset:         64
        .size:           4
        .value_kind:     by_value
      - .offset:         68
        .size:           4
        .value_kind:     by_value
    .group_segment_fixed_size: 0
    .kernarg_segment_align: 8
    .kernarg_segment_size: 72
    .language:       OpenCL C
    .language_version:
      - 2
      - 0
    .max_flat_workgroup_size: 256
    .name:           _ZN4vllm3moe17topkGatingSoftmaxIfLi8ELi64ELi8ELi32ELb0ELi1ELNS0_23SharedExpertScoringFuncE1EEEvPKT_PKbPfiPiS9_iiiiii
    .private_segment_fixed_size: 0
    .sgpr_count:     21
    .sgpr_spill_count: 0
    .symbol:         _ZN4vllm3moe17topkGatingSoftmaxIfLi8ELi64ELi8ELi32ELb0ELi1ELNS0_23SharedExpertScoringFuncE1EEEvPKT_PKbPfiPiS9_iiiiii.kd
    .uniform_work_group_size: 1
    .uses_dynamic_stack: false
    .vgpr_count:     37
    .vgpr_spill_count: 0
    .wavefront_size: 32
    .workgroup_processor_mode: 1
  - .args:
      - .address_space:  global
        .offset:         0
        .size:           8
        .value_kind:     global_buffer
      - .address_space:  global
        .offset:         8
        .size:           8
        .value_kind:     global_buffer
      - .address_space:  global
        .offset:         16
        .size:           8
        .value_kind:     global_buffer
      - .offset:         24
        .size:           4
        .value_kind:     by_value
      - .address_space:  global
        .offset:         32
        .size:           8
        .value_kind:     global_buffer
      - .address_space:  global
        .offset:         40
        .size:           8
        .value_kind:     global_buffer
      - .offset:         48
        .size:           4
        .value_kind:     by_value
      - .offset:         52
        .size:           4
        .value_kind:     by_value
      - .offset:         56
        .size:           4
        .value_kind:     by_value
      - .offset:         60
        .size:           4
        .value_kind:     by_value
      - .offset:         64
        .size:           4
        .value_kind:     by_value
      - .offset:         68
        .size:           4
        .value_kind:     by_value
    .group_segment_fixed_size: 0
    .kernarg_segment_align: 8
    .kernarg_segment_size: 72
    .language:       OpenCL C
    .language_version:
      - 2
      - 0
    .max_flat_workgroup_size: 256
    .name:           _ZN4vllm3moe17topkGatingSoftmaxIfLi8ELi64ELi8ELi32ELb1ELi2ELNS0_23SharedExpertScoringFuncE1EEEvPKT_PKbPfiPiS9_iiiiii
    .private_segment_fixed_size: 0
    .sgpr_count:     21
    .sgpr_spill_count: 0
    .symbol:         _ZN4vllm3moe17topkGatingSoftmaxIfLi8ELi64ELi8ELi32ELb1ELi2ELNS0_23SharedExpertScoringFuncE1EEEvPKT_PKbPfiPiS9_iiiiii.kd
    .uniform_work_group_size: 1
    .uses_dynamic_stack: false
    .vgpr_count:     37
    .vgpr_spill_count: 0
    .wavefront_size: 32
    .workgroup_processor_mode: 1
  - .args:
      - .address_space:  global
        .offset:         0
        .size:           8
        .value_kind:     global_buffer
      - .address_space:  global
        .offset:         8
        .size:           8
        .value_kind:     global_buffer
      - .address_space:  global
        .offset:         16
        .size:           8
        .value_kind:     global_buffer
      - .offset:         24
        .size:           4
        .value_kind:     by_value
      - .address_space:  global
        .offset:         32
        .size:           8
        .value_kind:     global_buffer
      - .address_space:  global
        .offset:         40
        .size:           8
        .value_kind:     global_buffer
      - .offset:         48
        .size:           4
        .value_kind:     by_value
      - .offset:         52
        .size:           4
        .value_kind:     by_value
      - .offset:         56
        .size:           4
        .value_kind:     by_value
      - .offset:         60
        .size:           4
        .value_kind:     by_value
      - .offset:         64
        .size:           4
        .value_kind:     by_value
      - .offset:         68
        .size:           4
        .value_kind:     by_value
    .group_segment_fixed_size: 0
    .kernarg_segment_align: 8
    .kernarg_segment_size: 72
    .language:       OpenCL C
    .language_version:
      - 2
      - 0
    .max_flat_workgroup_size: 256
    .name:           _ZN4vllm3moe17topkGatingSoftmaxIfLi8ELi64ELi8ELi32ELb0ELi2ELNS0_23SharedExpertScoringFuncE1EEEvPKT_PKbPfiPiS9_iiiiii
    .private_segment_fixed_size: 0
    .sgpr_count:     21
    .sgpr_spill_count: 0
    .symbol:         _ZN4vllm3moe17topkGatingSoftmaxIfLi8ELi64ELi8ELi32ELb0ELi2ELNS0_23SharedExpertScoringFuncE1EEEvPKT_PKbPfiPiS9_iiiiii.kd
    .uniform_work_group_size: 1
    .uses_dynamic_stack: false
    .vgpr_count:     37
    .vgpr_spill_count: 0
    .wavefront_size: 32
    .workgroup_processor_mode: 1
  - .args:
      - .address_space:  global
        .offset:         0
        .size:           8
        .value_kind:     global_buffer
      - .address_space:  global
        .offset:         8
        .size:           8
        .value_kind:     global_buffer
      - .address_space:  global
        .offset:         16
        .size:           8
        .value_kind:     global_buffer
      - .offset:         24
        .size:           4
        .value_kind:     by_value
      - .address_space:  global
        .offset:         32
        .size:           8
        .value_kind:     global_buffer
      - .address_space:  global
        .offset:         40
        .size:           8
        .value_kind:     global_buffer
      - .offset:         48
        .size:           4
        .value_kind:     by_value
      - .offset:         52
        .size:           4
        .value_kind:     by_value
      - .offset:         56
        .size:           4
        .value_kind:     by_value
      - .offset:         60
        .size:           4
        .value_kind:     by_value
      - .offset:         64
        .size:           4
        .value_kind:     by_value
      - .offset:         68
        .size:           4
        .value_kind:     by_value
    .group_segment_fixed_size: 0
    .kernarg_segment_align: 8
    .kernarg_segment_size: 72
    .language:       OpenCL C
    .language_version:
      - 2
      - 0
    .max_flat_workgroup_size: 256
    .name:           _ZN4vllm3moe17topkGatingSoftmaxIfLi8ELi64ELi8ELi32ELb1ELi4ELNS0_23SharedExpertScoringFuncE1EEEvPKT_PKbPfiPiS9_iiiiii
    .private_segment_fixed_size: 0
    .sgpr_count:     21
    .sgpr_spill_count: 0
    .symbol:         _ZN4vllm3moe17topkGatingSoftmaxIfLi8ELi64ELi8ELi32ELb1ELi4ELNS0_23SharedExpertScoringFuncE1EEEvPKT_PKbPfiPiS9_iiiiii.kd
    .uniform_work_group_size: 1
    .uses_dynamic_stack: false
    .vgpr_count:     37
    .vgpr_spill_count: 0
    .wavefront_size: 32
    .workgroup_processor_mode: 1
  - .args:
      - .address_space:  global
        .offset:         0
        .size:           8
        .value_kind:     global_buffer
      - .address_space:  global
        .offset:         8
        .size:           8
        .value_kind:     global_buffer
      - .address_space:  global
        .offset:         16
        .size:           8
        .value_kind:     global_buffer
      - .offset:         24
        .size:           4
        .value_kind:     by_value
      - .address_space:  global
        .offset:         32
        .size:           8
        .value_kind:     global_buffer
      - .address_space:  global
        .offset:         40
        .size:           8
        .value_kind:     global_buffer
      - .offset:         48
        .size:           4
        .value_kind:     by_value
      - .offset:         52
        .size:           4
        .value_kind:     by_value
      - .offset:         56
        .size:           4
        .value_kind:     by_value
      - .offset:         60
        .size:           4
        .value_kind:     by_value
      - .offset:         64
        .size:           4
        .value_kind:     by_value
      - .offset:         68
        .size:           4
        .value_kind:     by_value
    .group_segment_fixed_size: 0
    .kernarg_segment_align: 8
    .kernarg_segment_size: 72
    .language:       OpenCL C
    .language_version:
      - 2
      - 0
    .max_flat_workgroup_size: 256
    .name:           _ZN4vllm3moe17topkGatingSoftmaxIfLi8ELi64ELi8ELi32ELb0ELi4ELNS0_23SharedExpertScoringFuncE1EEEvPKT_PKbPfiPiS9_iiiiii
    .private_segment_fixed_size: 0
    .sgpr_count:     21
    .sgpr_spill_count: 0
    .symbol:         _ZN4vllm3moe17topkGatingSoftmaxIfLi8ELi64ELi8ELi32ELb0ELi4ELNS0_23SharedExpertScoringFuncE1EEEvPKT_PKbPfiPiS9_iiiiii.kd
    .uniform_work_group_size: 1
    .uses_dynamic_stack: false
    .vgpr_count:     37
    .vgpr_spill_count: 0
    .wavefront_size: 32
    .workgroup_processor_mode: 1
  - .args:
      - .address_space:  global
        .offset:         0
        .size:           8
        .value_kind:     global_buffer
      - .address_space:  global
        .offset:         8
        .size:           8
        .value_kind:     global_buffer
      - .address_space:  global
        .offset:         16
        .size:           8
        .value_kind:     global_buffer
      - .offset:         24
        .size:           4
        .value_kind:     by_value
      - .address_space:  global
        .offset:         32
        .size:           8
        .value_kind:     global_buffer
      - .address_space:  global
        .offset:         40
        .size:           8
        .value_kind:     global_buffer
      - .offset:         48
        .size:           4
        .value_kind:     by_value
      - .offset:         52
        .size:           4
        .value_kind:     by_value
      - .offset:         56
        .size:           4
        .value_kind:     by_value
      - .offset:         60
        .size:           4
        .value_kind:     by_value
      - .offset:         64
        .size:           4
        .value_kind:     by_value
      - .offset:         68
        .size:           4
        .value_kind:     by_value
    .group_segment_fixed_size: 0
    .kernarg_segment_align: 8
    .kernarg_segment_size: 72
    .language:       OpenCL C
    .language_version:
      - 2
      - 0
    .max_flat_workgroup_size: 256
    .name:           _ZN4vllm3moe17topkGatingSoftmaxIfLi8ELi64ELi8ELi32ELb1ELi8ELNS0_23SharedExpertScoringFuncE1EEEvPKT_PKbPfiPiS9_iiiiii
    .private_segment_fixed_size: 0
    .sgpr_count:     21
    .sgpr_spill_count: 0
    .symbol:         _ZN4vllm3moe17topkGatingSoftmaxIfLi8ELi64ELi8ELi32ELb1ELi8ELNS0_23SharedExpertScoringFuncE1EEEvPKT_PKbPfiPiS9_iiiiii.kd
    .uniform_work_group_size: 1
    .uses_dynamic_stack: false
    .vgpr_count:     37
    .vgpr_spill_count: 0
    .wavefront_size: 32
    .workgroup_processor_mode: 1
  - .args:
      - .address_space:  global
        .offset:         0
        .size:           8
        .value_kind:     global_buffer
      - .address_space:  global
        .offset:         8
        .size:           8
        .value_kind:     global_buffer
      - .address_space:  global
        .offset:         16
        .size:           8
        .value_kind:     global_buffer
      - .offset:         24
        .size:           4
        .value_kind:     by_value
      - .address_space:  global
        .offset:         32
        .size:           8
        .value_kind:     global_buffer
      - .address_space:  global
        .offset:         40
        .size:           8
        .value_kind:     global_buffer
      - .offset:         48
        .size:           4
        .value_kind:     by_value
      - .offset:         52
        .size:           4
        .value_kind:     by_value
      - .offset:         56
        .size:           4
        .value_kind:     by_value
      - .offset:         60
        .size:           4
        .value_kind:     by_value
      - .offset:         64
        .size:           4
        .value_kind:     by_value
      - .offset:         68
        .size:           4
        .value_kind:     by_value
    .group_segment_fixed_size: 0
    .kernarg_segment_align: 8
    .kernarg_segment_size: 72
    .language:       OpenCL C
    .language_version:
      - 2
      - 0
    .max_flat_workgroup_size: 256
    .name:           _ZN4vllm3moe17topkGatingSoftmaxIfLi8ELi64ELi8ELi32ELb0ELi8ELNS0_23SharedExpertScoringFuncE1EEEvPKT_PKbPfiPiS9_iiiiii
    .private_segment_fixed_size: 0
    .sgpr_count:     21
    .sgpr_spill_count: 0
    .symbol:         _ZN4vllm3moe17topkGatingSoftmaxIfLi8ELi64ELi8ELi32ELb0ELi8ELNS0_23SharedExpertScoringFuncE1EEEvPKT_PKbPfiPiS9_iiiiii.kd
    .uniform_work_group_size: 1
    .uses_dynamic_stack: false
    .vgpr_count:     37
    .vgpr_spill_count: 0
    .wavefront_size: 32
    .workgroup_processor_mode: 1
  - .args:
      - .address_space:  global
        .offset:         0
        .size:           8
        .value_kind:     global_buffer
      - .address_space:  global
        .offset:         8
        .size:           8
        .value_kind:     global_buffer
      - .address_space:  global
        .offset:         16
        .size:           8
        .value_kind:     global_buffer
      - .offset:         24
        .size:           4
        .value_kind:     by_value
      - .address_space:  global
        .offset:         32
        .size:           8
        .value_kind:     global_buffer
      - .address_space:  global
        .offset:         40
        .size:           8
        .value_kind:     global_buffer
      - .offset:         48
        .size:           4
        .value_kind:     by_value
      - .offset:         52
        .size:           4
        .value_kind:     by_value
      - .offset:         56
        .size:           4
        .value_kind:     by_value
      - .offset:         60
        .size:           4
        .value_kind:     by_value
      - .offset:         64
        .size:           4
        .value_kind:     by_value
      - .offset:         68
        .size:           4
        .value_kind:     by_value
    .group_segment_fixed_size: 0
    .kernarg_segment_align: 8
    .kernarg_segment_size: 72
    .language:       OpenCL C
    .language_version:
      - 2
      - 0
    .max_flat_workgroup_size: 256
    .name:           _ZN4vllm3moe17topkGatingSoftmaxIfLi8ELi128ELi8ELi32ELb1ELi0ELNS0_23SharedExpertScoringFuncE0EEEvPKT_PKbPfiPiS9_iiiiii
    .private_segment_fixed_size: 0
    .sgpr_count:     21
    .sgpr_spill_count: 0
    .symbol:         _ZN4vllm3moe17topkGatingSoftmaxIfLi8ELi128ELi8ELi32ELb1ELi0ELNS0_23SharedExpertScoringFuncE0EEEvPKT_PKbPfiPiS9_iiiiii.kd
    .uniform_work_group_size: 1
    .uses_dynamic_stack: false
    .vgpr_count:     37
    .vgpr_spill_count: 0
    .wavefront_size: 32
    .workgroup_processor_mode: 1
  - .args:
      - .address_space:  global
        .offset:         0
        .size:           8
        .value_kind:     global_buffer
      - .address_space:  global
        .offset:         8
        .size:           8
        .value_kind:     global_buffer
      - .address_space:  global
        .offset:         16
        .size:           8
        .value_kind:     global_buffer
      - .offset:         24
        .size:           4
        .value_kind:     by_value
      - .address_space:  global
        .offset:         32
        .size:           8
        .value_kind:     global_buffer
      - .address_space:  global
        .offset:         40
        .size:           8
        .value_kind:     global_buffer
      - .offset:         48
        .size:           4
        .value_kind:     by_value
      - .offset:         52
        .size:           4
        .value_kind:     by_value
      - .offset:         56
        .size:           4
        .value_kind:     by_value
      - .offset:         60
        .size:           4
        .value_kind:     by_value
      - .offset:         64
        .size:           4
        .value_kind:     by_value
      - .offset:         68
        .size:           4
        .value_kind:     by_value
    .group_segment_fixed_size: 0
    .kernarg_segment_align: 8
    .kernarg_segment_size: 72
    .language:       OpenCL C
    .language_version:
      - 2
      - 0
    .max_flat_workgroup_size: 256
    .name:           _ZN4vllm3moe17topkGatingSoftmaxIfLi8ELi128ELi8ELi32ELb0ELi0ELNS0_23SharedExpertScoringFuncE0EEEvPKT_PKbPfiPiS9_iiiiii
    .private_segment_fixed_size: 0
    .sgpr_count:     21
    .sgpr_spill_count: 0
    .symbol:         _ZN4vllm3moe17topkGatingSoftmaxIfLi8ELi128ELi8ELi32ELb0ELi0ELNS0_23SharedExpertScoringFuncE0EEEvPKT_PKbPfiPiS9_iiiiii.kd
    .uniform_work_group_size: 1
    .uses_dynamic_stack: false
    .vgpr_count:     37
    .vgpr_spill_count: 0
    .wavefront_size: 32
    .workgroup_processor_mode: 1
  - .args:
      - .address_space:  global
        .offset:         0
        .size:           8
        .value_kind:     global_buffer
      - .address_space:  global
        .offset:         8
        .size:           8
        .value_kind:     global_buffer
      - .address_space:  global
        .offset:         16
        .size:           8
        .value_kind:     global_buffer
      - .offset:         24
        .size:           4
        .value_kind:     by_value
      - .address_space:  global
        .offset:         32
        .size:           8
        .value_kind:     global_buffer
      - .address_space:  global
        .offset:         40
        .size:           8
        .value_kind:     global_buffer
      - .offset:         48
        .size:           4
        .value_kind:     by_value
      - .offset:         52
        .size:           4
        .value_kind:     by_value
      - .offset:         56
        .size:           4
        .value_kind:     by_value
      - .offset:         60
        .size:           4
        .value_kind:     by_value
      - .offset:         64
        .size:           4
        .value_kind:     by_value
      - .offset:         68
        .size:           4
        .value_kind:     by_value
    .group_segment_fixed_size: 0
    .kernarg_segment_align: 8
    .kernarg_segment_size: 72
    .language:       OpenCL C
    .language_version:
      - 2
      - 0
    .max_flat_workgroup_size: 256
    .name:           _ZN4vllm3moe17topkGatingSoftmaxIfLi8ELi128ELi8ELi32ELb1ELi1ELNS0_23SharedExpertScoringFuncE1EEEvPKT_PKbPfiPiS9_iiiiii
    .private_segment_fixed_size: 0
    .sgpr_count:     21
    .sgpr_spill_count: 0
    .symbol:         _ZN4vllm3moe17topkGatingSoftmaxIfLi8ELi128ELi8ELi32ELb1ELi1ELNS0_23SharedExpertScoringFuncE1EEEvPKT_PKbPfiPiS9_iiiiii.kd
    .uniform_work_group_size: 1
    .uses_dynamic_stack: false
    .vgpr_count:     37
    .vgpr_spill_count: 0
    .wavefront_size: 32
    .workgroup_processor_mode: 1
  - .args:
      - .address_space:  global
        .offset:         0
        .size:           8
        .value_kind:     global_buffer
      - .address_space:  global
        .offset:         8
        .size:           8
        .value_kind:     global_buffer
      - .address_space:  global
        .offset:         16
        .size:           8
        .value_kind:     global_buffer
      - .offset:         24
        .size:           4
        .value_kind:     by_value
      - .address_space:  global
        .offset:         32
        .size:           8
        .value_kind:     global_buffer
      - .address_space:  global
        .offset:         40
        .size:           8
        .value_kind:     global_buffer
      - .offset:         48
        .size:           4
        .value_kind:     by_value
      - .offset:         52
        .size:           4
        .value_kind:     by_value
      - .offset:         56
        .size:           4
        .value_kind:     by_value
      - .offset:         60
        .size:           4
        .value_kind:     by_value
      - .offset:         64
        .size:           4
        .value_kind:     by_value
      - .offset:         68
        .size:           4
        .value_kind:     by_value
    .group_segment_fixed_size: 0
    .kernarg_segment_align: 8
    .kernarg_segment_size: 72
    .language:       OpenCL C
    .language_version:
      - 2
      - 0
    .max_flat_workgroup_size: 256
    .name:           _ZN4vllm3moe17topkGatingSoftmaxIfLi8ELi128ELi8ELi32ELb0ELi1ELNS0_23SharedExpertScoringFuncE1EEEvPKT_PKbPfiPiS9_iiiiii
    .private_segment_fixed_size: 0
    .sgpr_count:     21
    .sgpr_spill_count: 0
    .symbol:         _ZN4vllm3moe17topkGatingSoftmaxIfLi8ELi128ELi8ELi32ELb0ELi1ELNS0_23SharedExpertScoringFuncE1EEEvPKT_PKbPfiPiS9_iiiiii.kd
    .uniform_work_group_size: 1
    .uses_dynamic_stack: false
    .vgpr_count:     37
    .vgpr_spill_count: 0
    .wavefront_size: 32
    .workgroup_processor_mode: 1
  - .args:
      - .address_space:  global
        .offset:         0
        .size:           8
        .value_kind:     global_buffer
      - .address_space:  global
        .offset:         8
        .size:           8
        .value_kind:     global_buffer
      - .address_space:  global
        .offset:         16
        .size:           8
        .value_kind:     global_buffer
      - .offset:         24
        .size:           4
        .value_kind:     by_value
      - .address_space:  global
        .offset:         32
        .size:           8
        .value_kind:     global_buffer
      - .address_space:  global
        .offset:         40
        .size:           8
        .value_kind:     global_buffer
      - .offset:         48
        .size:           4
        .value_kind:     by_value
      - .offset:         52
        .size:           4
        .value_kind:     by_value
      - .offset:         56
        .size:           4
        .value_kind:     by_value
      - .offset:         60
        .size:           4
        .value_kind:     by_value
      - .offset:         64
        .size:           4
        .value_kind:     by_value
      - .offset:         68
        .size:           4
        .value_kind:     by_value
    .group_segment_fixed_size: 0
    .kernarg_segment_align: 8
    .kernarg_segment_size: 72
    .language:       OpenCL C
    .language_version:
      - 2
      - 0
    .max_flat_workgroup_size: 256
    .name:           _ZN4vllm3moe17topkGatingSoftmaxIfLi8ELi128ELi8ELi32ELb1ELi2ELNS0_23SharedExpertScoringFuncE1EEEvPKT_PKbPfiPiS9_iiiiii
    .private_segment_fixed_size: 0
    .sgpr_count:     21
    .sgpr_spill_count: 0
    .symbol:         _ZN4vllm3moe17topkGatingSoftmaxIfLi8ELi128ELi8ELi32ELb1ELi2ELNS0_23SharedExpertScoringFuncE1EEEvPKT_PKbPfiPiS9_iiiiii.kd
    .uniform_work_group_size: 1
    .uses_dynamic_stack: false
    .vgpr_count:     37
    .vgpr_spill_count: 0
    .wavefront_size: 32
    .workgroup_processor_mode: 1
  - .args:
      - .address_space:  global
        .offset:         0
        .size:           8
        .value_kind:     global_buffer
      - .address_space:  global
        .offset:         8
        .size:           8
        .value_kind:     global_buffer
      - .address_space:  global
        .offset:         16
        .size:           8
        .value_kind:     global_buffer
      - .offset:         24
        .size:           4
        .value_kind:     by_value
      - .address_space:  global
        .offset:         32
        .size:           8
        .value_kind:     global_buffer
      - .address_space:  global
        .offset:         40
        .size:           8
        .value_kind:     global_buffer
      - .offset:         48
        .size:           4
        .value_kind:     by_value
      - .offset:         52
        .size:           4
        .value_kind:     by_value
      - .offset:         56
        .size:           4
        .value_kind:     by_value
      - .offset:         60
        .size:           4
        .value_kind:     by_value
      - .offset:         64
        .size:           4
        .value_kind:     by_value
      - .offset:         68
        .size:           4
        .value_kind:     by_value
    .group_segment_fixed_size: 0
    .kernarg_segment_align: 8
    .kernarg_segment_size: 72
    .language:       OpenCL C
    .language_version:
      - 2
      - 0
    .max_flat_workgroup_size: 256
    .name:           _ZN4vllm3moe17topkGatingSoftmaxIfLi8ELi128ELi8ELi32ELb0ELi2ELNS0_23SharedExpertScoringFuncE1EEEvPKT_PKbPfiPiS9_iiiiii
    .private_segment_fixed_size: 0
    .sgpr_count:     21
    .sgpr_spill_count: 0
    .symbol:         _ZN4vllm3moe17topkGatingSoftmaxIfLi8ELi128ELi8ELi32ELb0ELi2ELNS0_23SharedExpertScoringFuncE1EEEvPKT_PKbPfiPiS9_iiiiii.kd
    .uniform_work_group_size: 1
    .uses_dynamic_stack: false
    .vgpr_count:     37
    .vgpr_spill_count: 0
    .wavefront_size: 32
    .workgroup_processor_mode: 1
  - .args:
      - .address_space:  global
        .offset:         0
        .size:           8
        .value_kind:     global_buffer
      - .address_space:  global
        .offset:         8
        .size:           8
        .value_kind:     global_buffer
      - .address_space:  global
        .offset:         16
        .size:           8
        .value_kind:     global_buffer
      - .offset:         24
        .size:           4
        .value_kind:     by_value
      - .address_space:  global
        .offset:         32
        .size:           8
        .value_kind:     global_buffer
      - .address_space:  global
        .offset:         40
        .size:           8
        .value_kind:     global_buffer
      - .offset:         48
        .size:           4
        .value_kind:     by_value
      - .offset:         52
        .size:           4
        .value_kind:     by_value
      - .offset:         56
        .size:           4
        .value_kind:     by_value
      - .offset:         60
        .size:           4
        .value_kind:     by_value
      - .offset:         64
        .size:           4
        .value_kind:     by_value
      - .offset:         68
        .size:           4
        .value_kind:     by_value
    .group_segment_fixed_size: 0
    .kernarg_segment_align: 8
    .kernarg_segment_size: 72
    .language:       OpenCL C
    .language_version:
      - 2
      - 0
    .max_flat_workgroup_size: 256
    .name:           _ZN4vllm3moe17topkGatingSoftmaxIfLi8ELi128ELi8ELi32ELb1ELi4ELNS0_23SharedExpertScoringFuncE1EEEvPKT_PKbPfiPiS9_iiiiii
    .private_segment_fixed_size: 0
    .sgpr_count:     21
    .sgpr_spill_count: 0
    .symbol:         _ZN4vllm3moe17topkGatingSoftmaxIfLi8ELi128ELi8ELi32ELb1ELi4ELNS0_23SharedExpertScoringFuncE1EEEvPKT_PKbPfiPiS9_iiiiii.kd
    .uniform_work_group_size: 1
    .uses_dynamic_stack: false
    .vgpr_count:     37
    .vgpr_spill_count: 0
    .wavefront_size: 32
    .workgroup_processor_mode: 1
  - .args:
      - .address_space:  global
        .offset:         0
        .size:           8
        .value_kind:     global_buffer
      - .address_space:  global
        .offset:         8
        .size:           8
        .value_kind:     global_buffer
      - .address_space:  global
        .offset:         16
        .size:           8
        .value_kind:     global_buffer
      - .offset:         24
        .size:           4
        .value_kind:     by_value
      - .address_space:  global
        .offset:         32
        .size:           8
        .value_kind:     global_buffer
      - .address_space:  global
        .offset:         40
        .size:           8
        .value_kind:     global_buffer
      - .offset:         48
        .size:           4
        .value_kind:     by_value
      - .offset:         52
        .size:           4
        .value_kind:     by_value
      - .offset:         56
        .size:           4
        .value_kind:     by_value
      - .offset:         60
        .size:           4
        .value_kind:     by_value
      - .offset:         64
        .size:           4
        .value_kind:     by_value
      - .offset:         68
        .size:           4
        .value_kind:     by_value
    .group_segment_fixed_size: 0
    .kernarg_segment_align: 8
    .kernarg_segment_size: 72
    .language:       OpenCL C
    .language_version:
      - 2
      - 0
    .max_flat_workgroup_size: 256
    .name:           _ZN4vllm3moe17topkGatingSoftmaxIfLi8ELi128ELi8ELi32ELb0ELi4ELNS0_23SharedExpertScoringFuncE1EEEvPKT_PKbPfiPiS9_iiiiii
    .private_segment_fixed_size: 0
    .sgpr_count:     21
    .sgpr_spill_count: 0
    .symbol:         _ZN4vllm3moe17topkGatingSoftmaxIfLi8ELi128ELi8ELi32ELb0ELi4ELNS0_23SharedExpertScoringFuncE1EEEvPKT_PKbPfiPiS9_iiiiii.kd
    .uniform_work_group_size: 1
    .uses_dynamic_stack: false
    .vgpr_count:     37
    .vgpr_spill_count: 0
    .wavefront_size: 32
    .workgroup_processor_mode: 1
  - .args:
      - .address_space:  global
        .offset:         0
        .size:           8
        .value_kind:     global_buffer
      - .address_space:  global
        .offset:         8
        .size:           8
        .value_kind:     global_buffer
      - .address_space:  global
        .offset:         16
        .size:           8
        .value_kind:     global_buffer
      - .offset:         24
        .size:           4
        .value_kind:     by_value
      - .address_space:  global
        .offset:         32
        .size:           8
        .value_kind:     global_buffer
      - .address_space:  global
        .offset:         40
        .size:           8
        .value_kind:     global_buffer
      - .offset:         48
        .size:           4
        .value_kind:     by_value
      - .offset:         52
        .size:           4
        .value_kind:     by_value
      - .offset:         56
        .size:           4
        .value_kind:     by_value
      - .offset:         60
        .size:           4
        .value_kind:     by_value
      - .offset:         64
        .size:           4
        .value_kind:     by_value
      - .offset:         68
        .size:           4
        .value_kind:     by_value
    .group_segment_fixed_size: 0
    .kernarg_segment_align: 8
    .kernarg_segment_size: 72
    .language:       OpenCL C
    .language_version:
      - 2
      - 0
    .max_flat_workgroup_size: 256
    .name:           _ZN4vllm3moe17topkGatingSoftmaxIfLi8ELi128ELi8ELi32ELb1ELi8ELNS0_23SharedExpertScoringFuncE1EEEvPKT_PKbPfiPiS9_iiiiii
    .private_segment_fixed_size: 0
    .sgpr_count:     21
    .sgpr_spill_count: 0
    .symbol:         _ZN4vllm3moe17topkGatingSoftmaxIfLi8ELi128ELi8ELi32ELb1ELi8ELNS0_23SharedExpertScoringFuncE1EEEvPKT_PKbPfiPiS9_iiiiii.kd
    .uniform_work_group_size: 1
    .uses_dynamic_stack: false
    .vgpr_count:     37
    .vgpr_spill_count: 0
    .wavefront_size: 32
    .workgroup_processor_mode: 1
  - .args:
      - .address_space:  global
        .offset:         0
        .size:           8
        .value_kind:     global_buffer
      - .address_space:  global
        .offset:         8
        .size:           8
        .value_kind:     global_buffer
      - .address_space:  global
        .offset:         16
        .size:           8
        .value_kind:     global_buffer
      - .offset:         24
        .size:           4
        .value_kind:     by_value
      - .address_space:  global
        .offset:         32
        .size:           8
        .value_kind:     global_buffer
      - .address_space:  global
        .offset:         40
        .size:           8
        .value_kind:     global_buffer
      - .offset:         48
        .size:           4
        .value_kind:     by_value
      - .offset:         52
        .size:           4
        .value_kind:     by_value
      - .offset:         56
        .size:           4
        .value_kind:     by_value
      - .offset:         60
        .size:           4
        .value_kind:     by_value
      - .offset:         64
        .size:           4
        .value_kind:     by_value
      - .offset:         68
        .size:           4
        .value_kind:     by_value
    .group_segment_fixed_size: 0
    .kernarg_segment_align: 8
    .kernarg_segment_size: 72
    .language:       OpenCL C
    .language_version:
      - 2
      - 0
    .max_flat_workgroup_size: 256
    .name:           _ZN4vllm3moe17topkGatingSoftmaxIfLi8ELi128ELi8ELi32ELb0ELi8ELNS0_23SharedExpertScoringFuncE1EEEvPKT_PKbPfiPiS9_iiiiii
    .private_segment_fixed_size: 0
    .sgpr_count:     21
    .sgpr_spill_count: 0
    .symbol:         _ZN4vllm3moe17topkGatingSoftmaxIfLi8ELi128ELi8ELi32ELb0ELi8ELNS0_23SharedExpertScoringFuncE1EEEvPKT_PKbPfiPiS9_iiiiii.kd
    .uniform_work_group_size: 1
    .uses_dynamic_stack: false
    .vgpr_count:     37
    .vgpr_spill_count: 0
    .wavefront_size: 32
    .workgroup_processor_mode: 1
  - .args:
      - .address_space:  global
        .offset:         0
        .size:           8
        .value_kind:     global_buffer
      - .address_space:  global
        .offset:         8
        .size:           8
        .value_kind:     global_buffer
      - .address_space:  global
        .offset:         16
        .size:           8
        .value_kind:     global_buffer
      - .offset:         24
        .size:           4
        .value_kind:     by_value
      - .address_space:  global
        .offset:         32
        .size:           8
        .value_kind:     global_buffer
      - .address_space:  global
        .offset:         40
        .size:           8
        .value_kind:     global_buffer
      - .offset:         48
        .size:           4
        .value_kind:     by_value
      - .offset:         52
        .size:           4
        .value_kind:     by_value
      - .offset:         56
        .size:           4
        .value_kind:     by_value
      - .offset:         60
        .size:           4
        .value_kind:     by_value
      - .offset:         64
        .size:           4
        .value_kind:     by_value
      - .offset:         68
        .size:           4
        .value_kind:     by_value
    .group_segment_fixed_size: 0
    .kernarg_segment_align: 8
    .kernarg_segment_size: 72
    .language:       OpenCL C
    .language_version:
      - 2
      - 0
    .max_flat_workgroup_size: 256
    .name:           _ZN4vllm3moe17topkGatingSoftmaxIfLi8ELi256ELi8ELi32ELb1ELi0ELNS0_23SharedExpertScoringFuncE0EEEvPKT_PKbPfiPiS9_iiiiii
    .private_segment_fixed_size: 0
    .sgpr_count:     21
    .sgpr_spill_count: 0
    .symbol:         _ZN4vllm3moe17topkGatingSoftmaxIfLi8ELi256ELi8ELi32ELb1ELi0ELNS0_23SharedExpertScoringFuncE0EEEvPKT_PKbPfiPiS9_iiiiii.kd
    .uniform_work_group_size: 1
    .uses_dynamic_stack: false
    .vgpr_count:     37
    .vgpr_spill_count: 0
    .wavefront_size: 32
    .workgroup_processor_mode: 1
  - .args:
      - .address_space:  global
        .offset:         0
        .size:           8
        .value_kind:     global_buffer
      - .address_space:  global
        .offset:         8
        .size:           8
        .value_kind:     global_buffer
      - .address_space:  global
        .offset:         16
        .size:           8
        .value_kind:     global_buffer
      - .offset:         24
        .size:           4
        .value_kind:     by_value
      - .address_space:  global
        .offset:         32
        .size:           8
        .value_kind:     global_buffer
      - .address_space:  global
        .offset:         40
        .size:           8
        .value_kind:     global_buffer
      - .offset:         48
        .size:           4
        .value_kind:     by_value
      - .offset:         52
        .size:           4
        .value_kind:     by_value
      - .offset:         56
        .size:           4
        .value_kind:     by_value
      - .offset:         60
        .size:           4
        .value_kind:     by_value
      - .offset:         64
        .size:           4
        .value_kind:     by_value
      - .offset:         68
        .size:           4
        .value_kind:     by_value
    .group_segment_fixed_size: 0
    .kernarg_segment_align: 8
    .kernarg_segment_size: 72
    .language:       OpenCL C
    .language_version:
      - 2
      - 0
    .max_flat_workgroup_size: 256
    .name:           _ZN4vllm3moe17topkGatingSoftmaxIfLi8ELi256ELi8ELi32ELb0ELi0ELNS0_23SharedExpertScoringFuncE0EEEvPKT_PKbPfiPiS9_iiiiii
    .private_segment_fixed_size: 0
    .sgpr_count:     21
    .sgpr_spill_count: 0
    .symbol:         _ZN4vllm3moe17topkGatingSoftmaxIfLi8ELi256ELi8ELi32ELb0ELi0ELNS0_23SharedExpertScoringFuncE0EEEvPKT_PKbPfiPiS9_iiiiii.kd
    .uniform_work_group_size: 1
    .uses_dynamic_stack: false
    .vgpr_count:     37
    .vgpr_spill_count: 0
    .wavefront_size: 32
    .workgroup_processor_mode: 1
  - .args:
      - .address_space:  global
        .offset:         0
        .size:           8
        .value_kind:     global_buffer
      - .address_space:  global
        .offset:         8
        .size:           8
        .value_kind:     global_buffer
      - .address_space:  global
        .offset:         16
        .size:           8
        .value_kind:     global_buffer
      - .offset:         24
        .size:           4
        .value_kind:     by_value
      - .address_space:  global
        .offset:         32
        .size:           8
        .value_kind:     global_buffer
      - .address_space:  global
        .offset:         40
        .size:           8
        .value_kind:     global_buffer
      - .offset:         48
        .size:           4
        .value_kind:     by_value
      - .offset:         52
        .size:           4
        .value_kind:     by_value
      - .offset:         56
        .size:           4
        .value_kind:     by_value
      - .offset:         60
        .size:           4
        .value_kind:     by_value
      - .offset:         64
        .size:           4
        .value_kind:     by_value
      - .offset:         68
        .size:           4
        .value_kind:     by_value
    .group_segment_fixed_size: 0
    .kernarg_segment_align: 8
    .kernarg_segment_size: 72
    .language:       OpenCL C
    .language_version:
      - 2
      - 0
    .max_flat_workgroup_size: 256
    .name:           _ZN4vllm3moe17topkGatingSoftmaxIfLi8ELi256ELi8ELi32ELb1ELi1ELNS0_23SharedExpertScoringFuncE1EEEvPKT_PKbPfiPiS9_iiiiii
    .private_segment_fixed_size: 0
    .sgpr_count:     21
    .sgpr_spill_count: 0
    .symbol:         _ZN4vllm3moe17topkGatingSoftmaxIfLi8ELi256ELi8ELi32ELb1ELi1ELNS0_23SharedExpertScoringFuncE1EEEvPKT_PKbPfiPiS9_iiiiii.kd
    .uniform_work_group_size: 1
    .uses_dynamic_stack: false
    .vgpr_count:     37
    .vgpr_spill_count: 0
    .wavefront_size: 32
    .workgroup_processor_mode: 1
  - .args:
      - .address_space:  global
        .offset:         0
        .size:           8
        .value_kind:     global_buffer
      - .address_space:  global
        .offset:         8
        .size:           8
        .value_kind:     global_buffer
      - .address_space:  global
        .offset:         16
        .size:           8
        .value_kind:     global_buffer
      - .offset:         24
        .size:           4
        .value_kind:     by_value
      - .address_space:  global
        .offset:         32
        .size:           8
        .value_kind:     global_buffer
      - .address_space:  global
        .offset:         40
        .size:           8
        .value_kind:     global_buffer
      - .offset:         48
        .size:           4
        .value_kind:     by_value
      - .offset:         52
        .size:           4
        .value_kind:     by_value
      - .offset:         56
        .size:           4
        .value_kind:     by_value
      - .offset:         60
        .size:           4
        .value_kind:     by_value
      - .offset:         64
        .size:           4
        .value_kind:     by_value
      - .offset:         68
        .size:           4
        .value_kind:     by_value
    .group_segment_fixed_size: 0
    .kernarg_segment_align: 8
    .kernarg_segment_size: 72
    .language:       OpenCL C
    .language_version:
      - 2
      - 0
    .max_flat_workgroup_size: 256
    .name:           _ZN4vllm3moe17topkGatingSoftmaxIfLi8ELi256ELi8ELi32ELb0ELi1ELNS0_23SharedExpertScoringFuncE1EEEvPKT_PKbPfiPiS9_iiiiii
    .private_segment_fixed_size: 0
    .sgpr_count:     21
    .sgpr_spill_count: 0
    .symbol:         _ZN4vllm3moe17topkGatingSoftmaxIfLi8ELi256ELi8ELi32ELb0ELi1ELNS0_23SharedExpertScoringFuncE1EEEvPKT_PKbPfiPiS9_iiiiii.kd
    .uniform_work_group_size: 1
    .uses_dynamic_stack: false
    .vgpr_count:     37
    .vgpr_spill_count: 0
    .wavefront_size: 32
    .workgroup_processor_mode: 1
  - .args:
      - .address_space:  global
        .offset:         0
        .size:           8
        .value_kind:     global_buffer
      - .address_space:  global
        .offset:         8
        .size:           8
        .value_kind:     global_buffer
      - .address_space:  global
        .offset:         16
        .size:           8
        .value_kind:     global_buffer
      - .offset:         24
        .size:           4
        .value_kind:     by_value
      - .address_space:  global
        .offset:         32
        .size:           8
        .value_kind:     global_buffer
      - .address_space:  global
        .offset:         40
        .size:           8
        .value_kind:     global_buffer
      - .offset:         48
        .size:           4
        .value_kind:     by_value
      - .offset:         52
        .size:           4
        .value_kind:     by_value
      - .offset:         56
        .size:           4
        .value_kind:     by_value
      - .offset:         60
        .size:           4
        .value_kind:     by_value
      - .offset:         64
        .size:           4
        .value_kind:     by_value
      - .offset:         68
        .size:           4
        .value_kind:     by_value
    .group_segment_fixed_size: 0
    .kernarg_segment_align: 8
    .kernarg_segment_size: 72
    .language:       OpenCL C
    .language_version:
      - 2
      - 0
    .max_flat_workgroup_size: 256
    .name:           _ZN4vllm3moe17topkGatingSoftmaxIfLi8ELi256ELi8ELi32ELb1ELi2ELNS0_23SharedExpertScoringFuncE1EEEvPKT_PKbPfiPiS9_iiiiii
    .private_segment_fixed_size: 0
    .sgpr_count:     21
    .sgpr_spill_count: 0
    .symbol:         _ZN4vllm3moe17topkGatingSoftmaxIfLi8ELi256ELi8ELi32ELb1ELi2ELNS0_23SharedExpertScoringFuncE1EEEvPKT_PKbPfiPiS9_iiiiii.kd
    .uniform_work_group_size: 1
    .uses_dynamic_stack: false
    .vgpr_count:     37
    .vgpr_spill_count: 0
    .wavefront_size: 32
    .workgroup_processor_mode: 1
  - .args:
      - .address_space:  global
        .offset:         0
        .size:           8
        .value_kind:     global_buffer
      - .address_space:  global
        .offset:         8
        .size:           8
        .value_kind:     global_buffer
      - .address_space:  global
        .offset:         16
        .size:           8
        .value_kind:     global_buffer
      - .offset:         24
        .size:           4
        .value_kind:     by_value
      - .address_space:  global
        .offset:         32
        .size:           8
        .value_kind:     global_buffer
      - .address_space:  global
        .offset:         40
        .size:           8
        .value_kind:     global_buffer
      - .offset:         48
        .size:           4
        .value_kind:     by_value
      - .offset:         52
        .size:           4
        .value_kind:     by_value
      - .offset:         56
        .size:           4
        .value_kind:     by_value
      - .offset:         60
        .size:           4
        .value_kind:     by_value
      - .offset:         64
        .size:           4
        .value_kind:     by_value
      - .offset:         68
        .size:           4
        .value_kind:     by_value
    .group_segment_fixed_size: 0
    .kernarg_segment_align: 8
    .kernarg_segment_size: 72
    .language:       OpenCL C
    .language_version:
      - 2
      - 0
    .max_flat_workgroup_size: 256
    .name:           _ZN4vllm3moe17topkGatingSoftmaxIfLi8ELi256ELi8ELi32ELb0ELi2ELNS0_23SharedExpertScoringFuncE1EEEvPKT_PKbPfiPiS9_iiiiii
    .private_segment_fixed_size: 0
    .sgpr_count:     21
    .sgpr_spill_count: 0
    .symbol:         _ZN4vllm3moe17topkGatingSoftmaxIfLi8ELi256ELi8ELi32ELb0ELi2ELNS0_23SharedExpertScoringFuncE1EEEvPKT_PKbPfiPiS9_iiiiii.kd
    .uniform_work_group_size: 1
    .uses_dynamic_stack: false
    .vgpr_count:     37
    .vgpr_spill_count: 0
    .wavefront_size: 32
    .workgroup_processor_mode: 1
  - .args:
      - .address_space:  global
        .offset:         0
        .size:           8
        .value_kind:     global_buffer
      - .address_space:  global
        .offset:         8
        .size:           8
        .value_kind:     global_buffer
      - .address_space:  global
        .offset:         16
        .size:           8
        .value_kind:     global_buffer
      - .offset:         24
        .size:           4
        .value_kind:     by_value
      - .address_space:  global
        .offset:         32
        .size:           8
        .value_kind:     global_buffer
      - .address_space:  global
        .offset:         40
        .size:           8
        .value_kind:     global_buffer
      - .offset:         48
        .size:           4
        .value_kind:     by_value
      - .offset:         52
        .size:           4
        .value_kind:     by_value
      - .offset:         56
        .size:           4
        .value_kind:     by_value
      - .offset:         60
        .size:           4
        .value_kind:     by_value
      - .offset:         64
        .size:           4
        .value_kind:     by_value
      - .offset:         68
        .size:           4
        .value_kind:     by_value
    .group_segment_fixed_size: 0
    .kernarg_segment_align: 8
    .kernarg_segment_size: 72
    .language:       OpenCL C
    .language_version:
      - 2
      - 0
    .max_flat_workgroup_size: 256
    .name:           _ZN4vllm3moe17topkGatingSoftmaxIfLi8ELi256ELi8ELi32ELb1ELi4ELNS0_23SharedExpertScoringFuncE1EEEvPKT_PKbPfiPiS9_iiiiii
    .private_segment_fixed_size: 0
    .sgpr_count:     21
    .sgpr_spill_count: 0
    .symbol:         _ZN4vllm3moe17topkGatingSoftmaxIfLi8ELi256ELi8ELi32ELb1ELi4ELNS0_23SharedExpertScoringFuncE1EEEvPKT_PKbPfiPiS9_iiiiii.kd
    .uniform_work_group_size: 1
    .uses_dynamic_stack: false
    .vgpr_count:     37
    .vgpr_spill_count: 0
    .wavefront_size: 32
    .workgroup_processor_mode: 1
  - .args:
      - .address_space:  global
        .offset:         0
        .size:           8
        .value_kind:     global_buffer
      - .address_space:  global
        .offset:         8
        .size:           8
        .value_kind:     global_buffer
      - .address_space:  global
        .offset:         16
        .size:           8
        .value_kind:     global_buffer
      - .offset:         24
        .size:           4
        .value_kind:     by_value
      - .address_space:  global
        .offset:         32
        .size:           8
        .value_kind:     global_buffer
      - .address_space:  global
        .offset:         40
        .size:           8
        .value_kind:     global_buffer
      - .offset:         48
        .size:           4
        .value_kind:     by_value
      - .offset:         52
        .size:           4
        .value_kind:     by_value
      - .offset:         56
        .size:           4
        .value_kind:     by_value
      - .offset:         60
        .size:           4
        .value_kind:     by_value
      - .offset:         64
        .size:           4
        .value_kind:     by_value
      - .offset:         68
        .size:           4
        .value_kind:     by_value
    .group_segment_fixed_size: 0
    .kernarg_segment_align: 8
    .kernarg_segment_size: 72
    .language:       OpenCL C
    .language_version:
      - 2
      - 0
    .max_flat_workgroup_size: 256
    .name:           _ZN4vllm3moe17topkGatingSoftmaxIfLi8ELi256ELi8ELi32ELb0ELi4ELNS0_23SharedExpertScoringFuncE1EEEvPKT_PKbPfiPiS9_iiiiii
    .private_segment_fixed_size: 0
    .sgpr_count:     21
    .sgpr_spill_count: 0
    .symbol:         _ZN4vllm3moe17topkGatingSoftmaxIfLi8ELi256ELi8ELi32ELb0ELi4ELNS0_23SharedExpertScoringFuncE1EEEvPKT_PKbPfiPiS9_iiiiii.kd
    .uniform_work_group_size: 1
    .uses_dynamic_stack: false
    .vgpr_count:     37
    .vgpr_spill_count: 0
    .wavefront_size: 32
    .workgroup_processor_mode: 1
  - .args:
      - .address_space:  global
        .offset:         0
        .size:           8
        .value_kind:     global_buffer
      - .address_space:  global
        .offset:         8
        .size:           8
        .value_kind:     global_buffer
      - .address_space:  global
        .offset:         16
        .size:           8
        .value_kind:     global_buffer
      - .offset:         24
        .size:           4
        .value_kind:     by_value
      - .address_space:  global
        .offset:         32
        .size:           8
        .value_kind:     global_buffer
      - .address_space:  global
        .offset:         40
        .size:           8
        .value_kind:     global_buffer
      - .offset:         48
        .size:           4
        .value_kind:     by_value
      - .offset:         52
        .size:           4
        .value_kind:     by_value
      - .offset:         56
        .size:           4
        .value_kind:     by_value
      - .offset:         60
        .size:           4
        .value_kind:     by_value
      - .offset:         64
        .size:           4
        .value_kind:     by_value
      - .offset:         68
        .size:           4
        .value_kind:     by_value
    .group_segment_fixed_size: 0
    .kernarg_segment_align: 8
    .kernarg_segment_size: 72
    .language:       OpenCL C
    .language_version:
      - 2
      - 0
    .max_flat_workgroup_size: 256
    .name:           _ZN4vllm3moe17topkGatingSoftmaxIfLi8ELi256ELi8ELi32ELb1ELi8ELNS0_23SharedExpertScoringFuncE1EEEvPKT_PKbPfiPiS9_iiiiii
    .private_segment_fixed_size: 0
    .sgpr_count:     21
    .sgpr_spill_count: 0
    .symbol:         _ZN4vllm3moe17topkGatingSoftmaxIfLi8ELi256ELi8ELi32ELb1ELi8ELNS0_23SharedExpertScoringFuncE1EEEvPKT_PKbPfiPiS9_iiiiii.kd
    .uniform_work_group_size: 1
    .uses_dynamic_stack: false
    .vgpr_count:     37
    .vgpr_spill_count: 0
    .wavefront_size: 32
    .workgroup_processor_mode: 1
  - .args:
      - .address_space:  global
        .offset:         0
        .size:           8
        .value_kind:     global_buffer
      - .address_space:  global
        .offset:         8
        .size:           8
        .value_kind:     global_buffer
      - .address_space:  global
        .offset:         16
        .size:           8
        .value_kind:     global_buffer
      - .offset:         24
        .size:           4
        .value_kind:     by_value
      - .address_space:  global
        .offset:         32
        .size:           8
        .value_kind:     global_buffer
      - .address_space:  global
        .offset:         40
        .size:           8
        .value_kind:     global_buffer
      - .offset:         48
        .size:           4
        .value_kind:     by_value
      - .offset:         52
        .size:           4
        .value_kind:     by_value
      - .offset:         56
        .size:           4
        .value_kind:     by_value
      - .offset:         60
        .size:           4
        .value_kind:     by_value
      - .offset:         64
        .size:           4
        .value_kind:     by_value
      - .offset:         68
        .size:           4
        .value_kind:     by_value
    .group_segment_fixed_size: 0
    .kernarg_segment_align: 8
    .kernarg_segment_size: 72
    .language:       OpenCL C
    .language_version:
      - 2
      - 0
    .max_flat_workgroup_size: 256
    .name:           _ZN4vllm3moe17topkGatingSoftmaxIfLi8ELi256ELi8ELi32ELb0ELi8ELNS0_23SharedExpertScoringFuncE1EEEvPKT_PKbPfiPiS9_iiiiii
    .private_segment_fixed_size: 0
    .sgpr_count:     21
    .sgpr_spill_count: 0
    .symbol:         _ZN4vllm3moe17topkGatingSoftmaxIfLi8ELi256ELi8ELi32ELb0ELi8ELNS0_23SharedExpertScoringFuncE1EEEvPKT_PKbPfiPiS9_iiiiii.kd
    .uniform_work_group_size: 1
    .uses_dynamic_stack: false
    .vgpr_count:     37
    .vgpr_spill_count: 0
    .wavefront_size: 32
    .workgroup_processor_mode: 1
  - .args:
      - .address_space:  global
        .offset:         0
        .size:           8
        .value_kind:     global_buffer
      - .address_space:  global
        .offset:         8
        .size:           8
        .value_kind:     global_buffer
      - .address_space:  global
        .offset:         16
        .size:           8
        .value_kind:     global_buffer
      - .offset:         24
        .size:           4
        .value_kind:     by_value
      - .address_space:  global
        .offset:         32
        .size:           8
        .value_kind:     global_buffer
      - .address_space:  global
        .offset:         40
        .size:           8
        .value_kind:     global_buffer
      - .offset:         48
        .size:           4
        .value_kind:     by_value
      - .offset:         52
        .size:           4
        .value_kind:     by_value
      - .offset:         56
        .size:           4
        .value_kind:     by_value
      - .offset:         60
        .size:           4
        .value_kind:     by_value
      - .offset:         64
        .size:           4
        .value_kind:     by_value
      - .offset:         68
        .size:           4
        .value_kind:     by_value
    .group_segment_fixed_size: 0
    .kernarg_segment_align: 8
    .kernarg_segment_size: 72
    .language:       OpenCL C
    .language_version:
      - 2
      - 0
    .max_flat_workgroup_size: 64
    .name:           _ZN4vllm3moe17topkGatingSoftmaxIfLi16ELi512ELi2ELi64ELb1ELi0ELNS0_23SharedExpertScoringFuncE0EEEvPKT_PKbPfiPiS9_iiiiii
    .private_segment_fixed_size: 0
    .sgpr_count:     21
    .sgpr_spill_count: 0
    .symbol:         _ZN4vllm3moe17topkGatingSoftmaxIfLi16ELi512ELi2ELi64ELb1ELi0ELNS0_23SharedExpertScoringFuncE0EEEvPKT_PKbPfiPiS9_iiiiii.kd
    .uniform_work_group_size: 1
    .uses_dynamic_stack: false
    .vgpr_count:     53
    .vgpr_spill_count: 0
    .wavefront_size: 32
    .workgroup_processor_mode: 1
  - .args:
      - .address_space:  global
        .offset:         0
        .size:           8
        .value_kind:     global_buffer
      - .address_space:  global
        .offset:         8
        .size:           8
        .value_kind:     global_buffer
      - .address_space:  global
        .offset:         16
        .size:           8
        .value_kind:     global_buffer
      - .offset:         24
        .size:           4
        .value_kind:     by_value
      - .address_space:  global
        .offset:         32
        .size:           8
        .value_kind:     global_buffer
      - .address_space:  global
        .offset:         40
        .size:           8
        .value_kind:     global_buffer
      - .offset:         48
        .size:           4
        .value_kind:     by_value
      - .offset:         52
        .size:           4
        .value_kind:     by_value
      - .offset:         56
        .size:           4
        .value_kind:     by_value
      - .offset:         60
        .size:           4
        .value_kind:     by_value
      - .offset:         64
        .size:           4
        .value_kind:     by_value
      - .offset:         68
        .size:           4
        .value_kind:     by_value
    .group_segment_fixed_size: 0
    .kernarg_segment_align: 8
    .kernarg_segment_size: 72
    .language:       OpenCL C
    .language_version:
      - 2
      - 0
    .max_flat_workgroup_size: 64
    .name:           _ZN4vllm3moe17topkGatingSoftmaxIfLi16ELi512ELi2ELi64ELb0ELi0ELNS0_23SharedExpertScoringFuncE0EEEvPKT_PKbPfiPiS9_iiiiii
    .private_segment_fixed_size: 0
    .sgpr_count:     21
    .sgpr_spill_count: 0
    .symbol:         _ZN4vllm3moe17topkGatingSoftmaxIfLi16ELi512ELi2ELi64ELb0ELi0ELNS0_23SharedExpertScoringFuncE0EEEvPKT_PKbPfiPiS9_iiiiii.kd
    .uniform_work_group_size: 1
    .uses_dynamic_stack: false
    .vgpr_count:     53
    .vgpr_spill_count: 0
    .wavefront_size: 32
    .workgroup_processor_mode: 1
  - .args:
      - .address_space:  global
        .offset:         0
        .size:           8
        .value_kind:     global_buffer
      - .address_space:  global
        .offset:         8
        .size:           8
        .value_kind:     global_buffer
      - .address_space:  global
        .offset:         16
        .size:           8
        .value_kind:     global_buffer
      - .offset:         24
        .size:           4
        .value_kind:     by_value
      - .address_space:  global
        .offset:         32
        .size:           8
        .value_kind:     global_buffer
      - .address_space:  global
        .offset:         40
        .size:           8
        .value_kind:     global_buffer
      - .offset:         48
        .size:           4
        .value_kind:     by_value
      - .offset:         52
        .size:           4
        .value_kind:     by_value
      - .offset:         56
        .size:           4
        .value_kind:     by_value
      - .offset:         60
        .size:           4
        .value_kind:     by_value
      - .offset:         64
        .size:           4
        .value_kind:     by_value
      - .offset:         68
        .size:           4
        .value_kind:     by_value
    .group_segment_fixed_size: 0
    .kernarg_segment_align: 8
    .kernarg_segment_size: 72
    .language:       OpenCL C
    .language_version:
      - 2
      - 0
    .max_flat_workgroup_size: 64
    .name:           _ZN4vllm3moe17topkGatingSoftmaxIfLi16ELi512ELi2ELi64ELb1ELi1ELNS0_23SharedExpertScoringFuncE1EEEvPKT_PKbPfiPiS9_iiiiii
    .private_segment_fixed_size: 0
    .sgpr_count:     21
    .sgpr_spill_count: 0
    .symbol:         _ZN4vllm3moe17topkGatingSoftmaxIfLi16ELi512ELi2ELi64ELb1ELi1ELNS0_23SharedExpertScoringFuncE1EEEvPKT_PKbPfiPiS9_iiiiii.kd
    .uniform_work_group_size: 1
    .uses_dynamic_stack: false
    .vgpr_count:     53
    .vgpr_spill_count: 0
    .wavefront_size: 32
    .workgroup_processor_mode: 1
  - .args:
      - .address_space:  global
        .offset:         0
        .size:           8
        .value_kind:     global_buffer
      - .address_space:  global
        .offset:         8
        .size:           8
        .value_kind:     global_buffer
      - .address_space:  global
        .offset:         16
        .size:           8
        .value_kind:     global_buffer
      - .offset:         24
        .size:           4
        .value_kind:     by_value
      - .address_space:  global
        .offset:         32
        .size:           8
        .value_kind:     global_buffer
      - .address_space:  global
        .offset:         40
        .size:           8
        .value_kind:     global_buffer
      - .offset:         48
        .size:           4
        .value_kind:     by_value
      - .offset:         52
        .size:           4
        .value_kind:     by_value
      - .offset:         56
        .size:           4
        .value_kind:     by_value
      - .offset:         60
        .size:           4
        .value_kind:     by_value
      - .offset:         64
        .size:           4
        .value_kind:     by_value
      - .offset:         68
        .size:           4
        .value_kind:     by_value
    .group_segment_fixed_size: 0
    .kernarg_segment_align: 8
    .kernarg_segment_size: 72
    .language:       OpenCL C
    .language_version:
      - 2
      - 0
    .max_flat_workgroup_size: 64
    .name:           _ZN4vllm3moe17topkGatingSoftmaxIfLi16ELi512ELi2ELi64ELb0ELi1ELNS0_23SharedExpertScoringFuncE1EEEvPKT_PKbPfiPiS9_iiiiii
    .private_segment_fixed_size: 0
    .sgpr_count:     21
    .sgpr_spill_count: 0
    .symbol:         _ZN4vllm3moe17topkGatingSoftmaxIfLi16ELi512ELi2ELi64ELb0ELi1ELNS0_23SharedExpertScoringFuncE1EEEvPKT_PKbPfiPiS9_iiiiii.kd
    .uniform_work_group_size: 1
    .uses_dynamic_stack: false
    .vgpr_count:     53
    .vgpr_spill_count: 0
    .wavefront_size: 32
    .workgroup_processor_mode: 1
  - .args:
      - .address_space:  global
        .offset:         0
        .size:           8
        .value_kind:     global_buffer
      - .address_space:  global
        .offset:         8
        .size:           8
        .value_kind:     global_buffer
      - .address_space:  global
        .offset:         16
        .size:           8
        .value_kind:     global_buffer
      - .offset:         24
        .size:           4
        .value_kind:     by_value
      - .address_space:  global
        .offset:         32
        .size:           8
        .value_kind:     global_buffer
      - .address_space:  global
        .offset:         40
        .size:           8
        .value_kind:     global_buffer
      - .offset:         48
        .size:           4
        .value_kind:     by_value
      - .offset:         52
        .size:           4
        .value_kind:     by_value
      - .offset:         56
        .size:           4
        .value_kind:     by_value
      - .offset:         60
        .size:           4
        .value_kind:     by_value
      - .offset:         64
        .size:           4
        .value_kind:     by_value
      - .offset:         68
        .size:           4
        .value_kind:     by_value
    .group_segment_fixed_size: 0
    .kernarg_segment_align: 8
    .kernarg_segment_size: 72
    .language:       OpenCL C
    .language_version:
      - 2
      - 0
    .max_flat_workgroup_size: 64
    .name:           _ZN4vllm3moe17topkGatingSoftmaxIfLi16ELi512ELi2ELi64ELb1ELi2ELNS0_23SharedExpertScoringFuncE1EEEvPKT_PKbPfiPiS9_iiiiii
    .private_segment_fixed_size: 0
    .sgpr_count:     21
    .sgpr_spill_count: 0
    .symbol:         _ZN4vllm3moe17topkGatingSoftmaxIfLi16ELi512ELi2ELi64ELb1ELi2ELNS0_23SharedExpertScoringFuncE1EEEvPKT_PKbPfiPiS9_iiiiii.kd
    .uniform_work_group_size: 1
    .uses_dynamic_stack: false
    .vgpr_count:     53
    .vgpr_spill_count: 0
    .wavefront_size: 32
    .workgroup_processor_mode: 1
  - .args:
      - .address_space:  global
        .offset:         0
        .size:           8
        .value_kind:     global_buffer
      - .address_space:  global
        .offset:         8
        .size:           8
        .value_kind:     global_buffer
      - .address_space:  global
        .offset:         16
        .size:           8
        .value_kind:     global_buffer
      - .offset:         24
        .size:           4
        .value_kind:     by_value
      - .address_space:  global
        .offset:         32
        .size:           8
        .value_kind:     global_buffer
      - .address_space:  global
        .offset:         40
        .size:           8
        .value_kind:     global_buffer
      - .offset:         48
        .size:           4
        .value_kind:     by_value
      - .offset:         52
        .size:           4
        .value_kind:     by_value
      - .offset:         56
        .size:           4
        .value_kind:     by_value
      - .offset:         60
        .size:           4
        .value_kind:     by_value
      - .offset:         64
        .size:           4
        .value_kind:     by_value
      - .offset:         68
        .size:           4
        .value_kind:     by_value
    .group_segment_fixed_size: 0
    .kernarg_segment_align: 8
    .kernarg_segment_size: 72
    .language:       OpenCL C
    .language_version:
      - 2
      - 0
    .max_flat_workgroup_size: 64
    .name:           _ZN4vllm3moe17topkGatingSoftmaxIfLi16ELi512ELi2ELi64ELb0ELi2ELNS0_23SharedExpertScoringFuncE1EEEvPKT_PKbPfiPiS9_iiiiii
    .private_segment_fixed_size: 0
    .sgpr_count:     21
    .sgpr_spill_count: 0
    .symbol:         _ZN4vllm3moe17topkGatingSoftmaxIfLi16ELi512ELi2ELi64ELb0ELi2ELNS0_23SharedExpertScoringFuncE1EEEvPKT_PKbPfiPiS9_iiiiii.kd
    .uniform_work_group_size: 1
    .uses_dynamic_stack: false
    .vgpr_count:     53
    .vgpr_spill_count: 0
    .wavefront_size: 32
    .workgroup_processor_mode: 1
  - .args:
      - .address_space:  global
        .offset:         0
        .size:           8
        .value_kind:     global_buffer
      - .address_space:  global
        .offset:         8
        .size:           8
        .value_kind:     global_buffer
      - .address_space:  global
        .offset:         16
        .size:           8
        .value_kind:     global_buffer
      - .offset:         24
        .size:           4
        .value_kind:     by_value
      - .address_space:  global
        .offset:         32
        .size:           8
        .value_kind:     global_buffer
      - .address_space:  global
        .offset:         40
        .size:           8
        .value_kind:     global_buffer
      - .offset:         48
        .size:           4
        .value_kind:     by_value
      - .offset:         52
        .size:           4
        .value_kind:     by_value
      - .offset:         56
        .size:           4
        .value_kind:     by_value
      - .offset:         60
        .size:           4
        .value_kind:     by_value
      - .offset:         64
        .size:           4
        .value_kind:     by_value
      - .offset:         68
        .size:           4
        .value_kind:     by_value
    .group_segment_fixed_size: 0
    .kernarg_segment_align: 8
    .kernarg_segment_size: 72
    .language:       OpenCL C
    .language_version:
      - 2
      - 0
    .max_flat_workgroup_size: 64
    .name:           _ZN4vllm3moe17topkGatingSoftmaxIfLi16ELi512ELi2ELi64ELb1ELi4ELNS0_23SharedExpertScoringFuncE1EEEvPKT_PKbPfiPiS9_iiiiii
    .private_segment_fixed_size: 0
    .sgpr_count:     21
    .sgpr_spill_count: 0
    .symbol:         _ZN4vllm3moe17topkGatingSoftmaxIfLi16ELi512ELi2ELi64ELb1ELi4ELNS0_23SharedExpertScoringFuncE1EEEvPKT_PKbPfiPiS9_iiiiii.kd
    .uniform_work_group_size: 1
    .uses_dynamic_stack: false
    .vgpr_count:     53
    .vgpr_spill_count: 0
    .wavefront_size: 32
    .workgroup_processor_mode: 1
  - .args:
      - .address_space:  global
        .offset:         0
        .size:           8
        .value_kind:     global_buffer
      - .address_space:  global
        .offset:         8
        .size:           8
        .value_kind:     global_buffer
      - .address_space:  global
        .offset:         16
        .size:           8
        .value_kind:     global_buffer
      - .offset:         24
        .size:           4
        .value_kind:     by_value
      - .address_space:  global
        .offset:         32
        .size:           8
        .value_kind:     global_buffer
      - .address_space:  global
        .offset:         40
        .size:           8
        .value_kind:     global_buffer
      - .offset:         48
        .size:           4
        .value_kind:     by_value
      - .offset:         52
        .size:           4
        .value_kind:     by_value
      - .offset:         56
        .size:           4
        .value_kind:     by_value
      - .offset:         60
        .size:           4
        .value_kind:     by_value
      - .offset:         64
        .size:           4
        .value_kind:     by_value
      - .offset:         68
        .size:           4
        .value_kind:     by_value
    .group_segment_fixed_size: 0
    .kernarg_segment_align: 8
    .kernarg_segment_size: 72
    .language:       OpenCL C
    .language_version:
      - 2
      - 0
    .max_flat_workgroup_size: 64
    .name:           _ZN4vllm3moe17topkGatingSoftmaxIfLi16ELi512ELi2ELi64ELb0ELi4ELNS0_23SharedExpertScoringFuncE1EEEvPKT_PKbPfiPiS9_iiiiii
    .private_segment_fixed_size: 0
    .sgpr_count:     21
    .sgpr_spill_count: 0
    .symbol:         _ZN4vllm3moe17topkGatingSoftmaxIfLi16ELi512ELi2ELi64ELb0ELi4ELNS0_23SharedExpertScoringFuncE1EEEvPKT_PKbPfiPiS9_iiiiii.kd
    .uniform_work_group_size: 1
    .uses_dynamic_stack: false
    .vgpr_count:     53
    .vgpr_spill_count: 0
    .wavefront_size: 32
    .workgroup_processor_mode: 1
  - .args:
      - .address_space:  global
        .offset:         0
        .size:           8
        .value_kind:     global_buffer
      - .address_space:  global
        .offset:         8
        .size:           8
        .value_kind:     global_buffer
      - .address_space:  global
        .offset:         16
        .size:           8
        .value_kind:     global_buffer
      - .offset:         24
        .size:           4
        .value_kind:     by_value
      - .address_space:  global
        .offset:         32
        .size:           8
        .value_kind:     global_buffer
      - .address_space:  global
        .offset:         40
        .size:           8
        .value_kind:     global_buffer
      - .offset:         48
        .size:           4
        .value_kind:     by_value
      - .offset:         52
        .size:           4
        .value_kind:     by_value
      - .offset:         56
        .size:           4
        .value_kind:     by_value
      - .offset:         60
        .size:           4
        .value_kind:     by_value
      - .offset:         64
        .size:           4
        .value_kind:     by_value
      - .offset:         68
        .size:           4
        .value_kind:     by_value
    .group_segment_fixed_size: 0
    .kernarg_segment_align: 8
    .kernarg_segment_size: 72
    .language:       OpenCL C
    .language_version:
      - 2
      - 0
    .max_flat_workgroup_size: 64
    .name:           _ZN4vllm3moe17topkGatingSoftmaxIfLi16ELi512ELi2ELi64ELb1ELi8ELNS0_23SharedExpertScoringFuncE1EEEvPKT_PKbPfiPiS9_iiiiii
    .private_segment_fixed_size: 0
    .sgpr_count:     21
    .sgpr_spill_count: 0
    .symbol:         _ZN4vllm3moe17topkGatingSoftmaxIfLi16ELi512ELi2ELi64ELb1ELi8ELNS0_23SharedExpertScoringFuncE1EEEvPKT_PKbPfiPiS9_iiiiii.kd
    .uniform_work_group_size: 1
    .uses_dynamic_stack: false
    .vgpr_count:     53
    .vgpr_spill_count: 0
    .wavefront_size: 32
    .workgroup_processor_mode: 1
  - .args:
      - .address_space:  global
        .offset:         0
        .size:           8
        .value_kind:     global_buffer
      - .address_space:  global
        .offset:         8
        .size:           8
        .value_kind:     global_buffer
      - .address_space:  global
        .offset:         16
        .size:           8
        .value_kind:     global_buffer
      - .offset:         24
        .size:           4
        .value_kind:     by_value
      - .address_space:  global
        .offset:         32
        .size:           8
        .value_kind:     global_buffer
      - .address_space:  global
        .offset:         40
        .size:           8
        .value_kind:     global_buffer
      - .offset:         48
        .size:           4
        .value_kind:     by_value
      - .offset:         52
        .size:           4
        .value_kind:     by_value
      - .offset:         56
        .size:           4
        .value_kind:     by_value
      - .offset:         60
        .size:           4
        .value_kind:     by_value
      - .offset:         64
        .size:           4
        .value_kind:     by_value
      - .offset:         68
        .size:           4
        .value_kind:     by_value
    .group_segment_fixed_size: 0
    .kernarg_segment_align: 8
    .kernarg_segment_size: 72
    .language:       OpenCL C
    .language_version:
      - 2
      - 0
    .max_flat_workgroup_size: 64
    .name:           _ZN4vllm3moe17topkGatingSoftmaxIfLi16ELi512ELi2ELi64ELb0ELi8ELNS0_23SharedExpertScoringFuncE1EEEvPKT_PKbPfiPiS9_iiiiii
    .private_segment_fixed_size: 0
    .sgpr_count:     21
    .sgpr_spill_count: 0
    .symbol:         _ZN4vllm3moe17topkGatingSoftmaxIfLi16ELi512ELi2ELi64ELb0ELi8ELNS0_23SharedExpertScoringFuncE1EEEvPKT_PKbPfiPiS9_iiiiii.kd
    .uniform_work_group_size: 1
    .uses_dynamic_stack: false
    .vgpr_count:     53
    .vgpr_spill_count: 0
    .wavefront_size: 32
    .workgroup_processor_mode: 1
  - .args:
      - .address_space:  global
        .offset:         0
        .size:           8
        .value_kind:     global_buffer
      - .address_space:  global
        .offset:         8
        .size:           8
        .value_kind:     global_buffer
      - .address_space:  global
        .offset:         16
        .size:           8
        .value_kind:     global_buffer
      - .offset:         24
        .size:           4
        .value_kind:     by_value
    .group_segment_fixed_size: 40
    .kernarg_segment_align: 8
    .kernarg_segment_size: 28
    .language:       OpenCL C
    .language_version:
      - 2
      - 0
    .max_flat_workgroup_size: 256
    .name:           _ZN4vllm3moe10moeSoftmaxIfLi256EEEvPKT_PKbPfi
    .private_segment_fixed_size: 0
    .sgpr_count:     18
    .sgpr_spill_count: 0
    .symbol:         _ZN4vllm3moe10moeSoftmaxIfLi256EEEvPKT_PKbPfi.kd
    .uniform_work_group_size: 1
    .uses_dynamic_stack: false
    .vgpr_count:     15
    .vgpr_spill_count: 0
    .wavefront_size: 32
    .workgroup_processor_mode: 1
  - .args:
      - .address_space:  global
        .offset:         0
        .size:           8
        .value_kind:     global_buffer
      - .address_space:  global
        .offset:         8
        .size:           8
        .value_kind:     global_buffer
      - .address_space:  global
        .offset:         16
        .size:           8
        .value_kind:     global_buffer
      - .address_space:  global
        .offset:         24
        .size:           8
        .value_kind:     global_buffer
      - .address_space:  global
        .offset:         32
        .size:           8
        .value_kind:     global_buffer
      - .offset:         40
        .size:           4
        .value_kind:     by_value
      - .offset:         44
        .size:           4
        .value_kind:     by_value
      - .offset:         48
        .size:           4
        .value_kind:     by_value
      - .offset:         52
        .size:           4
        .value_kind:     by_value
      - .offset:         56
        .size:           1
        .value_kind:     by_value
      - .offset:         64
        .size:           4
        .value_kind:     hidden_block_count_x
      - .offset:         68
        .size:           4
        .value_kind:     hidden_block_count_y
      - .offset:         72
        .size:           4
        .value_kind:     hidden_block_count_z
      - .offset:         76
        .size:           2
        .value_kind:     hidden_group_size_x
      - .offset:         78
        .size:           2
        .value_kind:     hidden_group_size_y
      - .offset:         80
        .size:           2
        .value_kind:     hidden_group_size_z
      - .offset:         82
        .size:           2
        .value_kind:     hidden_remainder_x
      - .offset:         84
        .size:           2
        .value_kind:     hidden_remainder_y
      - .offset:         86
        .size:           2
        .value_kind:     hidden_remainder_z
      - .offset:         104
        .size:           8
        .value_kind:     hidden_global_offset_x
      - .offset:         112
        .size:           8
        .value_kind:     hidden_global_offset_y
      - .offset:         120
        .size:           8
        .value_kind:     hidden_global_offset_z
      - .offset:         128
        .size:           2
        .value_kind:     hidden_grid_dims
      - .offset:         144
        .size:           8
        .value_kind:     hidden_hostcall_buffer
    .group_segment_fixed_size: 64
    .kernarg_segment_align: 8
    .kernarg_segment_size: 320
    .language:       OpenCL C
    .language_version:
      - 2
      - 0
    .max_flat_workgroup_size: 256
    .name:           _ZN4vllm3moe7moeTopKILi256EEEvPKfPKbPfPiS7_iiiib
    .private_segment_fixed_size: 64
    .sgpr_count:     44
    .sgpr_spill_count: 0
    .symbol:         _ZN4vllm3moe7moeTopKILi256EEEvPKfPKbPfPiS7_iiiib.kd
    .uniform_work_group_size: 1
    .uses_dynamic_stack: false
    .vgpr_count:     39
    .vgpr_spill_count: 0
    .wavefront_size: 32
    .workgroup_processor_mode: 1
  - .args:
      - .address_space:  global
        .offset:         0
        .size:           8
        .value_kind:     global_buffer
      - .address_space:  global
        .offset:         8
        .size:           8
        .value_kind:     global_buffer
      - .offset:         16
        .size:           4
        .value_kind:     by_value
      - .offset:         20
        .size:           4
        .value_kind:     by_value
      - .offset:         24
        .size:           4
        .value_kind:     by_value
      - .offset:         28
        .size:           4
        .value_kind:     by_value
      - .offset:         32
        .size:           4
        .value_kind:     by_value
    .group_segment_fixed_size: 0
    .kernarg_segment_align: 8
    .kernarg_segment_size: 36
    .language:       OpenCL C
    .language_version:
      - 2
      - 0
    .max_flat_workgroup_size: 256
    .name:           _ZN4vllm3moe24applySharedExpertSigmoidIfLi256EEEvPKT_Pfiiiii
    .private_segment_fixed_size: 0
    .sgpr_count:     18
    .sgpr_spill_count: 0
    .symbol:         _ZN4vllm3moe24applySharedExpertSigmoidIfLi256EEEvPKT_Pfiiiii.kd
    .uniform_work_group_size: 1
    .uses_dynamic_stack: false
    .vgpr_count:     9
    .vgpr_spill_count: 0
    .wavefront_size: 32
    .workgroup_processor_mode: 1
  - .args:
      - .address_space:  global
        .offset:         0
        .size:           8
        .value_kind:     global_buffer
      - .address_space:  global
        .offset:         8
        .size:           8
        .value_kind:     global_buffer
      - .address_space:  global
        .offset:         16
        .size:           8
        .value_kind:     global_buffer
      - .offset:         24
        .size:           4
        .value_kind:     by_value
      - .address_space:  global
        .offset:         32
        .size:           8
        .value_kind:     global_buffer
      - .address_space:  global
        .offset:         40
        .size:           8
        .value_kind:     global_buffer
      - .offset:         48
        .size:           4
        .value_kind:     by_value
      - .offset:         52
        .size:           4
        .value_kind:     by_value
      - .offset:         56
        .size:           4
        .value_kind:     by_value
      - .offset:         60
        .size:           4
        .value_kind:     by_value
      - .offset:         64
        .size:           4
        .value_kind:     by_value
      - .offset:         68
        .size:           4
        .value_kind:     by_value
    .group_segment_fixed_size: 0
    .kernarg_segment_align: 8
    .kernarg_segment_size: 72
    .language:       OpenCL C
    .language_version:
      - 2
      - 0
    .max_flat_workgroup_size: 256
    .name:           _ZN4vllm3moe17topkGatingSoftmaxIDF16_Li1ELi1ELi8ELi2ELb1ELi0ELNS0_23SharedExpertScoringFuncE0EEEvPKT_PKbPfiPiS9_iiiiii
    .private_segment_fixed_size: 0
    .sgpr_count:     20
    .sgpr_spill_count: 0
    .symbol:         _ZN4vllm3moe17topkGatingSoftmaxIDF16_Li1ELi1ELi8ELi2ELb1ELi0ELNS0_23SharedExpertScoringFuncE0EEEvPKT_PKbPfiPiS9_iiiiii.kd
    .uniform_work_group_size: 1
    .uses_dynamic_stack: false
    .vgpr_count:     16
    .vgpr_spill_count: 0
    .wavefront_size: 32
    .workgroup_processor_mode: 1
  - .args:
      - .address_space:  global
        .offset:         0
        .size:           8
        .value_kind:     global_buffer
      - .address_space:  global
        .offset:         8
        .size:           8
        .value_kind:     global_buffer
      - .address_space:  global
        .offset:         16
        .size:           8
        .value_kind:     global_buffer
      - .offset:         24
        .size:           4
        .value_kind:     by_value
      - .address_space:  global
        .offset:         32
        .size:           8
        .value_kind:     global_buffer
      - .address_space:  global
        .offset:         40
        .size:           8
        .value_kind:     global_buffer
      - .offset:         48
        .size:           4
        .value_kind:     by_value
      - .offset:         52
        .size:           4
        .value_kind:     by_value
      - .offset:         56
        .size:           4
        .value_kind:     by_value
      - .offset:         60
        .size:           4
        .value_kind:     by_value
      - .offset:         64
        .size:           4
        .value_kind:     by_value
      - .offset:         68
        .size:           4
        .value_kind:     by_value
    .group_segment_fixed_size: 0
    .kernarg_segment_align: 8
    .kernarg_segment_size: 72
    .language:       OpenCL C
    .language_version:
      - 2
      - 0
    .max_flat_workgroup_size: 256
    .name:           _ZN4vllm3moe17topkGatingSoftmaxIDF16_Li1ELi1ELi8ELi2ELb0ELi0ELNS0_23SharedExpertScoringFuncE0EEEvPKT_PKbPfiPiS9_iiiiii
    .private_segment_fixed_size: 0
    .sgpr_count:     18
    .sgpr_spill_count: 0
    .symbol:         _ZN4vllm3moe17topkGatingSoftmaxIDF16_Li1ELi1ELi8ELi2ELb0ELi0ELNS0_23SharedExpertScoringFuncE0EEEvPKT_PKbPfiPiS9_iiiiii.kd
    .uniform_work_group_size: 1
    .uses_dynamic_stack: false
    .vgpr_count:     17
    .vgpr_spill_count: 0
    .wavefront_size: 32
    .workgroup_processor_mode: 1
  - .args:
      - .address_space:  global
        .offset:         0
        .size:           8
        .value_kind:     global_buffer
      - .address_space:  global
        .offset:         8
        .size:           8
        .value_kind:     global_buffer
      - .address_space:  global
        .offset:         16
        .size:           8
        .value_kind:     global_buffer
      - .offset:         24
        .size:           4
        .value_kind:     by_value
      - .address_space:  global
        .offset:         32
        .size:           8
        .value_kind:     global_buffer
      - .address_space:  global
        .offset:         40
        .size:           8
        .value_kind:     global_buffer
      - .offset:         48
        .size:           4
        .value_kind:     by_value
      - .offset:         52
        .size:           4
        .value_kind:     by_value
      - .offset:         56
        .size:           4
        .value_kind:     by_value
      - .offset:         60
        .size:           4
        .value_kind:     by_value
      - .offset:         64
        .size:           4
        .value_kind:     by_value
      - .offset:         68
        .size:           4
        .value_kind:     by_value
    .group_segment_fixed_size: 0
    .kernarg_segment_align: 8
    .kernarg_segment_size: 72
    .language:       OpenCL C
    .language_version:
      - 2
      - 0
    .max_flat_workgroup_size: 256
    .name:           _ZN4vllm3moe17topkGatingSoftmaxIDF16_Li1ELi1ELi8ELi2ELb1ELi1ELNS0_23SharedExpertScoringFuncE1EEEvPKT_PKbPfiPiS9_iiiiii
    .private_segment_fixed_size: 0
    .sgpr_count:     18
    .sgpr_spill_count: 0
    .symbol:         _ZN4vllm3moe17topkGatingSoftmaxIDF16_Li1ELi1ELi8ELi2ELb1ELi1ELNS0_23SharedExpertScoringFuncE1EEEvPKT_PKbPfiPiS9_iiiiii.kd
    .uniform_work_group_size: 1
    .uses_dynamic_stack: false
    .vgpr_count:     17
    .vgpr_spill_count: 0
    .wavefront_size: 32
    .workgroup_processor_mode: 1
  - .args:
      - .address_space:  global
        .offset:         0
        .size:           8
        .value_kind:     global_buffer
      - .address_space:  global
        .offset:         8
        .size:           8
        .value_kind:     global_buffer
      - .address_space:  global
        .offset:         16
        .size:           8
        .value_kind:     global_buffer
      - .offset:         24
        .size:           4
        .value_kind:     by_value
      - .address_space:  global
        .offset:         32
        .size:           8
        .value_kind:     global_buffer
      - .address_space:  global
        .offset:         40
        .size:           8
        .value_kind:     global_buffer
      - .offset:         48
        .size:           4
        .value_kind:     by_value
      - .offset:         52
        .size:           4
        .value_kind:     by_value
      - .offset:         56
        .size:           4
        .value_kind:     by_value
      - .offset:         60
        .size:           4
        .value_kind:     by_value
      - .offset:         64
        .size:           4
        .value_kind:     by_value
      - .offset:         68
        .size:           4
        .value_kind:     by_value
    .group_segment_fixed_size: 0
    .kernarg_segment_align: 8
    .kernarg_segment_size: 72
    .language:       OpenCL C
    .language_version:
      - 2
      - 0
    .max_flat_workgroup_size: 256
    .name:           _ZN4vllm3moe17topkGatingSoftmaxIDF16_Li1ELi1ELi8ELi2ELb0ELi1ELNS0_23SharedExpertScoringFuncE1EEEvPKT_PKbPfiPiS9_iiiiii
    .private_segment_fixed_size: 0
    .sgpr_count:     18
    .sgpr_spill_count: 0
    .symbol:         _ZN4vllm3moe17topkGatingSoftmaxIDF16_Li1ELi1ELi8ELi2ELb0ELi1ELNS0_23SharedExpertScoringFuncE1EEEvPKT_PKbPfiPiS9_iiiiii.kd
    .uniform_work_group_size: 1
    .uses_dynamic_stack: false
    .vgpr_count:     17
    .vgpr_spill_count: 0
    .wavefront_size: 32
    .workgroup_processor_mode: 1
  - .args:
      - .address_space:  global
        .offset:         0
        .size:           8
        .value_kind:     global_buffer
      - .address_space:  global
        .offset:         8
        .size:           8
        .value_kind:     global_buffer
      - .address_space:  global
        .offset:         16
        .size:           8
        .value_kind:     global_buffer
      - .offset:         24
        .size:           4
        .value_kind:     by_value
      - .address_space:  global
        .offset:         32
        .size:           8
        .value_kind:     global_buffer
      - .address_space:  global
        .offset:         40
        .size:           8
        .value_kind:     global_buffer
      - .offset:         48
        .size:           4
        .value_kind:     by_value
      - .offset:         52
        .size:           4
        .value_kind:     by_value
      - .offset:         56
        .size:           4
        .value_kind:     by_value
      - .offset:         60
        .size:           4
        .value_kind:     by_value
      - .offset:         64
        .size:           4
        .value_kind:     by_value
      - .offset:         68
        .size:           4
        .value_kind:     by_value
    .group_segment_fixed_size: 0
    .kernarg_segment_align: 8
    .kernarg_segment_size: 72
    .language:       OpenCL C
    .language_version:
      - 2
      - 0
    .max_flat_workgroup_size: 256
    .name:           _ZN4vllm3moe17topkGatingSoftmaxIDF16_Li1ELi1ELi8ELi2ELb1ELi2ELNS0_23SharedExpertScoringFuncE1EEEvPKT_PKbPfiPiS9_iiiiii
    .private_segment_fixed_size: 0
    .sgpr_count:     18
    .sgpr_spill_count: 0
    .symbol:         _ZN4vllm3moe17topkGatingSoftmaxIDF16_Li1ELi1ELi8ELi2ELb1ELi2ELNS0_23SharedExpertScoringFuncE1EEEvPKT_PKbPfiPiS9_iiiiii.kd
    .uniform_work_group_size: 1
    .uses_dynamic_stack: false
    .vgpr_count:     18
    .vgpr_spill_count: 0
    .wavefront_size: 32
    .workgroup_processor_mode: 1
  - .args:
      - .address_space:  global
        .offset:         0
        .size:           8
        .value_kind:     global_buffer
      - .address_space:  global
        .offset:         8
        .size:           8
        .value_kind:     global_buffer
      - .address_space:  global
        .offset:         16
        .size:           8
        .value_kind:     global_buffer
      - .offset:         24
        .size:           4
        .value_kind:     by_value
      - .address_space:  global
        .offset:         32
        .size:           8
        .value_kind:     global_buffer
      - .address_space:  global
        .offset:         40
        .size:           8
        .value_kind:     global_buffer
      - .offset:         48
        .size:           4
        .value_kind:     by_value
      - .offset:         52
        .size:           4
        .value_kind:     by_value
      - .offset:         56
        .size:           4
        .value_kind:     by_value
      - .offset:         60
        .size:           4
        .value_kind:     by_value
      - .offset:         64
        .size:           4
        .value_kind:     by_value
      - .offset:         68
        .size:           4
        .value_kind:     by_value
    .group_segment_fixed_size: 0
    .kernarg_segment_align: 8
    .kernarg_segment_size: 72
    .language:       OpenCL C
    .language_version:
      - 2
      - 0
    .max_flat_workgroup_size: 256
    .name:           _ZN4vllm3moe17topkGatingSoftmaxIDF16_Li1ELi1ELi8ELi2ELb0ELi2ELNS0_23SharedExpertScoringFuncE1EEEvPKT_PKbPfiPiS9_iiiiii
    .private_segment_fixed_size: 0
    .sgpr_count:     18
    .sgpr_spill_count: 0
    .symbol:         _ZN4vllm3moe17topkGatingSoftmaxIDF16_Li1ELi1ELi8ELi2ELb0ELi2ELNS0_23SharedExpertScoringFuncE1EEEvPKT_PKbPfiPiS9_iiiiii.kd
    .uniform_work_group_size: 1
    .uses_dynamic_stack: false
    .vgpr_count:     19
    .vgpr_spill_count: 0
    .wavefront_size: 32
    .workgroup_processor_mode: 1
  - .args:
      - .address_space:  global
        .offset:         0
        .size:           8
        .value_kind:     global_buffer
      - .address_space:  global
        .offset:         8
        .size:           8
        .value_kind:     global_buffer
      - .address_space:  global
        .offset:         16
        .size:           8
        .value_kind:     global_buffer
      - .offset:         24
        .size:           4
        .value_kind:     by_value
      - .address_space:  global
        .offset:         32
        .size:           8
        .value_kind:     global_buffer
      - .address_space:  global
        .offset:         40
        .size:           8
        .value_kind:     global_buffer
      - .offset:         48
        .size:           4
        .value_kind:     by_value
      - .offset:         52
        .size:           4
        .value_kind:     by_value
      - .offset:         56
        .size:           4
        .value_kind:     by_value
      - .offset:         60
        .size:           4
        .value_kind:     by_value
      - .offset:         64
        .size:           4
        .value_kind:     by_value
      - .offset:         68
        .size:           4
        .value_kind:     by_value
    .group_segment_fixed_size: 0
    .kernarg_segment_align: 8
    .kernarg_segment_size: 72
    .language:       OpenCL C
    .language_version:
      - 2
      - 0
    .max_flat_workgroup_size: 256
    .name:           _ZN4vllm3moe17topkGatingSoftmaxIDF16_Li1ELi1ELi8ELi2ELb1ELi4ELNS0_23SharedExpertScoringFuncE1EEEvPKT_PKbPfiPiS9_iiiiii
    .private_segment_fixed_size: 0
    .sgpr_count:     19
    .sgpr_spill_count: 0
    .symbol:         _ZN4vllm3moe17topkGatingSoftmaxIDF16_Li1ELi1ELi8ELi2ELb1ELi4ELNS0_23SharedExpertScoringFuncE1EEEvPKT_PKbPfiPiS9_iiiiii.kd
    .uniform_work_group_size: 1
    .uses_dynamic_stack: false
    .vgpr_count:     31
    .vgpr_spill_count: 0
    .wavefront_size: 32
    .workgroup_processor_mode: 1
  - .args:
      - .address_space:  global
        .offset:         0
        .size:           8
        .value_kind:     global_buffer
      - .address_space:  global
        .offset:         8
        .size:           8
        .value_kind:     global_buffer
      - .address_space:  global
        .offset:         16
        .size:           8
        .value_kind:     global_buffer
      - .offset:         24
        .size:           4
        .value_kind:     by_value
      - .address_space:  global
        .offset:         32
        .size:           8
        .value_kind:     global_buffer
      - .address_space:  global
        .offset:         40
        .size:           8
        .value_kind:     global_buffer
      - .offset:         48
        .size:           4
        .value_kind:     by_value
      - .offset:         52
        .size:           4
        .value_kind:     by_value
      - .offset:         56
        .size:           4
        .value_kind:     by_value
      - .offset:         60
        .size:           4
        .value_kind:     by_value
      - .offset:         64
        .size:           4
        .value_kind:     by_value
      - .offset:         68
        .size:           4
        .value_kind:     by_value
    .group_segment_fixed_size: 0
    .kernarg_segment_align: 8
    .kernarg_segment_size: 72
    .language:       OpenCL C
    .language_version:
      - 2
      - 0
    .max_flat_workgroup_size: 256
    .name:           _ZN4vllm3moe17topkGatingSoftmaxIDF16_Li1ELi1ELi8ELi2ELb0ELi4ELNS0_23SharedExpertScoringFuncE1EEEvPKT_PKbPfiPiS9_iiiiii
    .private_segment_fixed_size: 0
    .sgpr_count:     19
    .sgpr_spill_count: 0
    .symbol:         _ZN4vllm3moe17topkGatingSoftmaxIDF16_Li1ELi1ELi8ELi2ELb0ELi4ELNS0_23SharedExpertScoringFuncE1EEEvPKT_PKbPfiPiS9_iiiiii.kd
    .uniform_work_group_size: 1
    .uses_dynamic_stack: false
    .vgpr_count:     31
    .vgpr_spill_count: 0
    .wavefront_size: 32
    .workgroup_processor_mode: 1
  - .args:
      - .address_space:  global
        .offset:         0
        .size:           8
        .value_kind:     global_buffer
      - .address_space:  global
        .offset:         8
        .size:           8
        .value_kind:     global_buffer
      - .address_space:  global
        .offset:         16
        .size:           8
        .value_kind:     global_buffer
      - .offset:         24
        .size:           4
        .value_kind:     by_value
      - .address_space:  global
        .offset:         32
        .size:           8
        .value_kind:     global_buffer
      - .address_space:  global
        .offset:         40
        .size:           8
        .value_kind:     global_buffer
      - .offset:         48
        .size:           4
        .value_kind:     by_value
      - .offset:         52
        .size:           4
        .value_kind:     by_value
      - .offset:         56
        .size:           4
        .value_kind:     by_value
      - .offset:         60
        .size:           4
        .value_kind:     by_value
      - .offset:         64
        .size:           4
        .value_kind:     by_value
      - .offset:         68
        .size:           4
        .value_kind:     by_value
    .group_segment_fixed_size: 0
    .kernarg_segment_align: 8
    .kernarg_segment_size: 72
    .language:       OpenCL C
    .language_version:
      - 2
      - 0
    .max_flat_workgroup_size: 256
    .name:           _ZN4vllm3moe17topkGatingSoftmaxIDF16_Li1ELi1ELi8ELi2ELb1ELi8ELNS0_23SharedExpertScoringFuncE1EEEvPKT_PKbPfiPiS9_iiiiii
    .private_segment_fixed_size: 0
    .sgpr_count:     22
    .sgpr_spill_count: 0
    .symbol:         _ZN4vllm3moe17topkGatingSoftmaxIDF16_Li1ELi1ELi8ELi2ELb1ELi8ELNS0_23SharedExpertScoringFuncE1EEEvPKT_PKbPfiPiS9_iiiiii.kd
    .uniform_work_group_size: 1
    .uses_dynamic_stack: false
    .vgpr_count:     52
    .vgpr_spill_count: 0
    .wavefront_size: 32
    .workgroup_processor_mode: 1
  - .args:
      - .address_space:  global
        .offset:         0
        .size:           8
        .value_kind:     global_buffer
      - .address_space:  global
        .offset:         8
        .size:           8
        .value_kind:     global_buffer
      - .address_space:  global
        .offset:         16
        .size:           8
        .value_kind:     global_buffer
      - .offset:         24
        .size:           4
        .value_kind:     by_value
      - .address_space:  global
        .offset:         32
        .size:           8
        .value_kind:     global_buffer
      - .address_space:  global
        .offset:         40
        .size:           8
        .value_kind:     global_buffer
      - .offset:         48
        .size:           4
        .value_kind:     by_value
      - .offset:         52
        .size:           4
        .value_kind:     by_value
      - .offset:         56
        .size:           4
        .value_kind:     by_value
      - .offset:         60
        .size:           4
        .value_kind:     by_value
      - .offset:         64
        .size:           4
        .value_kind:     by_value
      - .offset:         68
        .size:           4
        .value_kind:     by_value
    .group_segment_fixed_size: 0
    .kernarg_segment_align: 8
    .kernarg_segment_size: 72
    .language:       OpenCL C
    .language_version:
      - 2
      - 0
    .max_flat_workgroup_size: 256
    .name:           _ZN4vllm3moe17topkGatingSoftmaxIDF16_Li1ELi1ELi8ELi2ELb0ELi8ELNS0_23SharedExpertScoringFuncE1EEEvPKT_PKbPfiPiS9_iiiiii
    .private_segment_fixed_size: 0
    .sgpr_count:     22
    .sgpr_spill_count: 0
    .symbol:         _ZN4vllm3moe17topkGatingSoftmaxIDF16_Li1ELi1ELi8ELi2ELb0ELi8ELNS0_23SharedExpertScoringFuncE1EEEvPKT_PKbPfiPiS9_iiiiii.kd
    .uniform_work_group_size: 1
    .uses_dynamic_stack: false
    .vgpr_count:     52
    .vgpr_spill_count: 0
    .wavefront_size: 32
    .workgroup_processor_mode: 1
  - .args:
      - .address_space:  global
        .offset:         0
        .size:           8
        .value_kind:     global_buffer
      - .address_space:  global
        .offset:         8
        .size:           8
        .value_kind:     global_buffer
      - .address_space:  global
        .offset:         16
        .size:           8
        .value_kind:     global_buffer
      - .offset:         24
        .size:           4
        .value_kind:     by_value
      - .address_space:  global
        .offset:         32
        .size:           8
        .value_kind:     global_buffer
      - .address_space:  global
        .offset:         40
        .size:           8
        .value_kind:     global_buffer
      - .offset:         48
        .size:           4
        .value_kind:     by_value
      - .offset:         52
        .size:           4
        .value_kind:     by_value
      - .offset:         56
        .size:           4
        .value_kind:     by_value
      - .offset:         60
        .size:           4
        .value_kind:     by_value
      - .offset:         64
        .size:           4
        .value_kind:     by_value
      - .offset:         68
        .size:           4
        .value_kind:     by_value
    .group_segment_fixed_size: 0
    .kernarg_segment_align: 8
    .kernarg_segment_size: 72
    .language:       OpenCL C
    .language_version:
      - 2
      - 0
    .max_flat_workgroup_size: 256
    .name:           _ZN4vllm3moe17topkGatingSoftmaxIDF16_Li2ELi2ELi8ELi4ELb1ELi0ELNS0_23SharedExpertScoringFuncE0EEEvPKT_PKbPfiPiS9_iiiiii
    .private_segment_fixed_size: 0
    .sgpr_count:     24
    .sgpr_spill_count: 0
    .symbol:         _ZN4vllm3moe17topkGatingSoftmaxIDF16_Li2ELi2ELi8ELi4ELb1ELi0ELNS0_23SharedExpertScoringFuncE0EEEvPKT_PKbPfiPiS9_iiiiii.kd
    .uniform_work_group_size: 1
    .uses_dynamic_stack: false
    .vgpr_count:     19
    .vgpr_spill_count: 0
    .wavefront_size: 32
    .workgroup_processor_mode: 1
  - .args:
      - .address_space:  global
        .offset:         0
        .size:           8
        .value_kind:     global_buffer
      - .address_space:  global
        .offset:         8
        .size:           8
        .value_kind:     global_buffer
      - .address_space:  global
        .offset:         16
        .size:           8
        .value_kind:     global_buffer
      - .offset:         24
        .size:           4
        .value_kind:     by_value
      - .address_space:  global
        .offset:         32
        .size:           8
        .value_kind:     global_buffer
      - .address_space:  global
        .offset:         40
        .size:           8
        .value_kind:     global_buffer
      - .offset:         48
        .size:           4
        .value_kind:     by_value
      - .offset:         52
        .size:           4
        .value_kind:     by_value
      - .offset:         56
        .size:           4
        .value_kind:     by_value
      - .offset:         60
        .size:           4
        .value_kind:     by_value
      - .offset:         64
        .size:           4
        .value_kind:     by_value
      - .offset:         68
        .size:           4
        .value_kind:     by_value
    .group_segment_fixed_size: 0
    .kernarg_segment_align: 8
    .kernarg_segment_size: 72
    .language:       OpenCL C
    .language_version:
      - 2
      - 0
    .max_flat_workgroup_size: 256
    .name:           _ZN4vllm3moe17topkGatingSoftmaxIDF16_Li2ELi2ELi8ELi4ELb0ELi0ELNS0_23SharedExpertScoringFuncE0EEEvPKT_PKbPfiPiS9_iiiiii
    .private_segment_fixed_size: 0
    .sgpr_count:     19
    .sgpr_spill_count: 0
    .symbol:         _ZN4vllm3moe17topkGatingSoftmaxIDF16_Li2ELi2ELi8ELi4ELb0ELi0ELNS0_23SharedExpertScoringFuncE0EEEvPKT_PKbPfiPiS9_iiiiii.kd
    .uniform_work_group_size: 1
    .uses_dynamic_stack: false
    .vgpr_count:     20
    .vgpr_spill_count: 0
    .wavefront_size: 32
    .workgroup_processor_mode: 1
  - .args:
      - .address_space:  global
        .offset:         0
        .size:           8
        .value_kind:     global_buffer
      - .address_space:  global
        .offset:         8
        .size:           8
        .value_kind:     global_buffer
      - .address_space:  global
        .offset:         16
        .size:           8
        .value_kind:     global_buffer
      - .offset:         24
        .size:           4
        .value_kind:     by_value
      - .address_space:  global
        .offset:         32
        .size:           8
        .value_kind:     global_buffer
      - .address_space:  global
        .offset:         40
        .size:           8
        .value_kind:     global_buffer
      - .offset:         48
        .size:           4
        .value_kind:     by_value
      - .offset:         52
        .size:           4
        .value_kind:     by_value
      - .offset:         56
        .size:           4
        .value_kind:     by_value
      - .offset:         60
        .size:           4
        .value_kind:     by_value
      - .offset:         64
        .size:           4
        .value_kind:     by_value
      - .offset:         68
        .size:           4
        .value_kind:     by_value
    .group_segment_fixed_size: 0
    .kernarg_segment_align: 8
    .kernarg_segment_size: 72
    .language:       OpenCL C
    .language_version:
      - 2
      - 0
    .max_flat_workgroup_size: 256
    .name:           _ZN4vllm3moe17topkGatingSoftmaxIDF16_Li2ELi2ELi8ELi4ELb1ELi1ELNS0_23SharedExpertScoringFuncE1EEEvPKT_PKbPfiPiS9_iiiiii
    .private_segment_fixed_size: 0
    .sgpr_count:     18
    .sgpr_spill_count: 0
    .symbol:         _ZN4vllm3moe17topkGatingSoftmaxIDF16_Li2ELi2ELi8ELi4ELb1ELi1ELNS0_23SharedExpertScoringFuncE1EEEvPKT_PKbPfiPiS9_iiiiii.kd
    .uniform_work_group_size: 1
    .uses_dynamic_stack: false
    .vgpr_count:     20
    .vgpr_spill_count: 0
    .wavefront_size: 32
    .workgroup_processor_mode: 1
  - .args:
      - .address_space:  global
        .offset:         0
        .size:           8
        .value_kind:     global_buffer
      - .address_space:  global
        .offset:         8
        .size:           8
        .value_kind:     global_buffer
      - .address_space:  global
        .offset:         16
        .size:           8
        .value_kind:     global_buffer
      - .offset:         24
        .size:           4
        .value_kind:     by_value
      - .address_space:  global
        .offset:         32
        .size:           8
        .value_kind:     global_buffer
      - .address_space:  global
        .offset:         40
        .size:           8
        .value_kind:     global_buffer
      - .offset:         48
        .size:           4
        .value_kind:     by_value
      - .offset:         52
        .size:           4
        .value_kind:     by_value
      - .offset:         56
        .size:           4
        .value_kind:     by_value
      - .offset:         60
        .size:           4
        .value_kind:     by_value
      - .offset:         64
        .size:           4
        .value_kind:     by_value
      - .offset:         68
        .size:           4
        .value_kind:     by_value
    .group_segment_fixed_size: 0
    .kernarg_segment_align: 8
    .kernarg_segment_size: 72
    .language:       OpenCL C
    .language_version:
      - 2
      - 0
    .max_flat_workgroup_size: 256
    .name:           _ZN4vllm3moe17topkGatingSoftmaxIDF16_Li2ELi2ELi8ELi4ELb0ELi1ELNS0_23SharedExpertScoringFuncE1EEEvPKT_PKbPfiPiS9_iiiiii
    .private_segment_fixed_size: 0
    .sgpr_count:     19
    .sgpr_spill_count: 0
    .symbol:         _ZN4vllm3moe17topkGatingSoftmaxIDF16_Li2ELi2ELi8ELi4ELb0ELi1ELNS0_23SharedExpertScoringFuncE1EEEvPKT_PKbPfiPiS9_iiiiii.kd
    .uniform_work_group_size: 1
    .uses_dynamic_stack: false
    .vgpr_count:     21
    .vgpr_spill_count: 0
    .wavefront_size: 32
    .workgroup_processor_mode: 1
  - .args:
      - .address_space:  global
        .offset:         0
        .size:           8
        .value_kind:     global_buffer
      - .address_space:  global
        .offset:         8
        .size:           8
        .value_kind:     global_buffer
      - .address_space:  global
        .offset:         16
        .size:           8
        .value_kind:     global_buffer
      - .offset:         24
        .size:           4
        .value_kind:     by_value
      - .address_space:  global
        .offset:         32
        .size:           8
        .value_kind:     global_buffer
      - .address_space:  global
        .offset:         40
        .size:           8
        .value_kind:     global_buffer
      - .offset:         48
        .size:           4
        .value_kind:     by_value
      - .offset:         52
        .size:           4
        .value_kind:     by_value
      - .offset:         56
        .size:           4
        .value_kind:     by_value
      - .offset:         60
        .size:           4
        .value_kind:     by_value
      - .offset:         64
        .size:           4
        .value_kind:     by_value
      - .offset:         68
        .size:           4
        .value_kind:     by_value
    .group_segment_fixed_size: 0
    .kernarg_segment_align: 8
    .kernarg_segment_size: 72
    .language:       OpenCL C
    .language_version:
      - 2
      - 0
    .max_flat_workgroup_size: 256
    .name:           _ZN4vllm3moe17topkGatingSoftmaxIDF16_Li2ELi2ELi8ELi4ELb1ELi2ELNS0_23SharedExpertScoringFuncE1EEEvPKT_PKbPfiPiS9_iiiiii
    .private_segment_fixed_size: 0
    .sgpr_count:     18
    .sgpr_spill_count: 0
    .symbol:         _ZN4vllm3moe17topkGatingSoftmaxIDF16_Li2ELi2ELi8ELi4ELb1ELi2ELNS0_23SharedExpertScoringFuncE1EEEvPKT_PKbPfiPiS9_iiiiii.kd
    .uniform_work_group_size: 1
    .uses_dynamic_stack: false
    .vgpr_count:     20
    .vgpr_spill_count: 0
    .wavefront_size: 32
    .workgroup_processor_mode: 1
  - .args:
      - .address_space:  global
        .offset:         0
        .size:           8
        .value_kind:     global_buffer
      - .address_space:  global
        .offset:         8
        .size:           8
        .value_kind:     global_buffer
      - .address_space:  global
        .offset:         16
        .size:           8
        .value_kind:     global_buffer
      - .offset:         24
        .size:           4
        .value_kind:     by_value
      - .address_space:  global
        .offset:         32
        .size:           8
        .value_kind:     global_buffer
      - .address_space:  global
        .offset:         40
        .size:           8
        .value_kind:     global_buffer
      - .offset:         48
        .size:           4
        .value_kind:     by_value
      - .offset:         52
        .size:           4
        .value_kind:     by_value
      - .offset:         56
        .size:           4
        .value_kind:     by_value
      - .offset:         60
        .size:           4
        .value_kind:     by_value
      - .offset:         64
        .size:           4
        .value_kind:     by_value
      - .offset:         68
        .size:           4
        .value_kind:     by_value
    .group_segment_fixed_size: 0
    .kernarg_segment_align: 8
    .kernarg_segment_size: 72
    .language:       OpenCL C
    .language_version:
      - 2
      - 0
    .max_flat_workgroup_size: 256
    .name:           _ZN4vllm3moe17topkGatingSoftmaxIDF16_Li2ELi2ELi8ELi4ELb0ELi2ELNS0_23SharedExpertScoringFuncE1EEEvPKT_PKbPfiPiS9_iiiiii
    .private_segment_fixed_size: 0
    .sgpr_count:     20
    .sgpr_spill_count: 0
    .symbol:         _ZN4vllm3moe17topkGatingSoftmaxIDF16_Li2ELi2ELi8ELi4ELb0ELi2ELNS0_23SharedExpertScoringFuncE1EEEvPKT_PKbPfiPiS9_iiiiii.kd
    .uniform_work_group_size: 1
    .uses_dynamic_stack: false
    .vgpr_count:     21
    .vgpr_spill_count: 0
    .wavefront_size: 32
    .workgroup_processor_mode: 1
  - .args:
      - .address_space:  global
        .offset:         0
        .size:           8
        .value_kind:     global_buffer
      - .address_space:  global
        .offset:         8
        .size:           8
        .value_kind:     global_buffer
      - .address_space:  global
        .offset:         16
        .size:           8
        .value_kind:     global_buffer
      - .offset:         24
        .size:           4
        .value_kind:     by_value
      - .address_space:  global
        .offset:         32
        .size:           8
        .value_kind:     global_buffer
      - .address_space:  global
        .offset:         40
        .size:           8
        .value_kind:     global_buffer
      - .offset:         48
        .size:           4
        .value_kind:     by_value
      - .offset:         52
        .size:           4
        .value_kind:     by_value
      - .offset:         56
        .size:           4
        .value_kind:     by_value
      - .offset:         60
        .size:           4
        .value_kind:     by_value
      - .offset:         64
        .size:           4
        .value_kind:     by_value
      - .offset:         68
        .size:           4
        .value_kind:     by_value
    .group_segment_fixed_size: 0
    .kernarg_segment_align: 8
    .kernarg_segment_size: 72
    .language:       OpenCL C
    .language_version:
      - 2
      - 0
    .max_flat_workgroup_size: 256
    .name:           _ZN4vllm3moe17topkGatingSoftmaxIDF16_Li2ELi2ELi8ELi4ELb1ELi4ELNS0_23SharedExpertScoringFuncE1EEEvPKT_PKbPfiPiS9_iiiiii
    .private_segment_fixed_size: 0
    .sgpr_count:     19
    .sgpr_spill_count: 0
    .symbol:         _ZN4vllm3moe17topkGatingSoftmaxIDF16_Li2ELi2ELi8ELi4ELb1ELi4ELNS0_23SharedExpertScoringFuncE1EEEvPKT_PKbPfiPiS9_iiiiii.kd
    .uniform_work_group_size: 1
    .uses_dynamic_stack: false
    .vgpr_count:     30
    .vgpr_spill_count: 0
    .wavefront_size: 32
    .workgroup_processor_mode: 1
  - .args:
      - .address_space:  global
        .offset:         0
        .size:           8
        .value_kind:     global_buffer
      - .address_space:  global
        .offset:         8
        .size:           8
        .value_kind:     global_buffer
      - .address_space:  global
        .offset:         16
        .size:           8
        .value_kind:     global_buffer
      - .offset:         24
        .size:           4
        .value_kind:     by_value
      - .address_space:  global
        .offset:         32
        .size:           8
        .value_kind:     global_buffer
      - .address_space:  global
        .offset:         40
        .size:           8
        .value_kind:     global_buffer
      - .offset:         48
        .size:           4
        .value_kind:     by_value
      - .offset:         52
        .size:           4
        .value_kind:     by_value
      - .offset:         56
        .size:           4
        .value_kind:     by_value
      - .offset:         60
        .size:           4
        .value_kind:     by_value
      - .offset:         64
        .size:           4
        .value_kind:     by_value
      - .offset:         68
        .size:           4
        .value_kind:     by_value
    .group_segment_fixed_size: 0
    .kernarg_segment_align: 8
    .kernarg_segment_size: 72
    .language:       OpenCL C
    .language_version:
      - 2
      - 0
    .max_flat_workgroup_size: 256
    .name:           _ZN4vllm3moe17topkGatingSoftmaxIDF16_Li2ELi2ELi8ELi4ELb0ELi4ELNS0_23SharedExpertScoringFuncE1EEEvPKT_PKbPfiPiS9_iiiiii
    .private_segment_fixed_size: 0
    .sgpr_count:     21
    .sgpr_spill_count: 0
    .symbol:         _ZN4vllm3moe17topkGatingSoftmaxIDF16_Li2ELi2ELi8ELi4ELb0ELi4ELNS0_23SharedExpertScoringFuncE1EEEvPKT_PKbPfiPiS9_iiiiii.kd
    .uniform_work_group_size: 1
    .uses_dynamic_stack: false
    .vgpr_count:     32
    .vgpr_spill_count: 0
    .wavefront_size: 32
    .workgroup_processor_mode: 1
  - .args:
      - .address_space:  global
        .offset:         0
        .size:           8
        .value_kind:     global_buffer
      - .address_space:  global
        .offset:         8
        .size:           8
        .value_kind:     global_buffer
      - .address_space:  global
        .offset:         16
        .size:           8
        .value_kind:     global_buffer
      - .offset:         24
        .size:           4
        .value_kind:     by_value
      - .address_space:  global
        .offset:         32
        .size:           8
        .value_kind:     global_buffer
      - .address_space:  global
        .offset:         40
        .size:           8
        .value_kind:     global_buffer
      - .offset:         48
        .size:           4
        .value_kind:     by_value
      - .offset:         52
        .size:           4
        .value_kind:     by_value
      - .offset:         56
        .size:           4
        .value_kind:     by_value
      - .offset:         60
        .size:           4
        .value_kind:     by_value
      - .offset:         64
        .size:           4
        .value_kind:     by_value
      - .offset:         68
        .size:           4
        .value_kind:     by_value
    .group_segment_fixed_size: 0
    .kernarg_segment_align: 8
    .kernarg_segment_size: 72
    .language:       OpenCL C
    .language_version:
      - 2
      - 0
    .max_flat_workgroup_size: 256
    .name:           _ZN4vllm3moe17topkGatingSoftmaxIDF16_Li2ELi2ELi8ELi4ELb1ELi8ELNS0_23SharedExpertScoringFuncE1EEEvPKT_PKbPfiPiS9_iiiiii
    .private_segment_fixed_size: 0
    .sgpr_count:     22
    .sgpr_spill_count: 0
    .symbol:         _ZN4vllm3moe17topkGatingSoftmaxIDF16_Li2ELi2ELi8ELi4ELb1ELi8ELNS0_23SharedExpertScoringFuncE1EEEvPKT_PKbPfiPiS9_iiiiii.kd
    .uniform_work_group_size: 1
    .uses_dynamic_stack: false
    .vgpr_count:     51
    .vgpr_spill_count: 0
    .wavefront_size: 32
    .workgroup_processor_mode: 1
  - .args:
      - .address_space:  global
        .offset:         0
        .size:           8
        .value_kind:     global_buffer
      - .address_space:  global
        .offset:         8
        .size:           8
        .value_kind:     global_buffer
      - .address_space:  global
        .offset:         16
        .size:           8
        .value_kind:     global_buffer
      - .offset:         24
        .size:           4
        .value_kind:     by_value
      - .address_space:  global
        .offset:         32
        .size:           8
        .value_kind:     global_buffer
      - .address_space:  global
        .offset:         40
        .size:           8
        .value_kind:     global_buffer
      - .offset:         48
        .size:           4
        .value_kind:     by_value
      - .offset:         52
        .size:           4
        .value_kind:     by_value
      - .offset:         56
        .size:           4
        .value_kind:     by_value
      - .offset:         60
        .size:           4
        .value_kind:     by_value
      - .offset:         64
        .size:           4
        .value_kind:     by_value
      - .offset:         68
        .size:           4
        .value_kind:     by_value
    .group_segment_fixed_size: 0
    .kernarg_segment_align: 8
    .kernarg_segment_size: 72
    .language:       OpenCL C
    .language_version:
      - 2
      - 0
    .max_flat_workgroup_size: 256
    .name:           _ZN4vllm3moe17topkGatingSoftmaxIDF16_Li2ELi2ELi8ELi4ELb0ELi8ELNS0_23SharedExpertScoringFuncE1EEEvPKT_PKbPfiPiS9_iiiiii
    .private_segment_fixed_size: 0
    .sgpr_count:     23
    .sgpr_spill_count: 0
    .symbol:         _ZN4vllm3moe17topkGatingSoftmaxIDF16_Li2ELi2ELi8ELi4ELb0ELi8ELNS0_23SharedExpertScoringFuncE1EEEvPKT_PKbPfiPiS9_iiiiii.kd
    .uniform_work_group_size: 1
    .uses_dynamic_stack: false
    .vgpr_count:     53
    .vgpr_spill_count: 0
    .wavefront_size: 32
    .workgroup_processor_mode: 1
  - .args:
      - .address_space:  global
        .offset:         0
        .size:           8
        .value_kind:     global_buffer
      - .address_space:  global
        .offset:         8
        .size:           8
        .value_kind:     global_buffer
      - .address_space:  global
        .offset:         16
        .size:           8
        .value_kind:     global_buffer
      - .offset:         24
        .size:           4
        .value_kind:     by_value
      - .address_space:  global
        .offset:         32
        .size:           8
        .value_kind:     global_buffer
      - .address_space:  global
        .offset:         40
        .size:           8
        .value_kind:     global_buffer
      - .offset:         48
        .size:           4
        .value_kind:     by_value
      - .offset:         52
        .size:           4
        .value_kind:     by_value
      - .offset:         56
        .size:           4
        .value_kind:     by_value
      - .offset:         60
        .size:           4
        .value_kind:     by_value
      - .offset:         64
        .size:           4
        .value_kind:     by_value
      - .offset:         68
        .size:           4
        .value_kind:     by_value
    .group_segment_fixed_size: 0
    .kernarg_segment_align: 8
    .kernarg_segment_size: 72
    .language:       OpenCL C
    .language_version:
      - 2
      - 0
    .max_flat_workgroup_size: 256
    .name:           _ZN4vllm3moe17topkGatingSoftmaxIDF16_Li4ELi4ELi8ELi8ELb1ELi0ELNS0_23SharedExpertScoringFuncE0EEEvPKT_PKbPfiPiS9_iiiiii
    .private_segment_fixed_size: 0
    .sgpr_count:     22
    .sgpr_spill_count: 0
    .symbol:         _ZN4vllm3moe17topkGatingSoftmaxIDF16_Li4ELi4ELi8ELi8ELb1ELi0ELNS0_23SharedExpertScoringFuncE0EEEvPKT_PKbPfiPiS9_iiiiii.kd
    .uniform_work_group_size: 1
    .uses_dynamic_stack: false
    .vgpr_count:     21
    .vgpr_spill_count: 0
    .wavefront_size: 32
    .workgroup_processor_mode: 1
  - .args:
      - .address_space:  global
        .offset:         0
        .size:           8
        .value_kind:     global_buffer
      - .address_space:  global
        .offset:         8
        .size:           8
        .value_kind:     global_buffer
      - .address_space:  global
        .offset:         16
        .size:           8
        .value_kind:     global_buffer
      - .offset:         24
        .size:           4
        .value_kind:     by_value
      - .address_space:  global
        .offset:         32
        .size:           8
        .value_kind:     global_buffer
      - .address_space:  global
        .offset:         40
        .size:           8
        .value_kind:     global_buffer
      - .offset:         48
        .size:           4
        .value_kind:     by_value
      - .offset:         52
        .size:           4
        .value_kind:     by_value
      - .offset:         56
        .size:           4
        .value_kind:     by_value
      - .offset:         60
        .size:           4
        .value_kind:     by_value
      - .offset:         64
        .size:           4
        .value_kind:     by_value
      - .offset:         68
        .size:           4
        .value_kind:     by_value
    .group_segment_fixed_size: 0
    .kernarg_segment_align: 8
    .kernarg_segment_size: 72
    .language:       OpenCL C
    .language_version:
      - 2
      - 0
    .max_flat_workgroup_size: 256
    .name:           _ZN4vllm3moe17topkGatingSoftmaxIDF16_Li4ELi4ELi8ELi8ELb0ELi0ELNS0_23SharedExpertScoringFuncE0EEEvPKT_PKbPfiPiS9_iiiiii
    .private_segment_fixed_size: 0
    .sgpr_count:     20
    .sgpr_spill_count: 0
    .symbol:         _ZN4vllm3moe17topkGatingSoftmaxIDF16_Li4ELi4ELi8ELi8ELb0ELi0ELNS0_23SharedExpertScoringFuncE0EEEvPKT_PKbPfiPiS9_iiiiii.kd
    .uniform_work_group_size: 1
    .uses_dynamic_stack: false
    .vgpr_count:     22
    .vgpr_spill_count: 0
    .wavefront_size: 32
    .workgroup_processor_mode: 1
  - .args:
      - .address_space:  global
        .offset:         0
        .size:           8
        .value_kind:     global_buffer
      - .address_space:  global
        .offset:         8
        .size:           8
        .value_kind:     global_buffer
      - .address_space:  global
        .offset:         16
        .size:           8
        .value_kind:     global_buffer
      - .offset:         24
        .size:           4
        .value_kind:     by_value
      - .address_space:  global
        .offset:         32
        .size:           8
        .value_kind:     global_buffer
      - .address_space:  global
        .offset:         40
        .size:           8
        .value_kind:     global_buffer
      - .offset:         48
        .size:           4
        .value_kind:     by_value
      - .offset:         52
        .size:           4
        .value_kind:     by_value
      - .offset:         56
        .size:           4
        .value_kind:     by_value
      - .offset:         60
        .size:           4
        .value_kind:     by_value
      - .offset:         64
        .size:           4
        .value_kind:     by_value
      - .offset:         68
        .size:           4
        .value_kind:     by_value
    .group_segment_fixed_size: 0
    .kernarg_segment_align: 8
    .kernarg_segment_size: 72
    .language:       OpenCL C
    .language_version:
      - 2
      - 0
    .max_flat_workgroup_size: 256
    .name:           _ZN4vllm3moe17topkGatingSoftmaxIDF16_Li4ELi4ELi8ELi8ELb1ELi1ELNS0_23SharedExpertScoringFuncE1EEEvPKT_PKbPfiPiS9_iiiiii
    .private_segment_fixed_size: 0
    .sgpr_count:     18
    .sgpr_spill_count: 0
    .symbol:         _ZN4vllm3moe17topkGatingSoftmaxIDF16_Li4ELi4ELi8ELi8ELb1ELi1ELNS0_23SharedExpertScoringFuncE1EEEvPKT_PKbPfiPiS9_iiiiii.kd
    .uniform_work_group_size: 1
    .uses_dynamic_stack: false
    .vgpr_count:     22
    .vgpr_spill_count: 0
    .wavefront_size: 32
    .workgroup_processor_mode: 1
  - .args:
      - .address_space:  global
        .offset:         0
        .size:           8
        .value_kind:     global_buffer
      - .address_space:  global
        .offset:         8
        .size:           8
        .value_kind:     global_buffer
      - .address_space:  global
        .offset:         16
        .size:           8
        .value_kind:     global_buffer
      - .offset:         24
        .size:           4
        .value_kind:     by_value
      - .address_space:  global
        .offset:         32
        .size:           8
        .value_kind:     global_buffer
      - .address_space:  global
        .offset:         40
        .size:           8
        .value_kind:     global_buffer
      - .offset:         48
        .size:           4
        .value_kind:     by_value
      - .offset:         52
        .size:           4
        .value_kind:     by_value
      - .offset:         56
        .size:           4
        .value_kind:     by_value
      - .offset:         60
        .size:           4
        .value_kind:     by_value
      - .offset:         64
        .size:           4
        .value_kind:     by_value
      - .offset:         68
        .size:           4
        .value_kind:     by_value
    .group_segment_fixed_size: 0
    .kernarg_segment_align: 8
    .kernarg_segment_size: 72
    .language:       OpenCL C
    .language_version:
      - 2
      - 0
    .max_flat_workgroup_size: 256
    .name:           _ZN4vllm3moe17topkGatingSoftmaxIDF16_Li4ELi4ELi8ELi8ELb0ELi1ELNS0_23SharedExpertScoringFuncE1EEEvPKT_PKbPfiPiS9_iiiiii
    .private_segment_fixed_size: 0
    .sgpr_count:     19
    .sgpr_spill_count: 0
    .symbol:         _ZN4vllm3moe17topkGatingSoftmaxIDF16_Li4ELi4ELi8ELi8ELb0ELi1ELNS0_23SharedExpertScoringFuncE1EEEvPKT_PKbPfiPiS9_iiiiii.kd
    .uniform_work_group_size: 1
    .uses_dynamic_stack: false
    .vgpr_count:     23
    .vgpr_spill_count: 0
    .wavefront_size: 32
    .workgroup_processor_mode: 1
  - .args:
      - .address_space:  global
        .offset:         0
        .size:           8
        .value_kind:     global_buffer
      - .address_space:  global
        .offset:         8
        .size:           8
        .value_kind:     global_buffer
      - .address_space:  global
        .offset:         16
        .size:           8
        .value_kind:     global_buffer
      - .offset:         24
        .size:           4
        .value_kind:     by_value
      - .address_space:  global
        .offset:         32
        .size:           8
        .value_kind:     global_buffer
      - .address_space:  global
        .offset:         40
        .size:           8
        .value_kind:     global_buffer
      - .offset:         48
        .size:           4
        .value_kind:     by_value
      - .offset:         52
        .size:           4
        .value_kind:     by_value
      - .offset:         56
        .size:           4
        .value_kind:     by_value
      - .offset:         60
        .size:           4
        .value_kind:     by_value
      - .offset:         64
        .size:           4
        .value_kind:     by_value
      - .offset:         68
        .size:           4
        .value_kind:     by_value
    .group_segment_fixed_size: 0
    .kernarg_segment_align: 8
    .kernarg_segment_size: 72
    .language:       OpenCL C
    .language_version:
      - 2
      - 0
    .max_flat_workgroup_size: 256
    .name:           _ZN4vllm3moe17topkGatingSoftmaxIDF16_Li4ELi4ELi8ELi8ELb1ELi2ELNS0_23SharedExpertScoringFuncE1EEEvPKT_PKbPfiPiS9_iiiiii
    .private_segment_fixed_size: 0
    .sgpr_count:     18
    .sgpr_spill_count: 0
    .symbol:         _ZN4vllm3moe17topkGatingSoftmaxIDF16_Li4ELi4ELi8ELi8ELb1ELi2ELNS0_23SharedExpertScoringFuncE1EEEvPKT_PKbPfiPiS9_iiiiii.kd
    .uniform_work_group_size: 1
    .uses_dynamic_stack: false
    .vgpr_count:     22
    .vgpr_spill_count: 0
    .wavefront_size: 32
    .workgroup_processor_mode: 1
  - .args:
      - .address_space:  global
        .offset:         0
        .size:           8
        .value_kind:     global_buffer
      - .address_space:  global
        .offset:         8
        .size:           8
        .value_kind:     global_buffer
      - .address_space:  global
        .offset:         16
        .size:           8
        .value_kind:     global_buffer
      - .offset:         24
        .size:           4
        .value_kind:     by_value
      - .address_space:  global
        .offset:         32
        .size:           8
        .value_kind:     global_buffer
      - .address_space:  global
        .offset:         40
        .size:           8
        .value_kind:     global_buffer
      - .offset:         48
        .size:           4
        .value_kind:     by_value
      - .offset:         52
        .size:           4
        .value_kind:     by_value
      - .offset:         56
        .size:           4
        .value_kind:     by_value
      - .offset:         60
        .size:           4
        .value_kind:     by_value
      - .offset:         64
        .size:           4
        .value_kind:     by_value
      - .offset:         68
        .size:           4
        .value_kind:     by_value
    .group_segment_fixed_size: 0
    .kernarg_segment_align: 8
    .kernarg_segment_size: 72
    .language:       OpenCL C
    .language_version:
      - 2
      - 0
    .max_flat_workgroup_size: 256
    .name:           _ZN4vllm3moe17topkGatingSoftmaxIDF16_Li4ELi4ELi8ELi8ELb0ELi2ELNS0_23SharedExpertScoringFuncE1EEEvPKT_PKbPfiPiS9_iiiiii
    .private_segment_fixed_size: 0
    .sgpr_count:     19
    .sgpr_spill_count: 0
    .symbol:         _ZN4vllm3moe17topkGatingSoftmaxIDF16_Li4ELi4ELi8ELi8ELb0ELi2ELNS0_23SharedExpertScoringFuncE1EEEvPKT_PKbPfiPiS9_iiiiii.kd
    .uniform_work_group_size: 1
    .uses_dynamic_stack: false
    .vgpr_count:     25
    .vgpr_spill_count: 0
    .wavefront_size: 32
    .workgroup_processor_mode: 1
  - .args:
      - .address_space:  global
        .offset:         0
        .size:           8
        .value_kind:     global_buffer
      - .address_space:  global
        .offset:         8
        .size:           8
        .value_kind:     global_buffer
      - .address_space:  global
        .offset:         16
        .size:           8
        .value_kind:     global_buffer
      - .offset:         24
        .size:           4
        .value_kind:     by_value
      - .address_space:  global
        .offset:         32
        .size:           8
        .value_kind:     global_buffer
      - .address_space:  global
        .offset:         40
        .size:           8
        .value_kind:     global_buffer
      - .offset:         48
        .size:           4
        .value_kind:     by_value
      - .offset:         52
        .size:           4
        .value_kind:     by_value
      - .offset:         56
        .size:           4
        .value_kind:     by_value
      - .offset:         60
        .size:           4
        .value_kind:     by_value
      - .offset:         64
        .size:           4
        .value_kind:     by_value
      - .offset:         68
        .size:           4
        .value_kind:     by_value
    .group_segment_fixed_size: 0
    .kernarg_segment_align: 8
    .kernarg_segment_size: 72
    .language:       OpenCL C
    .language_version:
      - 2
      - 0
    .max_flat_workgroup_size: 256
    .name:           _ZN4vllm3moe17topkGatingSoftmaxIDF16_Li4ELi4ELi8ELi8ELb1ELi4ELNS0_23SharedExpertScoringFuncE1EEEvPKT_PKbPfiPiS9_iiiiii
    .private_segment_fixed_size: 0
    .sgpr_count:     19
    .sgpr_spill_count: 0
    .symbol:         _ZN4vllm3moe17topkGatingSoftmaxIDF16_Li4ELi4ELi8ELi8ELb1ELi4ELNS0_23SharedExpertScoringFuncE1EEEvPKT_PKbPfiPiS9_iiiiii.kd
    .uniform_work_group_size: 1
    .uses_dynamic_stack: false
    .vgpr_count:     31
    .vgpr_spill_count: 0
    .wavefront_size: 32
    .workgroup_processor_mode: 1
  - .args:
      - .address_space:  global
        .offset:         0
        .size:           8
        .value_kind:     global_buffer
      - .address_space:  global
        .offset:         8
        .size:           8
        .value_kind:     global_buffer
      - .address_space:  global
        .offset:         16
        .size:           8
        .value_kind:     global_buffer
      - .offset:         24
        .size:           4
        .value_kind:     by_value
      - .address_space:  global
        .offset:         32
        .size:           8
        .value_kind:     global_buffer
      - .address_space:  global
        .offset:         40
        .size:           8
        .value_kind:     global_buffer
      - .offset:         48
        .size:           4
        .value_kind:     by_value
      - .offset:         52
        .size:           4
        .value_kind:     by_value
      - .offset:         56
        .size:           4
        .value_kind:     by_value
      - .offset:         60
        .size:           4
        .value_kind:     by_value
      - .offset:         64
        .size:           4
        .value_kind:     by_value
      - .offset:         68
        .size:           4
        .value_kind:     by_value
    .group_segment_fixed_size: 0
    .kernarg_segment_align: 8
    .kernarg_segment_size: 72
    .language:       OpenCL C
    .language_version:
      - 2
      - 0
    .max_flat_workgroup_size: 256
    .name:           _ZN4vllm3moe17topkGatingSoftmaxIDF16_Li4ELi4ELi8ELi8ELb0ELi4ELNS0_23SharedExpertScoringFuncE1EEEvPKT_PKbPfiPiS9_iiiiii
    .private_segment_fixed_size: 0
    .sgpr_count:     21
    .sgpr_spill_count: 0
    .symbol:         _ZN4vllm3moe17topkGatingSoftmaxIDF16_Li4ELi4ELi8ELi8ELb0ELi4ELNS0_23SharedExpertScoringFuncE1EEEvPKT_PKbPfiPiS9_iiiiii.kd
    .uniform_work_group_size: 1
    .uses_dynamic_stack: false
    .vgpr_count:     35
    .vgpr_spill_count: 0
    .wavefront_size: 32
    .workgroup_processor_mode: 1
  - .args:
      - .address_space:  global
        .offset:         0
        .size:           8
        .value_kind:     global_buffer
      - .address_space:  global
        .offset:         8
        .size:           8
        .value_kind:     global_buffer
      - .address_space:  global
        .offset:         16
        .size:           8
        .value_kind:     global_buffer
      - .offset:         24
        .size:           4
        .value_kind:     by_value
      - .address_space:  global
        .offset:         32
        .size:           8
        .value_kind:     global_buffer
      - .address_space:  global
        .offset:         40
        .size:           8
        .value_kind:     global_buffer
      - .offset:         48
        .size:           4
        .value_kind:     by_value
      - .offset:         52
        .size:           4
        .value_kind:     by_value
      - .offset:         56
        .size:           4
        .value_kind:     by_value
      - .offset:         60
        .size:           4
        .value_kind:     by_value
      - .offset:         64
        .size:           4
        .value_kind:     by_value
      - .offset:         68
        .size:           4
        .value_kind:     by_value
    .group_segment_fixed_size: 0
    .kernarg_segment_align: 8
    .kernarg_segment_size: 72
    .language:       OpenCL C
    .language_version:
      - 2
      - 0
    .max_flat_workgroup_size: 256
    .name:           _ZN4vllm3moe17topkGatingSoftmaxIDF16_Li4ELi4ELi8ELi8ELb1ELi8ELNS0_23SharedExpertScoringFuncE1EEEvPKT_PKbPfiPiS9_iiiiii
    .private_segment_fixed_size: 0
    .sgpr_count:     22
    .sgpr_spill_count: 0
    .symbol:         _ZN4vllm3moe17topkGatingSoftmaxIDF16_Li4ELi4ELi8ELi8ELb1ELi8ELNS0_23SharedExpertScoringFuncE1EEEvPKT_PKbPfiPiS9_iiiiii.kd
    .uniform_work_group_size: 1
    .uses_dynamic_stack: false
    .vgpr_count:     52
    .vgpr_spill_count: 0
    .wavefront_size: 32
    .workgroup_processor_mode: 1
  - .args:
      - .address_space:  global
        .offset:         0
        .size:           8
        .value_kind:     global_buffer
      - .address_space:  global
        .offset:         8
        .size:           8
        .value_kind:     global_buffer
      - .address_space:  global
        .offset:         16
        .size:           8
        .value_kind:     global_buffer
      - .offset:         24
        .size:           4
        .value_kind:     by_value
      - .address_space:  global
        .offset:         32
        .size:           8
        .value_kind:     global_buffer
      - .address_space:  global
        .offset:         40
        .size:           8
        .value_kind:     global_buffer
      - .offset:         48
        .size:           4
        .value_kind:     by_value
      - .offset:         52
        .size:           4
        .value_kind:     by_value
      - .offset:         56
        .size:           4
        .value_kind:     by_value
      - .offset:         60
        .size:           4
        .value_kind:     by_value
      - .offset:         64
        .size:           4
        .value_kind:     by_value
      - .offset:         68
        .size:           4
        .value_kind:     by_value
    .group_segment_fixed_size: 0
    .kernarg_segment_align: 8
    .kernarg_segment_size: 72
    .language:       OpenCL C
    .language_version:
      - 2
      - 0
    .max_flat_workgroup_size: 256
    .name:           _ZN4vllm3moe17topkGatingSoftmaxIDF16_Li4ELi4ELi8ELi8ELb0ELi8ELNS0_23SharedExpertScoringFuncE1EEEvPKT_PKbPfiPiS9_iiiiii
    .private_segment_fixed_size: 0
    .sgpr_count:     25
    .sgpr_spill_count: 0
    .symbol:         _ZN4vllm3moe17topkGatingSoftmaxIDF16_Li4ELi4ELi8ELi8ELb0ELi8ELNS0_23SharedExpertScoringFuncE1EEEvPKT_PKbPfiPiS9_iiiiii.kd
    .uniform_work_group_size: 1
    .uses_dynamic_stack: false
    .vgpr_count:     55
    .vgpr_spill_count: 0
    .wavefront_size: 32
    .workgroup_processor_mode: 1
  - .args:
      - .address_space:  global
        .offset:         0
        .size:           8
        .value_kind:     global_buffer
      - .address_space:  global
        .offset:         8
        .size:           8
        .value_kind:     global_buffer
      - .address_space:  global
        .offset:         16
        .size:           8
        .value_kind:     global_buffer
      - .offset:         24
        .size:           4
        .value_kind:     by_value
      - .address_space:  global
        .offset:         32
        .size:           8
        .value_kind:     global_buffer
      - .address_space:  global
        .offset:         40
        .size:           8
        .value_kind:     global_buffer
      - .offset:         48
        .size:           4
        .value_kind:     by_value
      - .offset:         52
        .size:           4
        .value_kind:     by_value
      - .offset:         56
        .size:           4
        .value_kind:     by_value
      - .offset:         60
        .size:           4
        .value_kind:     by_value
      - .offset:         64
        .size:           4
        .value_kind:     by_value
      - .offset:         68
        .size:           4
        .value_kind:     by_value
    .group_segment_fixed_size: 0
    .kernarg_segment_align: 8
    .kernarg_segment_size: 72
    .language:       OpenCL C
    .language_version:
      - 2
      - 0
    .max_flat_workgroup_size: 256
    .name:           _ZN4vllm3moe17topkGatingSoftmaxIDF16_Li8ELi8ELi8ELi16ELb1ELi0ELNS0_23SharedExpertScoringFuncE0EEEvPKT_PKbPfiPiS9_iiiiii
    .private_segment_fixed_size: 0
    .sgpr_count:     22
    .sgpr_spill_count: 0
    .symbol:         _ZN4vllm3moe17topkGatingSoftmaxIDF16_Li8ELi8ELi8ELi16ELb1ELi0ELNS0_23SharedExpertScoringFuncE0EEEvPKT_PKbPfiPiS9_iiiiii.kd
    .uniform_work_group_size: 1
    .uses_dynamic_stack: false
    .vgpr_count:     25
    .vgpr_spill_count: 0
    .wavefront_size: 32
    .workgroup_processor_mode: 1
  - .args:
      - .address_space:  global
        .offset:         0
        .size:           8
        .value_kind:     global_buffer
      - .address_space:  global
        .offset:         8
        .size:           8
        .value_kind:     global_buffer
      - .address_space:  global
        .offset:         16
        .size:           8
        .value_kind:     global_buffer
      - .offset:         24
        .size:           4
        .value_kind:     by_value
      - .address_space:  global
        .offset:         32
        .size:           8
        .value_kind:     global_buffer
      - .address_space:  global
        .offset:         40
        .size:           8
        .value_kind:     global_buffer
      - .offset:         48
        .size:           4
        .value_kind:     by_value
      - .offset:         52
        .size:           4
        .value_kind:     by_value
      - .offset:         56
        .size:           4
        .value_kind:     by_value
      - .offset:         60
        .size:           4
        .value_kind:     by_value
      - .offset:         64
        .size:           4
        .value_kind:     by_value
      - .offset:         68
        .size:           4
        .value_kind:     by_value
    .group_segment_fixed_size: 0
    .kernarg_segment_align: 8
    .kernarg_segment_size: 72
    .language:       OpenCL C
    .language_version:
      - 2
      - 0
    .max_flat_workgroup_size: 256
    .name:           _ZN4vllm3moe17topkGatingSoftmaxIDF16_Li8ELi8ELi8ELi16ELb0ELi0ELNS0_23SharedExpertScoringFuncE0EEEvPKT_PKbPfiPiS9_iiiiii
    .private_segment_fixed_size: 0
    .sgpr_count:     21
    .sgpr_spill_count: 0
    .symbol:         _ZN4vllm3moe17topkGatingSoftmaxIDF16_Li8ELi8ELi8ELi16ELb0ELi0ELNS0_23SharedExpertScoringFuncE0EEEvPKT_PKbPfiPiS9_iiiiii.kd
    .uniform_work_group_size: 1
    .uses_dynamic_stack: false
    .vgpr_count:     25
    .vgpr_spill_count: 0
    .wavefront_size: 32
    .workgroup_processor_mode: 1
  - .args:
      - .address_space:  global
        .offset:         0
        .size:           8
        .value_kind:     global_buffer
      - .address_space:  global
        .offset:         8
        .size:           8
        .value_kind:     global_buffer
      - .address_space:  global
        .offset:         16
        .size:           8
        .value_kind:     global_buffer
      - .offset:         24
        .size:           4
        .value_kind:     by_value
      - .address_space:  global
        .offset:         32
        .size:           8
        .value_kind:     global_buffer
      - .address_space:  global
        .offset:         40
        .size:           8
        .value_kind:     global_buffer
      - .offset:         48
        .size:           4
        .value_kind:     by_value
      - .offset:         52
        .size:           4
        .value_kind:     by_value
      - .offset:         56
        .size:           4
        .value_kind:     by_value
      - .offset:         60
        .size:           4
        .value_kind:     by_value
      - .offset:         64
        .size:           4
        .value_kind:     by_value
      - .offset:         68
        .size:           4
        .value_kind:     by_value
    .group_segment_fixed_size: 0
    .kernarg_segment_align: 8
    .kernarg_segment_size: 72
    .language:       OpenCL C
    .language_version:
      - 2
      - 0
    .max_flat_workgroup_size: 256
    .name:           _ZN4vllm3moe17topkGatingSoftmaxIDF16_Li8ELi8ELi8ELi16ELb1ELi1ELNS0_23SharedExpertScoringFuncE1EEEvPKT_PKbPfiPiS9_iiiiii
    .private_segment_fixed_size: 0
    .sgpr_count:     18
    .sgpr_spill_count: 0
    .symbol:         _ZN4vllm3moe17topkGatingSoftmaxIDF16_Li8ELi8ELi8ELi16ELb1ELi1ELNS0_23SharedExpertScoringFuncE1EEEvPKT_PKbPfiPiS9_iiiiii.kd
    .uniform_work_group_size: 1
    .uses_dynamic_stack: false
    .vgpr_count:     26
    .vgpr_spill_count: 0
    .wavefront_size: 32
    .workgroup_processor_mode: 1
  - .args:
      - .address_space:  global
        .offset:         0
        .size:           8
        .value_kind:     global_buffer
      - .address_space:  global
        .offset:         8
        .size:           8
        .value_kind:     global_buffer
      - .address_space:  global
        .offset:         16
        .size:           8
        .value_kind:     global_buffer
      - .offset:         24
        .size:           4
        .value_kind:     by_value
      - .address_space:  global
        .offset:         32
        .size:           8
        .value_kind:     global_buffer
      - .address_space:  global
        .offset:         40
        .size:           8
        .value_kind:     global_buffer
      - .offset:         48
        .size:           4
        .value_kind:     by_value
      - .offset:         52
        .size:           4
        .value_kind:     by_value
      - .offset:         56
        .size:           4
        .value_kind:     by_value
      - .offset:         60
        .size:           4
        .value_kind:     by_value
      - .offset:         64
        .size:           4
        .value_kind:     by_value
      - .offset:         68
        .size:           4
        .value_kind:     by_value
    .group_segment_fixed_size: 0
    .kernarg_segment_align: 8
    .kernarg_segment_size: 72
    .language:       OpenCL C
    .language_version:
      - 2
      - 0
    .max_flat_workgroup_size: 256
    .name:           _ZN4vllm3moe17topkGatingSoftmaxIDF16_Li8ELi8ELi8ELi16ELb0ELi1ELNS0_23SharedExpertScoringFuncE1EEEvPKT_PKbPfiPiS9_iiiiii
    .private_segment_fixed_size: 0
    .sgpr_count:     21
    .sgpr_spill_count: 0
    .symbol:         _ZN4vllm3moe17topkGatingSoftmaxIDF16_Li8ELi8ELi8ELi16ELb0ELi1ELNS0_23SharedExpertScoringFuncE1EEEvPKT_PKbPfiPiS9_iiiiii.kd
    .uniform_work_group_size: 1
    .uses_dynamic_stack: false
    .vgpr_count:     26
    .vgpr_spill_count: 0
    .wavefront_size: 32
    .workgroup_processor_mode: 1
  - .args:
      - .address_space:  global
        .offset:         0
        .size:           8
        .value_kind:     global_buffer
      - .address_space:  global
        .offset:         8
        .size:           8
        .value_kind:     global_buffer
      - .address_space:  global
        .offset:         16
        .size:           8
        .value_kind:     global_buffer
      - .offset:         24
        .size:           4
        .value_kind:     by_value
      - .address_space:  global
        .offset:         32
        .size:           8
        .value_kind:     global_buffer
      - .address_space:  global
        .offset:         40
        .size:           8
        .value_kind:     global_buffer
      - .offset:         48
        .size:           4
        .value_kind:     by_value
      - .offset:         52
        .size:           4
        .value_kind:     by_value
      - .offset:         56
        .size:           4
        .value_kind:     by_value
      - .offset:         60
        .size:           4
        .value_kind:     by_value
      - .offset:         64
        .size:           4
        .value_kind:     by_value
      - .offset:         68
        .size:           4
        .value_kind:     by_value
    .group_segment_fixed_size: 0
    .kernarg_segment_align: 8
    .kernarg_segment_size: 72
    .language:       OpenCL C
    .language_version:
      - 2
      - 0
    .max_flat_workgroup_size: 256
    .name:           _ZN4vllm3moe17topkGatingSoftmaxIDF16_Li8ELi8ELi8ELi16ELb1ELi2ELNS0_23SharedExpertScoringFuncE1EEEvPKT_PKbPfiPiS9_iiiiii
    .private_segment_fixed_size: 0
    .sgpr_count:     18
    .sgpr_spill_count: 0
    .symbol:         _ZN4vllm3moe17topkGatingSoftmaxIDF16_Li8ELi8ELi8ELi16ELb1ELi2ELNS0_23SharedExpertScoringFuncE1EEEvPKT_PKbPfiPiS9_iiiiii.kd
    .uniform_work_group_size: 1
    .uses_dynamic_stack: false
    .vgpr_count:     26
    .vgpr_spill_count: 0
    .wavefront_size: 32
    .workgroup_processor_mode: 1
  - .args:
      - .address_space:  global
        .offset:         0
        .size:           8
        .value_kind:     global_buffer
      - .address_space:  global
        .offset:         8
        .size:           8
        .value_kind:     global_buffer
      - .address_space:  global
        .offset:         16
        .size:           8
        .value_kind:     global_buffer
      - .offset:         24
        .size:           4
        .value_kind:     by_value
      - .address_space:  global
        .offset:         32
        .size:           8
        .value_kind:     global_buffer
      - .address_space:  global
        .offset:         40
        .size:           8
        .value_kind:     global_buffer
      - .offset:         48
        .size:           4
        .value_kind:     by_value
      - .offset:         52
        .size:           4
        .value_kind:     by_value
      - .offset:         56
        .size:           4
        .value_kind:     by_value
      - .offset:         60
        .size:           4
        .value_kind:     by_value
      - .offset:         64
        .size:           4
        .value_kind:     by_value
      - .offset:         68
        .size:           4
        .value_kind:     by_value
    .group_segment_fixed_size: 0
    .kernarg_segment_align: 8
    .kernarg_segment_size: 72
    .language:       OpenCL C
    .language_version:
      - 2
      - 0
    .max_flat_workgroup_size: 256
    .name:           _ZN4vllm3moe17topkGatingSoftmaxIDF16_Li8ELi8ELi8ELi16ELb0ELi2ELNS0_23SharedExpertScoringFuncE1EEEvPKT_PKbPfiPiS9_iiiiii
    .private_segment_fixed_size: 0
    .sgpr_count:     22
    .sgpr_spill_count: 0
    .symbol:         _ZN4vllm3moe17topkGatingSoftmaxIDF16_Li8ELi8ELi8ELi16ELb0ELi2ELNS0_23SharedExpertScoringFuncE1EEEvPKT_PKbPfiPiS9_iiiiii.kd
    .uniform_work_group_size: 1
    .uses_dynamic_stack: false
    .vgpr_count:     28
    .vgpr_spill_count: 0
    .wavefront_size: 32
    .workgroup_processor_mode: 1
  - .args:
      - .address_space:  global
        .offset:         0
        .size:           8
        .value_kind:     global_buffer
      - .address_space:  global
        .offset:         8
        .size:           8
        .value_kind:     global_buffer
      - .address_space:  global
        .offset:         16
        .size:           8
        .value_kind:     global_buffer
      - .offset:         24
        .size:           4
        .value_kind:     by_value
      - .address_space:  global
        .offset:         32
        .size:           8
        .value_kind:     global_buffer
      - .address_space:  global
        .offset:         40
        .size:           8
        .value_kind:     global_buffer
      - .offset:         48
        .size:           4
        .value_kind:     by_value
      - .offset:         52
        .size:           4
        .value_kind:     by_value
      - .offset:         56
        .size:           4
        .value_kind:     by_value
      - .offset:         60
        .size:           4
        .value_kind:     by_value
      - .offset:         64
        .size:           4
        .value_kind:     by_value
      - .offset:         68
        .size:           4
        .value_kind:     by_value
    .group_segment_fixed_size: 0
    .kernarg_segment_align: 8
    .kernarg_segment_size: 72
    .language:       OpenCL C
    .language_version:
      - 2
      - 0
    .max_flat_workgroup_size: 256
    .name:           _ZN4vllm3moe17topkGatingSoftmaxIDF16_Li8ELi8ELi8ELi16ELb1ELi4ELNS0_23SharedExpertScoringFuncE1EEEvPKT_PKbPfiPiS9_iiiiii
    .private_segment_fixed_size: 0
    .sgpr_count:     19
    .sgpr_spill_count: 0
    .symbol:         _ZN4vllm3moe17topkGatingSoftmaxIDF16_Li8ELi8ELi8ELi16ELb1ELi4ELNS0_23SharedExpertScoringFuncE1EEEvPKT_PKbPfiPiS9_iiiiii.kd
    .uniform_work_group_size: 1
    .uses_dynamic_stack: false
    .vgpr_count:     33
    .vgpr_spill_count: 0
    .wavefront_size: 32
    .workgroup_processor_mode: 1
  - .args:
      - .address_space:  global
        .offset:         0
        .size:           8
        .value_kind:     global_buffer
      - .address_space:  global
        .offset:         8
        .size:           8
        .value_kind:     global_buffer
      - .address_space:  global
        .offset:         16
        .size:           8
        .value_kind:     global_buffer
      - .offset:         24
        .size:           4
        .value_kind:     by_value
      - .address_space:  global
        .offset:         32
        .size:           8
        .value_kind:     global_buffer
      - .address_space:  global
        .offset:         40
        .size:           8
        .value_kind:     global_buffer
      - .offset:         48
        .size:           4
        .value_kind:     by_value
      - .offset:         52
        .size:           4
        .value_kind:     by_value
      - .offset:         56
        .size:           4
        .value_kind:     by_value
      - .offset:         60
        .size:           4
        .value_kind:     by_value
      - .offset:         64
        .size:           4
        .value_kind:     by_value
      - .offset:         68
        .size:           4
        .value_kind:     by_value
    .group_segment_fixed_size: 0
    .kernarg_segment_align: 8
    .kernarg_segment_size: 72
    .language:       OpenCL C
    .language_version:
      - 2
      - 0
    .max_flat_workgroup_size: 256
    .name:           _ZN4vllm3moe17topkGatingSoftmaxIDF16_Li8ELi8ELi8ELi16ELb0ELi4ELNS0_23SharedExpertScoringFuncE1EEEvPKT_PKbPfiPiS9_iiiiii
    .private_segment_fixed_size: 0
    .sgpr_count:     25
    .sgpr_spill_count: 0
    .symbol:         _ZN4vllm3moe17topkGatingSoftmaxIDF16_Li8ELi8ELi8ELi16ELb0ELi4ELNS0_23SharedExpertScoringFuncE1EEEvPKT_PKbPfiPiS9_iiiiii.kd
    .uniform_work_group_size: 1
    .uses_dynamic_stack: false
    .vgpr_count:     38
    .vgpr_spill_count: 0
    .wavefront_size: 32
    .workgroup_processor_mode: 1
  - .args:
      - .address_space:  global
        .offset:         0
        .size:           8
        .value_kind:     global_buffer
      - .address_space:  global
        .offset:         8
        .size:           8
        .value_kind:     global_buffer
      - .address_space:  global
        .offset:         16
        .size:           8
        .value_kind:     global_buffer
      - .offset:         24
        .size:           4
        .value_kind:     by_value
      - .address_space:  global
        .offset:         32
        .size:           8
        .value_kind:     global_buffer
      - .address_space:  global
        .offset:         40
        .size:           8
        .value_kind:     global_buffer
      - .offset:         48
        .size:           4
        .value_kind:     by_value
      - .offset:         52
        .size:           4
        .value_kind:     by_value
      - .offset:         56
        .size:           4
        .value_kind:     by_value
      - .offset:         60
        .size:           4
        .value_kind:     by_value
      - .offset:         64
        .size:           4
        .value_kind:     by_value
      - .offset:         68
        .size:           4
        .value_kind:     by_value
    .group_segment_fixed_size: 0
    .kernarg_segment_align: 8
    .kernarg_segment_size: 72
    .language:       OpenCL C
    .language_version:
      - 2
      - 0
    .max_flat_workgroup_size: 256
    .name:           _ZN4vllm3moe17topkGatingSoftmaxIDF16_Li8ELi8ELi8ELi16ELb1ELi8ELNS0_23SharedExpertScoringFuncE1EEEvPKT_PKbPfiPiS9_iiiiii
    .private_segment_fixed_size: 0
    .sgpr_count:     22
    .sgpr_spill_count: 0
    .symbol:         _ZN4vllm3moe17topkGatingSoftmaxIDF16_Li8ELi8ELi8ELi16ELb1ELi8ELNS0_23SharedExpertScoringFuncE1EEEvPKT_PKbPfiPiS9_iiiiii.kd
    .uniform_work_group_size: 1
    .uses_dynamic_stack: false
    .vgpr_count:     54
    .vgpr_spill_count: 0
    .wavefront_size: 32
    .workgroup_processor_mode: 1
  - .args:
      - .address_space:  global
        .offset:         0
        .size:           8
        .value_kind:     global_buffer
      - .address_space:  global
        .offset:         8
        .size:           8
        .value_kind:     global_buffer
      - .address_space:  global
        .offset:         16
        .size:           8
        .value_kind:     global_buffer
      - .offset:         24
        .size:           4
        .value_kind:     by_value
      - .address_space:  global
        .offset:         32
        .size:           8
        .value_kind:     global_buffer
      - .address_space:  global
        .offset:         40
        .size:           8
        .value_kind:     global_buffer
      - .offset:         48
        .size:           4
        .value_kind:     by_value
      - .offset:         52
        .size:           4
        .value_kind:     by_value
      - .offset:         56
        .size:           4
        .value_kind:     by_value
      - .offset:         60
        .size:           4
        .value_kind:     by_value
      - .offset:         64
        .size:           4
        .value_kind:     by_value
      - .offset:         68
        .size:           4
        .value_kind:     by_value
    .group_segment_fixed_size: 0
    .kernarg_segment_align: 8
    .kernarg_segment_size: 72
    .language:       OpenCL C
    .language_version:
      - 2
      - 0
    .max_flat_workgroup_size: 256
    .name:           _ZN4vllm3moe17topkGatingSoftmaxIDF16_Li8ELi8ELi8ELi16ELb0ELi8ELNS0_23SharedExpertScoringFuncE1EEEvPKT_PKbPfiPiS9_iiiiii
    .private_segment_fixed_size: 0
    .sgpr_count:     29
    .sgpr_spill_count: 0
    .symbol:         _ZN4vllm3moe17topkGatingSoftmaxIDF16_Li8ELi8ELi8ELi16ELb0ELi8ELNS0_23SharedExpertScoringFuncE1EEEvPKT_PKbPfiPiS9_iiiiii.kd
    .uniform_work_group_size: 1
    .uses_dynamic_stack: false
    .vgpr_count:     59
    .vgpr_spill_count: 0
    .wavefront_size: 32
    .workgroup_processor_mode: 1
  - .args:
      - .address_space:  global
        .offset:         0
        .size:           8
        .value_kind:     global_buffer
      - .address_space:  global
        .offset:         8
        .size:           8
        .value_kind:     global_buffer
      - .address_space:  global
        .offset:         16
        .size:           8
        .value_kind:     global_buffer
      - .offset:         24
        .size:           4
        .value_kind:     by_value
      - .address_space:  global
        .offset:         32
        .size:           8
        .value_kind:     global_buffer
      - .address_space:  global
        .offset:         40
        .size:           8
        .value_kind:     global_buffer
      - .offset:         48
        .size:           4
        .value_kind:     by_value
      - .offset:         52
        .size:           4
        .value_kind:     by_value
      - .offset:         56
        .size:           4
        .value_kind:     by_value
      - .offset:         60
        .size:           4
        .value_kind:     by_value
      - .offset:         64
        .size:           4
        .value_kind:     by_value
      - .offset:         68
        .size:           4
        .value_kind:     by_value
    .group_segment_fixed_size: 0
    .kernarg_segment_align: 8
    .kernarg_segment_size: 72
    .language:       OpenCL C
    .language_version:
      - 2
      - 0
    .max_flat_workgroup_size: 256
    .name:           _ZN4vllm3moe17topkGatingSoftmaxIDF16_Li16ELi16ELi8ELi32ELb1ELi0ELNS0_23SharedExpertScoringFuncE0EEEvPKT_PKbPfiPiS9_iiiiii
    .private_segment_fixed_size: 0
    .sgpr_count:     22
    .sgpr_spill_count: 0
    .symbol:         _ZN4vllm3moe17topkGatingSoftmaxIDF16_Li16ELi16ELi8ELi32ELb1ELi0ELNS0_23SharedExpertScoringFuncE0EEEvPKT_PKbPfiPiS9_iiiiii.kd
    .uniform_work_group_size: 1
    .uses_dynamic_stack: false
    .vgpr_count:     33
    .vgpr_spill_count: 0
    .wavefront_size: 32
    .workgroup_processor_mode: 1
  - .args:
      - .address_space:  global
        .offset:         0
        .size:           8
        .value_kind:     global_buffer
      - .address_space:  global
        .offset:         8
        .size:           8
        .value_kind:     global_buffer
      - .address_space:  global
        .offset:         16
        .size:           8
        .value_kind:     global_buffer
      - .offset:         24
        .size:           4
        .value_kind:     by_value
      - .address_space:  global
        .offset:         32
        .size:           8
        .value_kind:     global_buffer
      - .address_space:  global
        .offset:         40
        .size:           8
        .value_kind:     global_buffer
      - .offset:         48
        .size:           4
        .value_kind:     by_value
      - .offset:         52
        .size:           4
        .value_kind:     by_value
      - .offset:         56
        .size:           4
        .value_kind:     by_value
      - .offset:         60
        .size:           4
        .value_kind:     by_value
      - .offset:         64
        .size:           4
        .value_kind:     by_value
      - .offset:         68
        .size:           4
        .value_kind:     by_value
    .group_segment_fixed_size: 0
    .kernarg_segment_align: 8
    .kernarg_segment_size: 72
    .language:       OpenCL C
    .language_version:
      - 2
      - 0
    .max_flat_workgroup_size: 256
    .name:           _ZN4vllm3moe17topkGatingSoftmaxIDF16_Li16ELi16ELi8ELi32ELb0ELi0ELNS0_23SharedExpertScoringFuncE0EEEvPKT_PKbPfiPiS9_iiiiii
    .private_segment_fixed_size: 0
    .sgpr_count:     29
    .sgpr_spill_count: 0
    .symbol:         _ZN4vllm3moe17topkGatingSoftmaxIDF16_Li16ELi16ELi8ELi32ELb0ELi0ELNS0_23SharedExpertScoringFuncE0EEEvPKT_PKbPfiPiS9_iiiiii.kd
    .uniform_work_group_size: 1
    .uses_dynamic_stack: false
    .vgpr_count:     33
    .vgpr_spill_count: 0
    .wavefront_size: 32
    .workgroup_processor_mode: 1
  - .args:
      - .address_space:  global
        .offset:         0
        .size:           8
        .value_kind:     global_buffer
      - .address_space:  global
        .offset:         8
        .size:           8
        .value_kind:     global_buffer
      - .address_space:  global
        .offset:         16
        .size:           8
        .value_kind:     global_buffer
      - .offset:         24
        .size:           4
        .value_kind:     by_value
      - .address_space:  global
        .offset:         32
        .size:           8
        .value_kind:     global_buffer
      - .address_space:  global
        .offset:         40
        .size:           8
        .value_kind:     global_buffer
      - .offset:         48
        .size:           4
        .value_kind:     by_value
      - .offset:         52
        .size:           4
        .value_kind:     by_value
      - .offset:         56
        .size:           4
        .value_kind:     by_value
      - .offset:         60
        .size:           4
        .value_kind:     by_value
      - .offset:         64
        .size:           4
        .value_kind:     by_value
      - .offset:         68
        .size:           4
        .value_kind:     by_value
    .group_segment_fixed_size: 0
    .kernarg_segment_align: 8
    .kernarg_segment_size: 72
    .language:       OpenCL C
    .language_version:
      - 2
      - 0
    .max_flat_workgroup_size: 256
    .name:           _ZN4vllm3moe17topkGatingSoftmaxIDF16_Li16ELi16ELi8ELi32ELb1ELi1ELNS0_23SharedExpertScoringFuncE1EEEvPKT_PKbPfiPiS9_iiiiii
    .private_segment_fixed_size: 0
    .sgpr_count:     18
    .sgpr_spill_count: 0
    .symbol:         _ZN4vllm3moe17topkGatingSoftmaxIDF16_Li16ELi16ELi8ELi32ELb1ELi1ELNS0_23SharedExpertScoringFuncE1EEEvPKT_PKbPfiPiS9_iiiiii.kd
    .uniform_work_group_size: 1
    .uses_dynamic_stack: false
    .vgpr_count:     35
    .vgpr_spill_count: 0
    .wavefront_size: 32
    .workgroup_processor_mode: 1
  - .args:
      - .address_space:  global
        .offset:         0
        .size:           8
        .value_kind:     global_buffer
      - .address_space:  global
        .offset:         8
        .size:           8
        .value_kind:     global_buffer
      - .address_space:  global
        .offset:         16
        .size:           8
        .value_kind:     global_buffer
      - .offset:         24
        .size:           4
        .value_kind:     by_value
      - .address_space:  global
        .offset:         32
        .size:           8
        .value_kind:     global_buffer
      - .address_space:  global
        .offset:         40
        .size:           8
        .value_kind:     global_buffer
      - .offset:         48
        .size:           4
        .value_kind:     by_value
      - .offset:         52
        .size:           4
        .value_kind:     by_value
      - .offset:         56
        .size:           4
        .value_kind:     by_value
      - .offset:         60
        .size:           4
        .value_kind:     by_value
      - .offset:         64
        .size:           4
        .value_kind:     by_value
      - .offset:         68
        .size:           4
        .value_kind:     by_value
    .group_segment_fixed_size: 0
    .kernarg_segment_align: 8
    .kernarg_segment_size: 72
    .language:       OpenCL C
    .language_version:
      - 2
      - 0
    .max_flat_workgroup_size: 256
    .name:           _ZN4vllm3moe17topkGatingSoftmaxIDF16_Li16ELi16ELi8ELi32ELb0ELi1ELNS0_23SharedExpertScoringFuncE1EEEvPKT_PKbPfiPiS9_iiiiii
    .private_segment_fixed_size: 0
    .sgpr_count:     29
    .sgpr_spill_count: 0
    .symbol:         _ZN4vllm3moe17topkGatingSoftmaxIDF16_Li16ELi16ELi8ELi32ELb0ELi1ELNS0_23SharedExpertScoringFuncE1EEEvPKT_PKbPfiPiS9_iiiiii.kd
    .uniform_work_group_size: 1
    .uses_dynamic_stack: false
    .vgpr_count:     34
    .vgpr_spill_count: 0
    .wavefront_size: 32
    .workgroup_processor_mode: 1
  - .args:
      - .address_space:  global
        .offset:         0
        .size:           8
        .value_kind:     global_buffer
      - .address_space:  global
        .offset:         8
        .size:           8
        .value_kind:     global_buffer
      - .address_space:  global
        .offset:         16
        .size:           8
        .value_kind:     global_buffer
      - .offset:         24
        .size:           4
        .value_kind:     by_value
      - .address_space:  global
        .offset:         32
        .size:           8
        .value_kind:     global_buffer
      - .address_space:  global
        .offset:         40
        .size:           8
        .value_kind:     global_buffer
      - .offset:         48
        .size:           4
        .value_kind:     by_value
      - .offset:         52
        .size:           4
        .value_kind:     by_value
      - .offset:         56
        .size:           4
        .value_kind:     by_value
      - .offset:         60
        .size:           4
        .value_kind:     by_value
      - .offset:         64
        .size:           4
        .value_kind:     by_value
      - .offset:         68
        .size:           4
        .value_kind:     by_value
    .group_segment_fixed_size: 0
    .kernarg_segment_align: 8
    .kernarg_segment_size: 72
    .language:       OpenCL C
    .language_version:
      - 2
      - 0
    .max_flat_workgroup_size: 256
    .name:           _ZN4vllm3moe17topkGatingSoftmaxIDF16_Li16ELi16ELi8ELi32ELb1ELi2ELNS0_23SharedExpertScoringFuncE1EEEvPKT_PKbPfiPiS9_iiiiii
    .private_segment_fixed_size: 0
    .sgpr_count:     18
    .sgpr_spill_count: 0
    .symbol:         _ZN4vllm3moe17topkGatingSoftmaxIDF16_Li16ELi16ELi8ELi32ELb1ELi2ELNS0_23SharedExpertScoringFuncE1EEEvPKT_PKbPfiPiS9_iiiiii.kd
    .uniform_work_group_size: 1
    .uses_dynamic_stack: false
    .vgpr_count:     35
    .vgpr_spill_count: 0
    .wavefront_size: 32
    .workgroup_processor_mode: 1
  - .args:
      - .address_space:  global
        .offset:         0
        .size:           8
        .value_kind:     global_buffer
      - .address_space:  global
        .offset:         8
        .size:           8
        .value_kind:     global_buffer
      - .address_space:  global
        .offset:         16
        .size:           8
        .value_kind:     global_buffer
      - .offset:         24
        .size:           4
        .value_kind:     by_value
      - .address_space:  global
        .offset:         32
        .size:           8
        .value_kind:     global_buffer
      - .address_space:  global
        .offset:         40
        .size:           8
        .value_kind:     global_buffer
      - .offset:         48
        .size:           4
        .value_kind:     by_value
      - .offset:         52
        .size:           4
        .value_kind:     by_value
      - .offset:         56
        .size:           4
        .value_kind:     by_value
      - .offset:         60
        .size:           4
        .value_kind:     by_value
      - .offset:         64
        .size:           4
        .value_kind:     by_value
      - .offset:         68
        .size:           4
        .value_kind:     by_value
    .group_segment_fixed_size: 0
    .kernarg_segment_align: 8
    .kernarg_segment_size: 72
    .language:       OpenCL C
    .language_version:
      - 2
      - 0
    .max_flat_workgroup_size: 256
    .name:           _ZN4vllm3moe17topkGatingSoftmaxIDF16_Li16ELi16ELi8ELi32ELb0ELi2ELNS0_23SharedExpertScoringFuncE1EEEvPKT_PKbPfiPiS9_iiiiii
    .private_segment_fixed_size: 0
    .sgpr_count:     30
    .sgpr_spill_count: 0
    .symbol:         _ZN4vllm3moe17topkGatingSoftmaxIDF16_Li16ELi16ELi8ELi32ELb0ELi2ELNS0_23SharedExpertScoringFuncE1EEEvPKT_PKbPfiPiS9_iiiiii.kd
    .uniform_work_group_size: 1
    .uses_dynamic_stack: false
    .vgpr_count:     36
    .vgpr_spill_count: 0
    .wavefront_size: 32
    .workgroup_processor_mode: 1
  - .args:
      - .address_space:  global
        .offset:         0
        .size:           8
        .value_kind:     global_buffer
      - .address_space:  global
        .offset:         8
        .size:           8
        .value_kind:     global_buffer
      - .address_space:  global
        .offset:         16
        .size:           8
        .value_kind:     global_buffer
      - .offset:         24
        .size:           4
        .value_kind:     by_value
      - .address_space:  global
        .offset:         32
        .size:           8
        .value_kind:     global_buffer
      - .address_space:  global
        .offset:         40
        .size:           8
        .value_kind:     global_buffer
      - .offset:         48
        .size:           4
        .value_kind:     by_value
      - .offset:         52
        .size:           4
        .value_kind:     by_value
      - .offset:         56
        .size:           4
        .value_kind:     by_value
      - .offset:         60
        .size:           4
        .value_kind:     by_value
      - .offset:         64
        .size:           4
        .value_kind:     by_value
      - .offset:         68
        .size:           4
        .value_kind:     by_value
    .group_segment_fixed_size: 0
    .kernarg_segment_align: 8
    .kernarg_segment_size: 72
    .language:       OpenCL C
    .language_version:
      - 2
      - 0
    .max_flat_workgroup_size: 256
    .name:           _ZN4vllm3moe17topkGatingSoftmaxIDF16_Li16ELi16ELi8ELi32ELb1ELi4ELNS0_23SharedExpertScoringFuncE1EEEvPKT_PKbPfiPiS9_iiiiii
    .private_segment_fixed_size: 0
    .sgpr_count:     19
    .sgpr_spill_count: 0
    .symbol:         _ZN4vllm3moe17topkGatingSoftmaxIDF16_Li16ELi16ELi8ELi32ELb1ELi4ELNS0_23SharedExpertScoringFuncE1EEEvPKT_PKbPfiPiS9_iiiiii.kd
    .uniform_work_group_size: 1
    .uses_dynamic_stack: false
    .vgpr_count:     37
    .vgpr_spill_count: 0
    .wavefront_size: 32
    .workgroup_processor_mode: 1
  - .args:
      - .address_space:  global
        .offset:         0
        .size:           8
        .value_kind:     global_buffer
      - .address_space:  global
        .offset:         8
        .size:           8
        .value_kind:     global_buffer
      - .address_space:  global
        .offset:         16
        .size:           8
        .value_kind:     global_buffer
      - .offset:         24
        .size:           4
        .value_kind:     by_value
      - .address_space:  global
        .offset:         32
        .size:           8
        .value_kind:     global_buffer
      - .address_space:  global
        .offset:         40
        .size:           8
        .value_kind:     global_buffer
      - .offset:         48
        .size:           4
        .value_kind:     by_value
      - .offset:         52
        .size:           4
        .value_kind:     by_value
      - .offset:         56
        .size:           4
        .value_kind:     by_value
      - .offset:         60
        .size:           4
        .value_kind:     by_value
      - .offset:         64
        .size:           4
        .value_kind:     by_value
      - .offset:         68
        .size:           4
        .value_kind:     by_value
    .group_segment_fixed_size: 0
    .kernarg_segment_align: 8
    .kernarg_segment_size: 72
    .language:       OpenCL C
    .language_version:
      - 2
      - 0
    .max_flat_workgroup_size: 256
    .name:           _ZN4vllm3moe17topkGatingSoftmaxIDF16_Li16ELi16ELi8ELi32ELb0ELi4ELNS0_23SharedExpertScoringFuncE1EEEvPKT_PKbPfiPiS9_iiiiii
    .private_segment_fixed_size: 0
    .sgpr_count:     32
    .sgpr_spill_count: 0
    .symbol:         _ZN4vllm3moe17topkGatingSoftmaxIDF16_Li16ELi16ELi8ELi32ELb0ELi4ELNS0_23SharedExpertScoringFuncE1EEEvPKT_PKbPfiPiS9_iiiiii.kd
    .uniform_work_group_size: 1
    .uses_dynamic_stack: false
    .vgpr_count:     46
    .vgpr_spill_count: 0
    .wavefront_size: 32
    .workgroup_processor_mode: 1
  - .args:
      - .address_space:  global
        .offset:         0
        .size:           8
        .value_kind:     global_buffer
      - .address_space:  global
        .offset:         8
        .size:           8
        .value_kind:     global_buffer
      - .address_space:  global
        .offset:         16
        .size:           8
        .value_kind:     global_buffer
      - .offset:         24
        .size:           4
        .value_kind:     by_value
      - .address_space:  global
        .offset:         32
        .size:           8
        .value_kind:     global_buffer
      - .address_space:  global
        .offset:         40
        .size:           8
        .value_kind:     global_buffer
      - .offset:         48
        .size:           4
        .value_kind:     by_value
      - .offset:         52
        .size:           4
        .value_kind:     by_value
      - .offset:         56
        .size:           4
        .value_kind:     by_value
      - .offset:         60
        .size:           4
        .value_kind:     by_value
      - .offset:         64
        .size:           4
        .value_kind:     by_value
      - .offset:         68
        .size:           4
        .value_kind:     by_value
    .group_segment_fixed_size: 0
    .kernarg_segment_align: 8
    .kernarg_segment_size: 72
    .language:       OpenCL C
    .language_version:
      - 2
      - 0
    .max_flat_workgroup_size: 256
    .name:           _ZN4vllm3moe17topkGatingSoftmaxIDF16_Li16ELi16ELi8ELi32ELb1ELi8ELNS0_23SharedExpertScoringFuncE1EEEvPKT_PKbPfiPiS9_iiiiii
    .private_segment_fixed_size: 0
    .sgpr_count:     22
    .sgpr_spill_count: 0
    .symbol:         _ZN4vllm3moe17topkGatingSoftmaxIDF16_Li16ELi16ELi8ELi32ELb1ELi8ELNS0_23SharedExpertScoringFuncE1EEEvPKT_PKbPfiPiS9_iiiiii.kd
    .uniform_work_group_size: 1
    .uses_dynamic_stack: false
    .vgpr_count:     58
    .vgpr_spill_count: 0
    .wavefront_size: 32
    .workgroup_processor_mode: 1
  - .args:
      - .address_space:  global
        .offset:         0
        .size:           8
        .value_kind:     global_buffer
      - .address_space:  global
        .offset:         8
        .size:           8
        .value_kind:     global_buffer
      - .address_space:  global
        .offset:         16
        .size:           8
        .value_kind:     global_buffer
      - .offset:         24
        .size:           4
        .value_kind:     by_value
      - .address_space:  global
        .offset:         32
        .size:           8
        .value_kind:     global_buffer
      - .address_space:  global
        .offset:         40
        .size:           8
        .value_kind:     global_buffer
      - .offset:         48
        .size:           4
        .value_kind:     by_value
      - .offset:         52
        .size:           4
        .value_kind:     by_value
      - .offset:         56
        .size:           4
        .value_kind:     by_value
      - .offset:         60
        .size:           4
        .value_kind:     by_value
      - .offset:         64
        .size:           4
        .value_kind:     by_value
      - .offset:         68
        .size:           4
        .value_kind:     by_value
    .group_segment_fixed_size: 0
    .kernarg_segment_align: 8
    .kernarg_segment_size: 72
    .language:       OpenCL C
    .language_version:
      - 2
      - 0
    .max_flat_workgroup_size: 256
    .name:           _ZN4vllm3moe17topkGatingSoftmaxIDF16_Li16ELi16ELi8ELi32ELb0ELi8ELNS0_23SharedExpertScoringFuncE1EEEvPKT_PKbPfiPiS9_iiiiii
    .private_segment_fixed_size: 0
    .sgpr_count:     38
    .sgpr_spill_count: 0
    .symbol:         _ZN4vllm3moe17topkGatingSoftmaxIDF16_Li16ELi16ELi8ELi32ELb0ELi8ELNS0_23SharedExpertScoringFuncE1EEEvPKT_PKbPfiPiS9_iiiiii.kd
    .uniform_work_group_size: 1
    .uses_dynamic_stack: false
    .vgpr_count:     67
    .vgpr_spill_count: 0
    .wavefront_size: 32
    .workgroup_processor_mode: 1
  - .args:
      - .address_space:  global
        .offset:         0
        .size:           8
        .value_kind:     global_buffer
      - .address_space:  global
        .offset:         8
        .size:           8
        .value_kind:     global_buffer
      - .address_space:  global
        .offset:         16
        .size:           8
        .value_kind:     global_buffer
      - .offset:         24
        .size:           4
        .value_kind:     by_value
      - .address_space:  global
        .offset:         32
        .size:           8
        .value_kind:     global_buffer
      - .address_space:  global
        .offset:         40
        .size:           8
        .value_kind:     global_buffer
      - .offset:         48
        .size:           4
        .value_kind:     by_value
      - .offset:         52
        .size:           4
        .value_kind:     by_value
      - .offset:         56
        .size:           4
        .value_kind:     by_value
      - .offset:         60
        .size:           4
        .value_kind:     by_value
      - .offset:         64
        .size:           4
        .value_kind:     by_value
      - .offset:         68
        .size:           4
        .value_kind:     by_value
    .group_segment_fixed_size: 0
    .kernarg_segment_align: 8
    .kernarg_segment_size: 72
    .language:       OpenCL C
    .language_version:
      - 2
      - 0
    .max_flat_workgroup_size: 256
    .name:           _ZN4vllm3moe17topkGatingSoftmaxIDF16_Li16ELi32ELi8ELi32ELb1ELi0ELNS0_23SharedExpertScoringFuncE0EEEvPKT_PKbPfiPiS9_iiiiii
    .private_segment_fixed_size: 0
    .sgpr_count:     20
    .sgpr_spill_count: 0
    .symbol:         _ZN4vllm3moe17topkGatingSoftmaxIDF16_Li16ELi32ELi8ELi32ELb1ELi0ELNS0_23SharedExpertScoringFuncE0EEEvPKT_PKbPfiPiS9_iiiiii.kd
    .uniform_work_group_size: 1
    .uses_dynamic_stack: false
    .vgpr_count:     53
    .vgpr_spill_count: 0
    .wavefront_size: 32
    .workgroup_processor_mode: 1
  - .args:
      - .address_space:  global
        .offset:         0
        .size:           8
        .value_kind:     global_buffer
      - .address_space:  global
        .offset:         8
        .size:           8
        .value_kind:     global_buffer
      - .address_space:  global
        .offset:         16
        .size:           8
        .value_kind:     global_buffer
      - .offset:         24
        .size:           4
        .value_kind:     by_value
      - .address_space:  global
        .offset:         32
        .size:           8
        .value_kind:     global_buffer
      - .address_space:  global
        .offset:         40
        .size:           8
        .value_kind:     global_buffer
      - .offset:         48
        .size:           4
        .value_kind:     by_value
      - .offset:         52
        .size:           4
        .value_kind:     by_value
      - .offset:         56
        .size:           4
        .value_kind:     by_value
      - .offset:         60
        .size:           4
        .value_kind:     by_value
      - .offset:         64
        .size:           4
        .value_kind:     by_value
      - .offset:         68
        .size:           4
        .value_kind:     by_value
    .group_segment_fixed_size: 0
    .kernarg_segment_align: 8
    .kernarg_segment_size: 72
    .language:       OpenCL C
    .language_version:
      - 2
      - 0
    .max_flat_workgroup_size: 256
    .name:           _ZN4vllm3moe17topkGatingSoftmaxIDF16_Li16ELi32ELi8ELi32ELb0ELi0ELNS0_23SharedExpertScoringFuncE0EEEvPKT_PKbPfiPiS9_iiiiii
    .private_segment_fixed_size: 0
    .sgpr_count:     21
    .sgpr_spill_count: 0
    .symbol:         _ZN4vllm3moe17topkGatingSoftmaxIDF16_Li16ELi32ELi8ELi32ELb0ELi0ELNS0_23SharedExpertScoringFuncE0EEEvPKT_PKbPfiPiS9_iiiiii.kd
    .uniform_work_group_size: 1
    .uses_dynamic_stack: false
    .vgpr_count:     53
    .vgpr_spill_count: 0
    .wavefront_size: 32
    .workgroup_processor_mode: 1
  - .args:
      - .address_space:  global
        .offset:         0
        .size:           8
        .value_kind:     global_buffer
      - .address_space:  global
        .offset:         8
        .size:           8
        .value_kind:     global_buffer
      - .address_space:  global
        .offset:         16
        .size:           8
        .value_kind:     global_buffer
      - .offset:         24
        .size:           4
        .value_kind:     by_value
      - .address_space:  global
        .offset:         32
        .size:           8
        .value_kind:     global_buffer
      - .address_space:  global
        .offset:         40
        .size:           8
        .value_kind:     global_buffer
      - .offset:         48
        .size:           4
        .value_kind:     by_value
      - .offset:         52
        .size:           4
        .value_kind:     by_value
      - .offset:         56
        .size:           4
        .value_kind:     by_value
      - .offset:         60
        .size:           4
        .value_kind:     by_value
      - .offset:         64
        .size:           4
        .value_kind:     by_value
      - .offset:         68
        .size:           4
        .value_kind:     by_value
    .group_segment_fixed_size: 0
    .kernarg_segment_align: 8
    .kernarg_segment_size: 72
    .language:       OpenCL C
    .language_version:
      - 2
      - 0
    .max_flat_workgroup_size: 256
    .name:           _ZN4vllm3moe17topkGatingSoftmaxIDF16_Li16ELi32ELi8ELi32ELb1ELi1ELNS0_23SharedExpertScoringFuncE1EEEvPKT_PKbPfiPiS9_iiiiii
    .private_segment_fixed_size: 0
    .sgpr_count:     20
    .sgpr_spill_count: 0
    .symbol:         _ZN4vllm3moe17topkGatingSoftmaxIDF16_Li16ELi32ELi8ELi32ELb1ELi1ELNS0_23SharedExpertScoringFuncE1EEEvPKT_PKbPfiPiS9_iiiiii.kd
    .uniform_work_group_size: 1
    .uses_dynamic_stack: false
    .vgpr_count:     53
    .vgpr_spill_count: 0
    .wavefront_size: 32
    .workgroup_processor_mode: 1
  - .args:
      - .address_space:  global
        .offset:         0
        .size:           8
        .value_kind:     global_buffer
      - .address_space:  global
        .offset:         8
        .size:           8
        .value_kind:     global_buffer
      - .address_space:  global
        .offset:         16
        .size:           8
        .value_kind:     global_buffer
      - .offset:         24
        .size:           4
        .value_kind:     by_value
      - .address_space:  global
        .offset:         32
        .size:           8
        .value_kind:     global_buffer
      - .address_space:  global
        .offset:         40
        .size:           8
        .value_kind:     global_buffer
      - .offset:         48
        .size:           4
        .value_kind:     by_value
      - .offset:         52
        .size:           4
        .value_kind:     by_value
      - .offset:         56
        .size:           4
        .value_kind:     by_value
      - .offset:         60
        .size:           4
        .value_kind:     by_value
      - .offset:         64
        .size:           4
        .value_kind:     by_value
      - .offset:         68
        .size:           4
        .value_kind:     by_value
    .group_segment_fixed_size: 0
    .kernarg_segment_align: 8
    .kernarg_segment_size: 72
    .language:       OpenCL C
    .language_version:
      - 2
      - 0
    .max_flat_workgroup_size: 256
    .name:           _ZN4vllm3moe17topkGatingSoftmaxIDF16_Li16ELi32ELi8ELi32ELb0ELi1ELNS0_23SharedExpertScoringFuncE1EEEvPKT_PKbPfiPiS9_iiiiii
    .private_segment_fixed_size: 0
    .sgpr_count:     21
    .sgpr_spill_count: 0
    .symbol:         _ZN4vllm3moe17topkGatingSoftmaxIDF16_Li16ELi32ELi8ELi32ELb0ELi1ELNS0_23SharedExpertScoringFuncE1EEEvPKT_PKbPfiPiS9_iiiiii.kd
    .uniform_work_group_size: 1
    .uses_dynamic_stack: false
    .vgpr_count:     53
    .vgpr_spill_count: 0
    .wavefront_size: 32
    .workgroup_processor_mode: 1
  - .args:
      - .address_space:  global
        .offset:         0
        .size:           8
        .value_kind:     global_buffer
      - .address_space:  global
        .offset:         8
        .size:           8
        .value_kind:     global_buffer
      - .address_space:  global
        .offset:         16
        .size:           8
        .value_kind:     global_buffer
      - .offset:         24
        .size:           4
        .value_kind:     by_value
      - .address_space:  global
        .offset:         32
        .size:           8
        .value_kind:     global_buffer
      - .address_space:  global
        .offset:         40
        .size:           8
        .value_kind:     global_buffer
      - .offset:         48
        .size:           4
        .value_kind:     by_value
      - .offset:         52
        .size:           4
        .value_kind:     by_value
      - .offset:         56
        .size:           4
        .value_kind:     by_value
      - .offset:         60
        .size:           4
        .value_kind:     by_value
      - .offset:         64
        .size:           4
        .value_kind:     by_value
      - .offset:         68
        .size:           4
        .value_kind:     by_value
    .group_segment_fixed_size: 0
    .kernarg_segment_align: 8
    .kernarg_segment_size: 72
    .language:       OpenCL C
    .language_version:
      - 2
      - 0
    .max_flat_workgroup_size: 256
    .name:           _ZN4vllm3moe17topkGatingSoftmaxIDF16_Li16ELi32ELi8ELi32ELb1ELi2ELNS0_23SharedExpertScoringFuncE1EEEvPKT_PKbPfiPiS9_iiiiii
    .private_segment_fixed_size: 0
    .sgpr_count:     20
    .sgpr_spill_count: 0
    .symbol:         _ZN4vllm3moe17topkGatingSoftmaxIDF16_Li16ELi32ELi8ELi32ELb1ELi2ELNS0_23SharedExpertScoringFuncE1EEEvPKT_PKbPfiPiS9_iiiiii.kd
    .uniform_work_group_size: 1
    .uses_dynamic_stack: false
    .vgpr_count:     53
    .vgpr_spill_count: 0
    .wavefront_size: 32
    .workgroup_processor_mode: 1
  - .args:
      - .address_space:  global
        .offset:         0
        .size:           8
        .value_kind:     global_buffer
      - .address_space:  global
        .offset:         8
        .size:           8
        .value_kind:     global_buffer
      - .address_space:  global
        .offset:         16
        .size:           8
        .value_kind:     global_buffer
      - .offset:         24
        .size:           4
        .value_kind:     by_value
      - .address_space:  global
        .offset:         32
        .size:           8
        .value_kind:     global_buffer
      - .address_space:  global
        .offset:         40
        .size:           8
        .value_kind:     global_buffer
      - .offset:         48
        .size:           4
        .value_kind:     by_value
      - .offset:         52
        .size:           4
        .value_kind:     by_value
      - .offset:         56
        .size:           4
        .value_kind:     by_value
      - .offset:         60
        .size:           4
        .value_kind:     by_value
      - .offset:         64
        .size:           4
        .value_kind:     by_value
      - .offset:         68
        .size:           4
        .value_kind:     by_value
    .group_segment_fixed_size: 0
    .kernarg_segment_align: 8
    .kernarg_segment_size: 72
    .language:       OpenCL C
    .language_version:
      - 2
      - 0
    .max_flat_workgroup_size: 256
    .name:           _ZN4vllm3moe17topkGatingSoftmaxIDF16_Li16ELi32ELi8ELi32ELb0ELi2ELNS0_23SharedExpertScoringFuncE1EEEvPKT_PKbPfiPiS9_iiiiii
    .private_segment_fixed_size: 0
    .sgpr_count:     21
    .sgpr_spill_count: 0
    .symbol:         _ZN4vllm3moe17topkGatingSoftmaxIDF16_Li16ELi32ELi8ELi32ELb0ELi2ELNS0_23SharedExpertScoringFuncE1EEEvPKT_PKbPfiPiS9_iiiiii.kd
    .uniform_work_group_size: 1
    .uses_dynamic_stack: false
    .vgpr_count:     53
    .vgpr_spill_count: 0
    .wavefront_size: 32
    .workgroup_processor_mode: 1
  - .args:
      - .address_space:  global
        .offset:         0
        .size:           8
        .value_kind:     global_buffer
      - .address_space:  global
        .offset:         8
        .size:           8
        .value_kind:     global_buffer
      - .address_space:  global
        .offset:         16
        .size:           8
        .value_kind:     global_buffer
      - .offset:         24
        .size:           4
        .value_kind:     by_value
      - .address_space:  global
        .offset:         32
        .size:           8
        .value_kind:     global_buffer
      - .address_space:  global
        .offset:         40
        .size:           8
        .value_kind:     global_buffer
      - .offset:         48
        .size:           4
        .value_kind:     by_value
      - .offset:         52
        .size:           4
        .value_kind:     by_value
      - .offset:         56
        .size:           4
        .value_kind:     by_value
      - .offset:         60
        .size:           4
        .value_kind:     by_value
      - .offset:         64
        .size:           4
        .value_kind:     by_value
      - .offset:         68
        .size:           4
        .value_kind:     by_value
    .group_segment_fixed_size: 0
    .kernarg_segment_align: 8
    .kernarg_segment_size: 72
    .language:       OpenCL C
    .language_version:
      - 2
      - 0
    .max_flat_workgroup_size: 256
    .name:           _ZN4vllm3moe17topkGatingSoftmaxIDF16_Li16ELi32ELi8ELi32ELb1ELi4ELNS0_23SharedExpertScoringFuncE1EEEvPKT_PKbPfiPiS9_iiiiii
    .private_segment_fixed_size: 0
    .sgpr_count:     20
    .sgpr_spill_count: 0
    .symbol:         _ZN4vllm3moe17topkGatingSoftmaxIDF16_Li16ELi32ELi8ELi32ELb1ELi4ELNS0_23SharedExpertScoringFuncE1EEEvPKT_PKbPfiPiS9_iiiiii.kd
    .uniform_work_group_size: 1
    .uses_dynamic_stack: false
    .vgpr_count:     52
    .vgpr_spill_count: 0
    .wavefront_size: 32
    .workgroup_processor_mode: 1
  - .args:
      - .address_space:  global
        .offset:         0
        .size:           8
        .value_kind:     global_buffer
      - .address_space:  global
        .offset:         8
        .size:           8
        .value_kind:     global_buffer
      - .address_space:  global
        .offset:         16
        .size:           8
        .value_kind:     global_buffer
      - .offset:         24
        .size:           4
        .value_kind:     by_value
      - .address_space:  global
        .offset:         32
        .size:           8
        .value_kind:     global_buffer
      - .address_space:  global
        .offset:         40
        .size:           8
        .value_kind:     global_buffer
      - .offset:         48
        .size:           4
        .value_kind:     by_value
      - .offset:         52
        .size:           4
        .value_kind:     by_value
      - .offset:         56
        .size:           4
        .value_kind:     by_value
      - .offset:         60
        .size:           4
        .value_kind:     by_value
      - .offset:         64
        .size:           4
        .value_kind:     by_value
      - .offset:         68
        .size:           4
        .value_kind:     by_value
    .group_segment_fixed_size: 0
    .kernarg_segment_align: 8
    .kernarg_segment_size: 72
    .language:       OpenCL C
    .language_version:
      - 2
      - 0
    .max_flat_workgroup_size: 256
    .name:           _ZN4vllm3moe17topkGatingSoftmaxIDF16_Li16ELi32ELi8ELi32ELb0ELi4ELNS0_23SharedExpertScoringFuncE1EEEvPKT_PKbPfiPiS9_iiiiii
    .private_segment_fixed_size: 0
    .sgpr_count:     21
    .sgpr_spill_count: 0
    .symbol:         _ZN4vllm3moe17topkGatingSoftmaxIDF16_Li16ELi32ELi8ELi32ELb0ELi4ELNS0_23SharedExpertScoringFuncE1EEEvPKT_PKbPfiPiS9_iiiiii.kd
    .uniform_work_group_size: 1
    .uses_dynamic_stack: false
    .vgpr_count:     52
    .vgpr_spill_count: 0
    .wavefront_size: 32
    .workgroup_processor_mode: 1
  - .args:
      - .address_space:  global
        .offset:         0
        .size:           8
        .value_kind:     global_buffer
      - .address_space:  global
        .offset:         8
        .size:           8
        .value_kind:     global_buffer
      - .address_space:  global
        .offset:         16
        .size:           8
        .value_kind:     global_buffer
      - .offset:         24
        .size:           4
        .value_kind:     by_value
      - .address_space:  global
        .offset:         32
        .size:           8
        .value_kind:     global_buffer
      - .address_space:  global
        .offset:         40
        .size:           8
        .value_kind:     global_buffer
      - .offset:         48
        .size:           4
        .value_kind:     by_value
      - .offset:         52
        .size:           4
        .value_kind:     by_value
      - .offset:         56
        .size:           4
        .value_kind:     by_value
      - .offset:         60
        .size:           4
        .value_kind:     by_value
      - .offset:         64
        .size:           4
        .value_kind:     by_value
      - .offset:         68
        .size:           4
        .value_kind:     by_value
    .group_segment_fixed_size: 0
    .kernarg_segment_align: 8
    .kernarg_segment_size: 72
    .language:       OpenCL C
    .language_version:
      - 2
      - 0
    .max_flat_workgroup_size: 256
    .name:           _ZN4vllm3moe17topkGatingSoftmaxIDF16_Li16ELi32ELi8ELi32ELb1ELi8ELNS0_23SharedExpertScoringFuncE1EEEvPKT_PKbPfiPiS9_iiiiii
    .private_segment_fixed_size: 0
    .sgpr_count:     20
    .sgpr_spill_count: 0
    .symbol:         _ZN4vllm3moe17topkGatingSoftmaxIDF16_Li16ELi32ELi8ELi32ELb1ELi8ELNS0_23SharedExpertScoringFuncE1EEEvPKT_PKbPfiPiS9_iiiiii.kd
    .uniform_work_group_size: 1
    .uses_dynamic_stack: false
    .vgpr_count:     52
    .vgpr_spill_count: 0
    .wavefront_size: 32
    .workgroup_processor_mode: 1
  - .args:
      - .address_space:  global
        .offset:         0
        .size:           8
        .value_kind:     global_buffer
      - .address_space:  global
        .offset:         8
        .size:           8
        .value_kind:     global_buffer
      - .address_space:  global
        .offset:         16
        .size:           8
        .value_kind:     global_buffer
      - .offset:         24
        .size:           4
        .value_kind:     by_value
      - .address_space:  global
        .offset:         32
        .size:           8
        .value_kind:     global_buffer
      - .address_space:  global
        .offset:         40
        .size:           8
        .value_kind:     global_buffer
      - .offset:         48
        .size:           4
        .value_kind:     by_value
      - .offset:         52
        .size:           4
        .value_kind:     by_value
      - .offset:         56
        .size:           4
        .value_kind:     by_value
      - .offset:         60
        .size:           4
        .value_kind:     by_value
      - .offset:         64
        .size:           4
        .value_kind:     by_value
      - .offset:         68
        .size:           4
        .value_kind:     by_value
    .group_segment_fixed_size: 0
    .kernarg_segment_align: 8
    .kernarg_segment_size: 72
    .language:       OpenCL C
    .language_version:
      - 2
      - 0
    .max_flat_workgroup_size: 256
    .name:           _ZN4vllm3moe17topkGatingSoftmaxIDF16_Li16ELi32ELi8ELi32ELb0ELi8ELNS0_23SharedExpertScoringFuncE1EEEvPKT_PKbPfiPiS9_iiiiii
    .private_segment_fixed_size: 0
    .sgpr_count:     21
    .sgpr_spill_count: 0
    .symbol:         _ZN4vllm3moe17topkGatingSoftmaxIDF16_Li16ELi32ELi8ELi32ELb0ELi8ELNS0_23SharedExpertScoringFuncE1EEEvPKT_PKbPfiPiS9_iiiiii.kd
    .uniform_work_group_size: 1
    .uses_dynamic_stack: false
    .vgpr_count:     52
    .vgpr_spill_count: 0
    .wavefront_size: 32
    .workgroup_processor_mode: 1
  - .args:
      - .address_space:  global
        .offset:         0
        .size:           8
        .value_kind:     global_buffer
      - .address_space:  global
        .offset:         8
        .size:           8
        .value_kind:     global_buffer
      - .address_space:  global
        .offset:         16
        .size:           8
        .value_kind:     global_buffer
      - .offset:         24
        .size:           4
        .value_kind:     by_value
      - .address_space:  global
        .offset:         32
        .size:           8
        .value_kind:     global_buffer
      - .address_space:  global
        .offset:         40
        .size:           8
        .value_kind:     global_buffer
      - .offset:         48
        .size:           4
        .value_kind:     by_value
      - .offset:         52
        .size:           4
        .value_kind:     by_value
      - .offset:         56
        .size:           4
        .value_kind:     by_value
      - .offset:         60
        .size:           4
        .value_kind:     by_value
      - .offset:         64
        .size:           4
        .value_kind:     by_value
      - .offset:         68
        .size:           4
        .value_kind:     by_value
    .group_segment_fixed_size: 0
    .kernarg_segment_align: 8
    .kernarg_segment_size: 72
    .language:       OpenCL C
    .language_version:
      - 2
      - 0
    .max_flat_workgroup_size: 256
    .name:           _ZN4vllm3moe17topkGatingSoftmaxIDF16_Li16ELi64ELi8ELi32ELb1ELi0ELNS0_23SharedExpertScoringFuncE0EEEvPKT_PKbPfiPiS9_iiiiii
    .private_segment_fixed_size: 0
    .sgpr_count:     21
    .sgpr_spill_count: 0
    .symbol:         _ZN4vllm3moe17topkGatingSoftmaxIDF16_Li16ELi64ELi8ELi32ELb1ELi0ELNS0_23SharedExpertScoringFuncE0EEEvPKT_PKbPfiPiS9_iiiiii.kd
    .uniform_work_group_size: 1
    .uses_dynamic_stack: false
    .vgpr_count:     53
    .vgpr_spill_count: 0
    .wavefront_size: 32
    .workgroup_processor_mode: 1
  - .args:
      - .address_space:  global
        .offset:         0
        .size:           8
        .value_kind:     global_buffer
      - .address_space:  global
        .offset:         8
        .size:           8
        .value_kind:     global_buffer
      - .address_space:  global
        .offset:         16
        .size:           8
        .value_kind:     global_buffer
      - .offset:         24
        .size:           4
        .value_kind:     by_value
      - .address_space:  global
        .offset:         32
        .size:           8
        .value_kind:     global_buffer
      - .address_space:  global
        .offset:         40
        .size:           8
        .value_kind:     global_buffer
      - .offset:         48
        .size:           4
        .value_kind:     by_value
      - .offset:         52
        .size:           4
        .value_kind:     by_value
      - .offset:         56
        .size:           4
        .value_kind:     by_value
      - .offset:         60
        .size:           4
        .value_kind:     by_value
      - .offset:         64
        .size:           4
        .value_kind:     by_value
      - .offset:         68
        .size:           4
        .value_kind:     by_value
    .group_segment_fixed_size: 0
    .kernarg_segment_align: 8
    .kernarg_segment_size: 72
    .language:       OpenCL C
    .language_version:
      - 2
      - 0
    .max_flat_workgroup_size: 256
    .name:           _ZN4vllm3moe17topkGatingSoftmaxIDF16_Li16ELi64ELi8ELi32ELb0ELi0ELNS0_23SharedExpertScoringFuncE0EEEvPKT_PKbPfiPiS9_iiiiii
    .private_segment_fixed_size: 0
    .sgpr_count:     21
    .sgpr_spill_count: 0
    .symbol:         _ZN4vllm3moe17topkGatingSoftmaxIDF16_Li16ELi64ELi8ELi32ELb0ELi0ELNS0_23SharedExpertScoringFuncE0EEEvPKT_PKbPfiPiS9_iiiiii.kd
    .uniform_work_group_size: 1
    .uses_dynamic_stack: false
    .vgpr_count:     53
    .vgpr_spill_count: 0
    .wavefront_size: 32
    .workgroup_processor_mode: 1
  - .args:
      - .address_space:  global
        .offset:         0
        .size:           8
        .value_kind:     global_buffer
      - .address_space:  global
        .offset:         8
        .size:           8
        .value_kind:     global_buffer
      - .address_space:  global
        .offset:         16
        .size:           8
        .value_kind:     global_buffer
      - .offset:         24
        .size:           4
        .value_kind:     by_value
      - .address_space:  global
        .offset:         32
        .size:           8
        .value_kind:     global_buffer
      - .address_space:  global
        .offset:         40
        .size:           8
        .value_kind:     global_buffer
      - .offset:         48
        .size:           4
        .value_kind:     by_value
      - .offset:         52
        .size:           4
        .value_kind:     by_value
      - .offset:         56
        .size:           4
        .value_kind:     by_value
      - .offset:         60
        .size:           4
        .value_kind:     by_value
      - .offset:         64
        .size:           4
        .value_kind:     by_value
      - .offset:         68
        .size:           4
        .value_kind:     by_value
    .group_segment_fixed_size: 0
    .kernarg_segment_align: 8
    .kernarg_segment_size: 72
    .language:       OpenCL C
    .language_version:
      - 2
      - 0
    .max_flat_workgroup_size: 256
    .name:           _ZN4vllm3moe17topkGatingSoftmaxIDF16_Li16ELi64ELi8ELi32ELb1ELi1ELNS0_23SharedExpertScoringFuncE1EEEvPKT_PKbPfiPiS9_iiiiii
    .private_segment_fixed_size: 0
    .sgpr_count:     21
    .sgpr_spill_count: 0
    .symbol:         _ZN4vllm3moe17topkGatingSoftmaxIDF16_Li16ELi64ELi8ELi32ELb1ELi1ELNS0_23SharedExpertScoringFuncE1EEEvPKT_PKbPfiPiS9_iiiiii.kd
    .uniform_work_group_size: 1
    .uses_dynamic_stack: false
    .vgpr_count:     53
    .vgpr_spill_count: 0
    .wavefront_size: 32
    .workgroup_processor_mode: 1
  - .args:
      - .address_space:  global
        .offset:         0
        .size:           8
        .value_kind:     global_buffer
      - .address_space:  global
        .offset:         8
        .size:           8
        .value_kind:     global_buffer
      - .address_space:  global
        .offset:         16
        .size:           8
        .value_kind:     global_buffer
      - .offset:         24
        .size:           4
        .value_kind:     by_value
      - .address_space:  global
        .offset:         32
        .size:           8
        .value_kind:     global_buffer
      - .address_space:  global
        .offset:         40
        .size:           8
        .value_kind:     global_buffer
      - .offset:         48
        .size:           4
        .value_kind:     by_value
      - .offset:         52
        .size:           4
        .value_kind:     by_value
      - .offset:         56
        .size:           4
        .value_kind:     by_value
      - .offset:         60
        .size:           4
        .value_kind:     by_value
      - .offset:         64
        .size:           4
        .value_kind:     by_value
      - .offset:         68
        .size:           4
        .value_kind:     by_value
    .group_segment_fixed_size: 0
    .kernarg_segment_align: 8
    .kernarg_segment_size: 72
    .language:       OpenCL C
    .language_version:
      - 2
      - 0
    .max_flat_workgroup_size: 256
    .name:           _ZN4vllm3moe17topkGatingSoftmaxIDF16_Li16ELi64ELi8ELi32ELb0ELi1ELNS0_23SharedExpertScoringFuncE1EEEvPKT_PKbPfiPiS9_iiiiii
    .private_segment_fixed_size: 0
    .sgpr_count:     21
    .sgpr_spill_count: 0
    .symbol:         _ZN4vllm3moe17topkGatingSoftmaxIDF16_Li16ELi64ELi8ELi32ELb0ELi1ELNS0_23SharedExpertScoringFuncE1EEEvPKT_PKbPfiPiS9_iiiiii.kd
    .uniform_work_group_size: 1
    .uses_dynamic_stack: false
    .vgpr_count:     53
    .vgpr_spill_count: 0
    .wavefront_size: 32
    .workgroup_processor_mode: 1
  - .args:
      - .address_space:  global
        .offset:         0
        .size:           8
        .value_kind:     global_buffer
      - .address_space:  global
        .offset:         8
        .size:           8
        .value_kind:     global_buffer
      - .address_space:  global
        .offset:         16
        .size:           8
        .value_kind:     global_buffer
      - .offset:         24
        .size:           4
        .value_kind:     by_value
      - .address_space:  global
        .offset:         32
        .size:           8
        .value_kind:     global_buffer
      - .address_space:  global
        .offset:         40
        .size:           8
        .value_kind:     global_buffer
      - .offset:         48
        .size:           4
        .value_kind:     by_value
      - .offset:         52
        .size:           4
        .value_kind:     by_value
      - .offset:         56
        .size:           4
        .value_kind:     by_value
      - .offset:         60
        .size:           4
        .value_kind:     by_value
      - .offset:         64
        .size:           4
        .value_kind:     by_value
      - .offset:         68
        .size:           4
        .value_kind:     by_value
    .group_segment_fixed_size: 0
    .kernarg_segment_align: 8
    .kernarg_segment_size: 72
    .language:       OpenCL C
    .language_version:
      - 2
      - 0
    .max_flat_workgroup_size: 256
    .name:           _ZN4vllm3moe17topkGatingSoftmaxIDF16_Li16ELi64ELi8ELi32ELb1ELi2ELNS0_23SharedExpertScoringFuncE1EEEvPKT_PKbPfiPiS9_iiiiii
    .private_segment_fixed_size: 0
    .sgpr_count:     21
    .sgpr_spill_count: 0
    .symbol:         _ZN4vllm3moe17topkGatingSoftmaxIDF16_Li16ELi64ELi8ELi32ELb1ELi2ELNS0_23SharedExpertScoringFuncE1EEEvPKT_PKbPfiPiS9_iiiiii.kd
    .uniform_work_group_size: 1
    .uses_dynamic_stack: false
    .vgpr_count:     53
    .vgpr_spill_count: 0
    .wavefront_size: 32
    .workgroup_processor_mode: 1
  - .args:
      - .address_space:  global
        .offset:         0
        .size:           8
        .value_kind:     global_buffer
      - .address_space:  global
        .offset:         8
        .size:           8
        .value_kind:     global_buffer
      - .address_space:  global
        .offset:         16
        .size:           8
        .value_kind:     global_buffer
      - .offset:         24
        .size:           4
        .value_kind:     by_value
      - .address_space:  global
        .offset:         32
        .size:           8
        .value_kind:     global_buffer
      - .address_space:  global
        .offset:         40
        .size:           8
        .value_kind:     global_buffer
      - .offset:         48
        .size:           4
        .value_kind:     by_value
      - .offset:         52
        .size:           4
        .value_kind:     by_value
      - .offset:         56
        .size:           4
        .value_kind:     by_value
      - .offset:         60
        .size:           4
        .value_kind:     by_value
      - .offset:         64
        .size:           4
        .value_kind:     by_value
      - .offset:         68
        .size:           4
        .value_kind:     by_value
    .group_segment_fixed_size: 0
    .kernarg_segment_align: 8
    .kernarg_segment_size: 72
    .language:       OpenCL C
    .language_version:
      - 2
      - 0
    .max_flat_workgroup_size: 256
    .name:           _ZN4vllm3moe17topkGatingSoftmaxIDF16_Li16ELi64ELi8ELi32ELb0ELi2ELNS0_23SharedExpertScoringFuncE1EEEvPKT_PKbPfiPiS9_iiiiii
    .private_segment_fixed_size: 0
    .sgpr_count:     21
    .sgpr_spill_count: 0
    .symbol:         _ZN4vllm3moe17topkGatingSoftmaxIDF16_Li16ELi64ELi8ELi32ELb0ELi2ELNS0_23SharedExpertScoringFuncE1EEEvPKT_PKbPfiPiS9_iiiiii.kd
    .uniform_work_group_size: 1
    .uses_dynamic_stack: false
    .vgpr_count:     53
    .vgpr_spill_count: 0
    .wavefront_size: 32
    .workgroup_processor_mode: 1
  - .args:
      - .address_space:  global
        .offset:         0
        .size:           8
        .value_kind:     global_buffer
      - .address_space:  global
        .offset:         8
        .size:           8
        .value_kind:     global_buffer
      - .address_space:  global
        .offset:         16
        .size:           8
        .value_kind:     global_buffer
      - .offset:         24
        .size:           4
        .value_kind:     by_value
      - .address_space:  global
        .offset:         32
        .size:           8
        .value_kind:     global_buffer
      - .address_space:  global
        .offset:         40
        .size:           8
        .value_kind:     global_buffer
      - .offset:         48
        .size:           4
        .value_kind:     by_value
      - .offset:         52
        .size:           4
        .value_kind:     by_value
      - .offset:         56
        .size:           4
        .value_kind:     by_value
      - .offset:         60
        .size:           4
        .value_kind:     by_value
      - .offset:         64
        .size:           4
        .value_kind:     by_value
      - .offset:         68
        .size:           4
        .value_kind:     by_value
    .group_segment_fixed_size: 0
    .kernarg_segment_align: 8
    .kernarg_segment_size: 72
    .language:       OpenCL C
    .language_version:
      - 2
      - 0
    .max_flat_workgroup_size: 256
    .name:           _ZN4vllm3moe17topkGatingSoftmaxIDF16_Li16ELi64ELi8ELi32ELb1ELi4ELNS0_23SharedExpertScoringFuncE1EEEvPKT_PKbPfiPiS9_iiiiii
    .private_segment_fixed_size: 0
    .sgpr_count:     21
    .sgpr_spill_count: 0
    .symbol:         _ZN4vllm3moe17topkGatingSoftmaxIDF16_Li16ELi64ELi8ELi32ELb1ELi4ELNS0_23SharedExpertScoringFuncE1EEEvPKT_PKbPfiPiS9_iiiiii.kd
    .uniform_work_group_size: 1
    .uses_dynamic_stack: false
    .vgpr_count:     53
    .vgpr_spill_count: 0
    .wavefront_size: 32
    .workgroup_processor_mode: 1
  - .args:
      - .address_space:  global
        .offset:         0
        .size:           8
        .value_kind:     global_buffer
      - .address_space:  global
        .offset:         8
        .size:           8
        .value_kind:     global_buffer
      - .address_space:  global
        .offset:         16
        .size:           8
        .value_kind:     global_buffer
      - .offset:         24
        .size:           4
        .value_kind:     by_value
      - .address_space:  global
        .offset:         32
        .size:           8
        .value_kind:     global_buffer
      - .address_space:  global
        .offset:         40
        .size:           8
        .value_kind:     global_buffer
      - .offset:         48
        .size:           4
        .value_kind:     by_value
      - .offset:         52
        .size:           4
        .value_kind:     by_value
      - .offset:         56
        .size:           4
        .value_kind:     by_value
      - .offset:         60
        .size:           4
        .value_kind:     by_value
      - .offset:         64
        .size:           4
        .value_kind:     by_value
      - .offset:         68
        .size:           4
        .value_kind:     by_value
    .group_segment_fixed_size: 0
    .kernarg_segment_align: 8
    .kernarg_segment_size: 72
    .language:       OpenCL C
    .language_version:
      - 2
      - 0
    .max_flat_workgroup_size: 256
    .name:           _ZN4vllm3moe17topkGatingSoftmaxIDF16_Li16ELi64ELi8ELi32ELb0ELi4ELNS0_23SharedExpertScoringFuncE1EEEvPKT_PKbPfiPiS9_iiiiii
    .private_segment_fixed_size: 0
    .sgpr_count:     21
    .sgpr_spill_count: 0
    .symbol:         _ZN4vllm3moe17topkGatingSoftmaxIDF16_Li16ELi64ELi8ELi32ELb0ELi4ELNS0_23SharedExpertScoringFuncE1EEEvPKT_PKbPfiPiS9_iiiiii.kd
    .uniform_work_group_size: 1
    .uses_dynamic_stack: false
    .vgpr_count:     53
    .vgpr_spill_count: 0
    .wavefront_size: 32
    .workgroup_processor_mode: 1
  - .args:
      - .address_space:  global
        .offset:         0
        .size:           8
        .value_kind:     global_buffer
      - .address_space:  global
        .offset:         8
        .size:           8
        .value_kind:     global_buffer
      - .address_space:  global
        .offset:         16
        .size:           8
        .value_kind:     global_buffer
      - .offset:         24
        .size:           4
        .value_kind:     by_value
      - .address_space:  global
        .offset:         32
        .size:           8
        .value_kind:     global_buffer
      - .address_space:  global
        .offset:         40
        .size:           8
        .value_kind:     global_buffer
      - .offset:         48
        .size:           4
        .value_kind:     by_value
      - .offset:         52
        .size:           4
        .value_kind:     by_value
      - .offset:         56
        .size:           4
        .value_kind:     by_value
      - .offset:         60
        .size:           4
        .value_kind:     by_value
      - .offset:         64
        .size:           4
        .value_kind:     by_value
      - .offset:         68
        .size:           4
        .value_kind:     by_value
    .group_segment_fixed_size: 0
    .kernarg_segment_align: 8
    .kernarg_segment_size: 72
    .language:       OpenCL C
    .language_version:
      - 2
      - 0
    .max_flat_workgroup_size: 256
    .name:           _ZN4vllm3moe17topkGatingSoftmaxIDF16_Li16ELi64ELi8ELi32ELb1ELi8ELNS0_23SharedExpertScoringFuncE1EEEvPKT_PKbPfiPiS9_iiiiii
    .private_segment_fixed_size: 0
    .sgpr_count:     21
    .sgpr_spill_count: 0
    .symbol:         _ZN4vllm3moe17topkGatingSoftmaxIDF16_Li16ELi64ELi8ELi32ELb1ELi8ELNS0_23SharedExpertScoringFuncE1EEEvPKT_PKbPfiPiS9_iiiiii.kd
    .uniform_work_group_size: 1
    .uses_dynamic_stack: false
    .vgpr_count:     52
    .vgpr_spill_count: 0
    .wavefront_size: 32
    .workgroup_processor_mode: 1
  - .args:
      - .address_space:  global
        .offset:         0
        .size:           8
        .value_kind:     global_buffer
      - .address_space:  global
        .offset:         8
        .size:           8
        .value_kind:     global_buffer
      - .address_space:  global
        .offset:         16
        .size:           8
        .value_kind:     global_buffer
      - .offset:         24
        .size:           4
        .value_kind:     by_value
      - .address_space:  global
        .offset:         32
        .size:           8
        .value_kind:     global_buffer
      - .address_space:  global
        .offset:         40
        .size:           8
        .value_kind:     global_buffer
      - .offset:         48
        .size:           4
        .value_kind:     by_value
      - .offset:         52
        .size:           4
        .value_kind:     by_value
      - .offset:         56
        .size:           4
        .value_kind:     by_value
      - .offset:         60
        .size:           4
        .value_kind:     by_value
      - .offset:         64
        .size:           4
        .value_kind:     by_value
      - .offset:         68
        .size:           4
        .value_kind:     by_value
    .group_segment_fixed_size: 0
    .kernarg_segment_align: 8
    .kernarg_segment_size: 72
    .language:       OpenCL C
    .language_version:
      - 2
      - 0
    .max_flat_workgroup_size: 256
    .name:           _ZN4vllm3moe17topkGatingSoftmaxIDF16_Li16ELi64ELi8ELi32ELb0ELi8ELNS0_23SharedExpertScoringFuncE1EEEvPKT_PKbPfiPiS9_iiiiii
    .private_segment_fixed_size: 0
    .sgpr_count:     21
    .sgpr_spill_count: 0
    .symbol:         _ZN4vllm3moe17topkGatingSoftmaxIDF16_Li16ELi64ELi8ELi32ELb0ELi8ELNS0_23SharedExpertScoringFuncE1EEEvPKT_PKbPfiPiS9_iiiiii.kd
    .uniform_work_group_size: 1
    .uses_dynamic_stack: false
    .vgpr_count:     52
    .vgpr_spill_count: 0
    .wavefront_size: 32
    .workgroup_processor_mode: 1
  - .args:
      - .address_space:  global
        .offset:         0
        .size:           8
        .value_kind:     global_buffer
      - .address_space:  global
        .offset:         8
        .size:           8
        .value_kind:     global_buffer
      - .address_space:  global
        .offset:         16
        .size:           8
        .value_kind:     global_buffer
      - .offset:         24
        .size:           4
        .value_kind:     by_value
      - .address_space:  global
        .offset:         32
        .size:           8
        .value_kind:     global_buffer
      - .address_space:  global
        .offset:         40
        .size:           8
        .value_kind:     global_buffer
      - .offset:         48
        .size:           4
        .value_kind:     by_value
      - .offset:         52
        .size:           4
        .value_kind:     by_value
      - .offset:         56
        .size:           4
        .value_kind:     by_value
      - .offset:         60
        .size:           4
        .value_kind:     by_value
      - .offset:         64
        .size:           4
        .value_kind:     by_value
      - .offset:         68
        .size:           4
        .value_kind:     by_value
    .group_segment_fixed_size: 0
    .kernarg_segment_align: 8
    .kernarg_segment_size: 72
    .language:       OpenCL C
    .language_version:
      - 2
      - 0
    .max_flat_workgroup_size: 256
    .name:           _ZN4vllm3moe17topkGatingSoftmaxIDF16_Li16ELi128ELi8ELi32ELb1ELi0ELNS0_23SharedExpertScoringFuncE0EEEvPKT_PKbPfiPiS9_iiiiii
    .private_segment_fixed_size: 0
    .sgpr_count:     21
    .sgpr_spill_count: 0
    .symbol:         _ZN4vllm3moe17topkGatingSoftmaxIDF16_Li16ELi128ELi8ELi32ELb1ELi0ELNS0_23SharedExpertScoringFuncE0EEEvPKT_PKbPfiPiS9_iiiiii.kd
    .uniform_work_group_size: 1
    .uses_dynamic_stack: false
    .vgpr_count:     53
    .vgpr_spill_count: 0
    .wavefront_size: 32
    .workgroup_processor_mode: 1
  - .args:
      - .address_space:  global
        .offset:         0
        .size:           8
        .value_kind:     global_buffer
      - .address_space:  global
        .offset:         8
        .size:           8
        .value_kind:     global_buffer
      - .address_space:  global
        .offset:         16
        .size:           8
        .value_kind:     global_buffer
      - .offset:         24
        .size:           4
        .value_kind:     by_value
      - .address_space:  global
        .offset:         32
        .size:           8
        .value_kind:     global_buffer
      - .address_space:  global
        .offset:         40
        .size:           8
        .value_kind:     global_buffer
      - .offset:         48
        .size:           4
        .value_kind:     by_value
      - .offset:         52
        .size:           4
        .value_kind:     by_value
      - .offset:         56
        .size:           4
        .value_kind:     by_value
      - .offset:         60
        .size:           4
        .value_kind:     by_value
      - .offset:         64
        .size:           4
        .value_kind:     by_value
      - .offset:         68
        .size:           4
        .value_kind:     by_value
    .group_segment_fixed_size: 0
    .kernarg_segment_align: 8
    .kernarg_segment_size: 72
    .language:       OpenCL C
    .language_version:
      - 2
      - 0
    .max_flat_workgroup_size: 256
    .name:           _ZN4vllm3moe17topkGatingSoftmaxIDF16_Li16ELi128ELi8ELi32ELb0ELi0ELNS0_23SharedExpertScoringFuncE0EEEvPKT_PKbPfiPiS9_iiiiii
    .private_segment_fixed_size: 0
    .sgpr_count:     21
    .sgpr_spill_count: 0
    .symbol:         _ZN4vllm3moe17topkGatingSoftmaxIDF16_Li16ELi128ELi8ELi32ELb0ELi0ELNS0_23SharedExpertScoringFuncE0EEEvPKT_PKbPfiPiS9_iiiiii.kd
    .uniform_work_group_size: 1
    .uses_dynamic_stack: false
    .vgpr_count:     53
    .vgpr_spill_count: 0
    .wavefront_size: 32
    .workgroup_processor_mode: 1
  - .args:
      - .address_space:  global
        .offset:         0
        .size:           8
        .value_kind:     global_buffer
      - .address_space:  global
        .offset:         8
        .size:           8
        .value_kind:     global_buffer
      - .address_space:  global
        .offset:         16
        .size:           8
        .value_kind:     global_buffer
      - .offset:         24
        .size:           4
        .value_kind:     by_value
      - .address_space:  global
        .offset:         32
        .size:           8
        .value_kind:     global_buffer
      - .address_space:  global
        .offset:         40
        .size:           8
        .value_kind:     global_buffer
      - .offset:         48
        .size:           4
        .value_kind:     by_value
      - .offset:         52
        .size:           4
        .value_kind:     by_value
      - .offset:         56
        .size:           4
        .value_kind:     by_value
      - .offset:         60
        .size:           4
        .value_kind:     by_value
      - .offset:         64
        .size:           4
        .value_kind:     by_value
      - .offset:         68
        .size:           4
        .value_kind:     by_value
    .group_segment_fixed_size: 0
    .kernarg_segment_align: 8
    .kernarg_segment_size: 72
    .language:       OpenCL C
    .language_version:
      - 2
      - 0
    .max_flat_workgroup_size: 256
    .name:           _ZN4vllm3moe17topkGatingSoftmaxIDF16_Li16ELi128ELi8ELi32ELb1ELi1ELNS0_23SharedExpertScoringFuncE1EEEvPKT_PKbPfiPiS9_iiiiii
    .private_segment_fixed_size: 0
    .sgpr_count:     21
    .sgpr_spill_count: 0
    .symbol:         _ZN4vllm3moe17topkGatingSoftmaxIDF16_Li16ELi128ELi8ELi32ELb1ELi1ELNS0_23SharedExpertScoringFuncE1EEEvPKT_PKbPfiPiS9_iiiiii.kd
    .uniform_work_group_size: 1
    .uses_dynamic_stack: false
    .vgpr_count:     53
    .vgpr_spill_count: 0
    .wavefront_size: 32
    .workgroup_processor_mode: 1
  - .args:
      - .address_space:  global
        .offset:         0
        .size:           8
        .value_kind:     global_buffer
      - .address_space:  global
        .offset:         8
        .size:           8
        .value_kind:     global_buffer
      - .address_space:  global
        .offset:         16
        .size:           8
        .value_kind:     global_buffer
      - .offset:         24
        .size:           4
        .value_kind:     by_value
      - .address_space:  global
        .offset:         32
        .size:           8
        .value_kind:     global_buffer
      - .address_space:  global
        .offset:         40
        .size:           8
        .value_kind:     global_buffer
      - .offset:         48
        .size:           4
        .value_kind:     by_value
      - .offset:         52
        .size:           4
        .value_kind:     by_value
      - .offset:         56
        .size:           4
        .value_kind:     by_value
      - .offset:         60
        .size:           4
        .value_kind:     by_value
      - .offset:         64
        .size:           4
        .value_kind:     by_value
      - .offset:         68
        .size:           4
        .value_kind:     by_value
    .group_segment_fixed_size: 0
    .kernarg_segment_align: 8
    .kernarg_segment_size: 72
    .language:       OpenCL C
    .language_version:
      - 2
      - 0
    .max_flat_workgroup_size: 256
    .name:           _ZN4vllm3moe17topkGatingSoftmaxIDF16_Li16ELi128ELi8ELi32ELb0ELi1ELNS0_23SharedExpertScoringFuncE1EEEvPKT_PKbPfiPiS9_iiiiii
    .private_segment_fixed_size: 0
    .sgpr_count:     21
    .sgpr_spill_count: 0
    .symbol:         _ZN4vllm3moe17topkGatingSoftmaxIDF16_Li16ELi128ELi8ELi32ELb0ELi1ELNS0_23SharedExpertScoringFuncE1EEEvPKT_PKbPfiPiS9_iiiiii.kd
    .uniform_work_group_size: 1
    .uses_dynamic_stack: false
    .vgpr_count:     53
    .vgpr_spill_count: 0
    .wavefront_size: 32
    .workgroup_processor_mode: 1
  - .args:
      - .address_space:  global
        .offset:         0
        .size:           8
        .value_kind:     global_buffer
      - .address_space:  global
        .offset:         8
        .size:           8
        .value_kind:     global_buffer
      - .address_space:  global
        .offset:         16
        .size:           8
        .value_kind:     global_buffer
      - .offset:         24
        .size:           4
        .value_kind:     by_value
      - .address_space:  global
        .offset:         32
        .size:           8
        .value_kind:     global_buffer
      - .address_space:  global
        .offset:         40
        .size:           8
        .value_kind:     global_buffer
      - .offset:         48
        .size:           4
        .value_kind:     by_value
      - .offset:         52
        .size:           4
        .value_kind:     by_value
      - .offset:         56
        .size:           4
        .value_kind:     by_value
      - .offset:         60
        .size:           4
        .value_kind:     by_value
      - .offset:         64
        .size:           4
        .value_kind:     by_value
      - .offset:         68
        .size:           4
        .value_kind:     by_value
    .group_segment_fixed_size: 0
    .kernarg_segment_align: 8
    .kernarg_segment_size: 72
    .language:       OpenCL C
    .language_version:
      - 2
      - 0
    .max_flat_workgroup_size: 256
    .name:           _ZN4vllm3moe17topkGatingSoftmaxIDF16_Li16ELi128ELi8ELi32ELb1ELi2ELNS0_23SharedExpertScoringFuncE1EEEvPKT_PKbPfiPiS9_iiiiii
    .private_segment_fixed_size: 0
    .sgpr_count:     21
    .sgpr_spill_count: 0
    .symbol:         _ZN4vllm3moe17topkGatingSoftmaxIDF16_Li16ELi128ELi8ELi32ELb1ELi2ELNS0_23SharedExpertScoringFuncE1EEEvPKT_PKbPfiPiS9_iiiiii.kd
    .uniform_work_group_size: 1
    .uses_dynamic_stack: false
    .vgpr_count:     53
    .vgpr_spill_count: 0
    .wavefront_size: 32
    .workgroup_processor_mode: 1
  - .args:
      - .address_space:  global
        .offset:         0
        .size:           8
        .value_kind:     global_buffer
      - .address_space:  global
        .offset:         8
        .size:           8
        .value_kind:     global_buffer
      - .address_space:  global
        .offset:         16
        .size:           8
        .value_kind:     global_buffer
      - .offset:         24
        .size:           4
        .value_kind:     by_value
      - .address_space:  global
        .offset:         32
        .size:           8
        .value_kind:     global_buffer
      - .address_space:  global
        .offset:         40
        .size:           8
        .value_kind:     global_buffer
      - .offset:         48
        .size:           4
        .value_kind:     by_value
      - .offset:         52
        .size:           4
        .value_kind:     by_value
      - .offset:         56
        .size:           4
        .value_kind:     by_value
      - .offset:         60
        .size:           4
        .value_kind:     by_value
      - .offset:         64
        .size:           4
        .value_kind:     by_value
      - .offset:         68
        .size:           4
        .value_kind:     by_value
    .group_segment_fixed_size: 0
    .kernarg_segment_align: 8
    .kernarg_segment_size: 72
    .language:       OpenCL C
    .language_version:
      - 2
      - 0
    .max_flat_workgroup_size: 256
    .name:           _ZN4vllm3moe17topkGatingSoftmaxIDF16_Li16ELi128ELi8ELi32ELb0ELi2ELNS0_23SharedExpertScoringFuncE1EEEvPKT_PKbPfiPiS9_iiiiii
    .private_segment_fixed_size: 0
    .sgpr_count:     21
    .sgpr_spill_count: 0
    .symbol:         _ZN4vllm3moe17topkGatingSoftmaxIDF16_Li16ELi128ELi8ELi32ELb0ELi2ELNS0_23SharedExpertScoringFuncE1EEEvPKT_PKbPfiPiS9_iiiiii.kd
    .uniform_work_group_size: 1
    .uses_dynamic_stack: false
    .vgpr_count:     53
    .vgpr_spill_count: 0
    .wavefront_size: 32
    .workgroup_processor_mode: 1
  - .args:
      - .address_space:  global
        .offset:         0
        .size:           8
        .value_kind:     global_buffer
      - .address_space:  global
        .offset:         8
        .size:           8
        .value_kind:     global_buffer
      - .address_space:  global
        .offset:         16
        .size:           8
        .value_kind:     global_buffer
      - .offset:         24
        .size:           4
        .value_kind:     by_value
      - .address_space:  global
        .offset:         32
        .size:           8
        .value_kind:     global_buffer
      - .address_space:  global
        .offset:         40
        .size:           8
        .value_kind:     global_buffer
      - .offset:         48
        .size:           4
        .value_kind:     by_value
      - .offset:         52
        .size:           4
        .value_kind:     by_value
      - .offset:         56
        .size:           4
        .value_kind:     by_value
      - .offset:         60
        .size:           4
        .value_kind:     by_value
      - .offset:         64
        .size:           4
        .value_kind:     by_value
      - .offset:         68
        .size:           4
        .value_kind:     by_value
    .group_segment_fixed_size: 0
    .kernarg_segment_align: 8
    .kernarg_segment_size: 72
    .language:       OpenCL C
    .language_version:
      - 2
      - 0
    .max_flat_workgroup_size: 256
    .name:           _ZN4vllm3moe17topkGatingSoftmaxIDF16_Li16ELi128ELi8ELi32ELb1ELi4ELNS0_23SharedExpertScoringFuncE1EEEvPKT_PKbPfiPiS9_iiiiii
    .private_segment_fixed_size: 0
    .sgpr_count:     21
    .sgpr_spill_count: 0
    .symbol:         _ZN4vllm3moe17topkGatingSoftmaxIDF16_Li16ELi128ELi8ELi32ELb1ELi4ELNS0_23SharedExpertScoringFuncE1EEEvPKT_PKbPfiPiS9_iiiiii.kd
    .uniform_work_group_size: 1
    .uses_dynamic_stack: false
    .vgpr_count:     53
    .vgpr_spill_count: 0
    .wavefront_size: 32
    .workgroup_processor_mode: 1
  - .args:
      - .address_space:  global
        .offset:         0
        .size:           8
        .value_kind:     global_buffer
      - .address_space:  global
        .offset:         8
        .size:           8
        .value_kind:     global_buffer
      - .address_space:  global
        .offset:         16
        .size:           8
        .value_kind:     global_buffer
      - .offset:         24
        .size:           4
        .value_kind:     by_value
      - .address_space:  global
        .offset:         32
        .size:           8
        .value_kind:     global_buffer
      - .address_space:  global
        .offset:         40
        .size:           8
        .value_kind:     global_buffer
      - .offset:         48
        .size:           4
        .value_kind:     by_value
      - .offset:         52
        .size:           4
        .value_kind:     by_value
      - .offset:         56
        .size:           4
        .value_kind:     by_value
      - .offset:         60
        .size:           4
        .value_kind:     by_value
      - .offset:         64
        .size:           4
        .value_kind:     by_value
      - .offset:         68
        .size:           4
        .value_kind:     by_value
    .group_segment_fixed_size: 0
    .kernarg_segment_align: 8
    .kernarg_segment_size: 72
    .language:       OpenCL C
    .language_version:
      - 2
      - 0
    .max_flat_workgroup_size: 256
    .name:           _ZN4vllm3moe17topkGatingSoftmaxIDF16_Li16ELi128ELi8ELi32ELb0ELi4ELNS0_23SharedExpertScoringFuncE1EEEvPKT_PKbPfiPiS9_iiiiii
    .private_segment_fixed_size: 0
    .sgpr_count:     21
    .sgpr_spill_count: 0
    .symbol:         _ZN4vllm3moe17topkGatingSoftmaxIDF16_Li16ELi128ELi8ELi32ELb0ELi4ELNS0_23SharedExpertScoringFuncE1EEEvPKT_PKbPfiPiS9_iiiiii.kd
    .uniform_work_group_size: 1
    .uses_dynamic_stack: false
    .vgpr_count:     53
    .vgpr_spill_count: 0
    .wavefront_size: 32
    .workgroup_processor_mode: 1
  - .args:
      - .address_space:  global
        .offset:         0
        .size:           8
        .value_kind:     global_buffer
      - .address_space:  global
        .offset:         8
        .size:           8
        .value_kind:     global_buffer
      - .address_space:  global
        .offset:         16
        .size:           8
        .value_kind:     global_buffer
      - .offset:         24
        .size:           4
        .value_kind:     by_value
      - .address_space:  global
        .offset:         32
        .size:           8
        .value_kind:     global_buffer
      - .address_space:  global
        .offset:         40
        .size:           8
        .value_kind:     global_buffer
      - .offset:         48
        .size:           4
        .value_kind:     by_value
      - .offset:         52
        .size:           4
        .value_kind:     by_value
      - .offset:         56
        .size:           4
        .value_kind:     by_value
      - .offset:         60
        .size:           4
        .value_kind:     by_value
      - .offset:         64
        .size:           4
        .value_kind:     by_value
      - .offset:         68
        .size:           4
        .value_kind:     by_value
    .group_segment_fixed_size: 0
    .kernarg_segment_align: 8
    .kernarg_segment_size: 72
    .language:       OpenCL C
    .language_version:
      - 2
      - 0
    .max_flat_workgroup_size: 256
    .name:           _ZN4vllm3moe17topkGatingSoftmaxIDF16_Li16ELi128ELi8ELi32ELb1ELi8ELNS0_23SharedExpertScoringFuncE1EEEvPKT_PKbPfiPiS9_iiiiii
    .private_segment_fixed_size: 0
    .sgpr_count:     21
    .sgpr_spill_count: 0
    .symbol:         _ZN4vllm3moe17topkGatingSoftmaxIDF16_Li16ELi128ELi8ELi32ELb1ELi8ELNS0_23SharedExpertScoringFuncE1EEEvPKT_PKbPfiPiS9_iiiiii.kd
    .uniform_work_group_size: 1
    .uses_dynamic_stack: false
    .vgpr_count:     53
    .vgpr_spill_count: 0
    .wavefront_size: 32
    .workgroup_processor_mode: 1
  - .args:
      - .address_space:  global
        .offset:         0
        .size:           8
        .value_kind:     global_buffer
      - .address_space:  global
        .offset:         8
        .size:           8
        .value_kind:     global_buffer
      - .address_space:  global
        .offset:         16
        .size:           8
        .value_kind:     global_buffer
      - .offset:         24
        .size:           4
        .value_kind:     by_value
      - .address_space:  global
        .offset:         32
        .size:           8
        .value_kind:     global_buffer
      - .address_space:  global
        .offset:         40
        .size:           8
        .value_kind:     global_buffer
      - .offset:         48
        .size:           4
        .value_kind:     by_value
      - .offset:         52
        .size:           4
        .value_kind:     by_value
      - .offset:         56
        .size:           4
        .value_kind:     by_value
      - .offset:         60
        .size:           4
        .value_kind:     by_value
      - .offset:         64
        .size:           4
        .value_kind:     by_value
      - .offset:         68
        .size:           4
        .value_kind:     by_value
    .group_segment_fixed_size: 0
    .kernarg_segment_align: 8
    .kernarg_segment_size: 72
    .language:       OpenCL C
    .language_version:
      - 2
      - 0
    .max_flat_workgroup_size: 256
    .name:           _ZN4vllm3moe17topkGatingSoftmaxIDF16_Li16ELi128ELi8ELi32ELb0ELi8ELNS0_23SharedExpertScoringFuncE1EEEvPKT_PKbPfiPiS9_iiiiii
    .private_segment_fixed_size: 0
    .sgpr_count:     21
    .sgpr_spill_count: 0
    .symbol:         _ZN4vllm3moe17topkGatingSoftmaxIDF16_Li16ELi128ELi8ELi32ELb0ELi8ELNS0_23SharedExpertScoringFuncE1EEEvPKT_PKbPfiPiS9_iiiiii.kd
    .uniform_work_group_size: 1
    .uses_dynamic_stack: false
    .vgpr_count:     53
    .vgpr_spill_count: 0
    .wavefront_size: 32
    .workgroup_processor_mode: 1
  - .args:
      - .address_space:  global
        .offset:         0
        .size:           8
        .value_kind:     global_buffer
      - .address_space:  global
        .offset:         8
        .size:           8
        .value_kind:     global_buffer
      - .address_space:  global
        .offset:         16
        .size:           8
        .value_kind:     global_buffer
      - .offset:         24
        .size:           4
        .value_kind:     by_value
      - .address_space:  global
        .offset:         32
        .size:           8
        .value_kind:     global_buffer
      - .address_space:  global
        .offset:         40
        .size:           8
        .value_kind:     global_buffer
      - .offset:         48
        .size:           4
        .value_kind:     by_value
      - .offset:         52
        .size:           4
        .value_kind:     by_value
      - .offset:         56
        .size:           4
        .value_kind:     by_value
      - .offset:         60
        .size:           4
        .value_kind:     by_value
      - .offset:         64
        .size:           4
        .value_kind:     by_value
      - .offset:         68
        .size:           4
        .value_kind:     by_value
    .group_segment_fixed_size: 0
    .kernarg_segment_align: 8
    .kernarg_segment_size: 72
    .language:       OpenCL C
    .language_version:
      - 2
      - 0
    .max_flat_workgroup_size: 256
    .name:           _ZN4vllm3moe17topkGatingSoftmaxIDF16_Li16ELi256ELi8ELi32ELb1ELi0ELNS0_23SharedExpertScoringFuncE0EEEvPKT_PKbPfiPiS9_iiiiii
    .private_segment_fixed_size: 0
    .sgpr_count:     21
    .sgpr_spill_count: 0
    .symbol:         _ZN4vllm3moe17topkGatingSoftmaxIDF16_Li16ELi256ELi8ELi32ELb1ELi0ELNS0_23SharedExpertScoringFuncE0EEEvPKT_PKbPfiPiS9_iiiiii.kd
    .uniform_work_group_size: 1
    .uses_dynamic_stack: false
    .vgpr_count:     53
    .vgpr_spill_count: 0
    .wavefront_size: 32
    .workgroup_processor_mode: 1
  - .args:
      - .address_space:  global
        .offset:         0
        .size:           8
        .value_kind:     global_buffer
      - .address_space:  global
        .offset:         8
        .size:           8
        .value_kind:     global_buffer
      - .address_space:  global
        .offset:         16
        .size:           8
        .value_kind:     global_buffer
      - .offset:         24
        .size:           4
        .value_kind:     by_value
      - .address_space:  global
        .offset:         32
        .size:           8
        .value_kind:     global_buffer
      - .address_space:  global
        .offset:         40
        .size:           8
        .value_kind:     global_buffer
      - .offset:         48
        .size:           4
        .value_kind:     by_value
      - .offset:         52
        .size:           4
        .value_kind:     by_value
      - .offset:         56
        .size:           4
        .value_kind:     by_value
      - .offset:         60
        .size:           4
        .value_kind:     by_value
      - .offset:         64
        .size:           4
        .value_kind:     by_value
      - .offset:         68
        .size:           4
        .value_kind:     by_value
    .group_segment_fixed_size: 0
    .kernarg_segment_align: 8
    .kernarg_segment_size: 72
    .language:       OpenCL C
    .language_version:
      - 2
      - 0
    .max_flat_workgroup_size: 256
    .name:           _ZN4vllm3moe17topkGatingSoftmaxIDF16_Li16ELi256ELi8ELi32ELb0ELi0ELNS0_23SharedExpertScoringFuncE0EEEvPKT_PKbPfiPiS9_iiiiii
    .private_segment_fixed_size: 0
    .sgpr_count:     21
    .sgpr_spill_count: 0
    .symbol:         _ZN4vllm3moe17topkGatingSoftmaxIDF16_Li16ELi256ELi8ELi32ELb0ELi0ELNS0_23SharedExpertScoringFuncE0EEEvPKT_PKbPfiPiS9_iiiiii.kd
    .uniform_work_group_size: 1
    .uses_dynamic_stack: false
    .vgpr_count:     53
    .vgpr_spill_count: 0
    .wavefront_size: 32
    .workgroup_processor_mode: 1
  - .args:
      - .address_space:  global
        .offset:         0
        .size:           8
        .value_kind:     global_buffer
      - .address_space:  global
        .offset:         8
        .size:           8
        .value_kind:     global_buffer
      - .address_space:  global
        .offset:         16
        .size:           8
        .value_kind:     global_buffer
      - .offset:         24
        .size:           4
        .value_kind:     by_value
      - .address_space:  global
        .offset:         32
        .size:           8
        .value_kind:     global_buffer
      - .address_space:  global
        .offset:         40
        .size:           8
        .value_kind:     global_buffer
      - .offset:         48
        .size:           4
        .value_kind:     by_value
      - .offset:         52
        .size:           4
        .value_kind:     by_value
      - .offset:         56
        .size:           4
        .value_kind:     by_value
      - .offset:         60
        .size:           4
        .value_kind:     by_value
      - .offset:         64
        .size:           4
        .value_kind:     by_value
      - .offset:         68
        .size:           4
        .value_kind:     by_value
    .group_segment_fixed_size: 0
    .kernarg_segment_align: 8
    .kernarg_segment_size: 72
    .language:       OpenCL C
    .language_version:
      - 2
      - 0
    .max_flat_workgroup_size: 256
    .name:           _ZN4vllm3moe17topkGatingSoftmaxIDF16_Li16ELi256ELi8ELi32ELb1ELi1ELNS0_23SharedExpertScoringFuncE1EEEvPKT_PKbPfiPiS9_iiiiii
    .private_segment_fixed_size: 0
    .sgpr_count:     21
    .sgpr_spill_count: 0
    .symbol:         _ZN4vllm3moe17topkGatingSoftmaxIDF16_Li16ELi256ELi8ELi32ELb1ELi1ELNS0_23SharedExpertScoringFuncE1EEEvPKT_PKbPfiPiS9_iiiiii.kd
    .uniform_work_group_size: 1
    .uses_dynamic_stack: false
    .vgpr_count:     53
    .vgpr_spill_count: 0
    .wavefront_size: 32
    .workgroup_processor_mode: 1
  - .args:
      - .address_space:  global
        .offset:         0
        .size:           8
        .value_kind:     global_buffer
      - .address_space:  global
        .offset:         8
        .size:           8
        .value_kind:     global_buffer
      - .address_space:  global
        .offset:         16
        .size:           8
        .value_kind:     global_buffer
      - .offset:         24
        .size:           4
        .value_kind:     by_value
      - .address_space:  global
        .offset:         32
        .size:           8
        .value_kind:     global_buffer
      - .address_space:  global
        .offset:         40
        .size:           8
        .value_kind:     global_buffer
      - .offset:         48
        .size:           4
        .value_kind:     by_value
      - .offset:         52
        .size:           4
        .value_kind:     by_value
      - .offset:         56
        .size:           4
        .value_kind:     by_value
      - .offset:         60
        .size:           4
        .value_kind:     by_value
      - .offset:         64
        .size:           4
        .value_kind:     by_value
      - .offset:         68
        .size:           4
        .value_kind:     by_value
    .group_segment_fixed_size: 0
    .kernarg_segment_align: 8
    .kernarg_segment_size: 72
    .language:       OpenCL C
    .language_version:
      - 2
      - 0
    .max_flat_workgroup_size: 256
    .name:           _ZN4vllm3moe17topkGatingSoftmaxIDF16_Li16ELi256ELi8ELi32ELb0ELi1ELNS0_23SharedExpertScoringFuncE1EEEvPKT_PKbPfiPiS9_iiiiii
    .private_segment_fixed_size: 0
    .sgpr_count:     21
    .sgpr_spill_count: 0
    .symbol:         _ZN4vllm3moe17topkGatingSoftmaxIDF16_Li16ELi256ELi8ELi32ELb0ELi1ELNS0_23SharedExpertScoringFuncE1EEEvPKT_PKbPfiPiS9_iiiiii.kd
    .uniform_work_group_size: 1
    .uses_dynamic_stack: false
    .vgpr_count:     53
    .vgpr_spill_count: 0
    .wavefront_size: 32
    .workgroup_processor_mode: 1
  - .args:
      - .address_space:  global
        .offset:         0
        .size:           8
        .value_kind:     global_buffer
      - .address_space:  global
        .offset:         8
        .size:           8
        .value_kind:     global_buffer
      - .address_space:  global
        .offset:         16
        .size:           8
        .value_kind:     global_buffer
      - .offset:         24
        .size:           4
        .value_kind:     by_value
      - .address_space:  global
        .offset:         32
        .size:           8
        .value_kind:     global_buffer
      - .address_space:  global
        .offset:         40
        .size:           8
        .value_kind:     global_buffer
      - .offset:         48
        .size:           4
        .value_kind:     by_value
      - .offset:         52
        .size:           4
        .value_kind:     by_value
      - .offset:         56
        .size:           4
        .value_kind:     by_value
      - .offset:         60
        .size:           4
        .value_kind:     by_value
      - .offset:         64
        .size:           4
        .value_kind:     by_value
      - .offset:         68
        .size:           4
        .value_kind:     by_value
    .group_segment_fixed_size: 0
    .kernarg_segment_align: 8
    .kernarg_segment_size: 72
    .language:       OpenCL C
    .language_version:
      - 2
      - 0
    .max_flat_workgroup_size: 256
    .name:           _ZN4vllm3moe17topkGatingSoftmaxIDF16_Li16ELi256ELi8ELi32ELb1ELi2ELNS0_23SharedExpertScoringFuncE1EEEvPKT_PKbPfiPiS9_iiiiii
    .private_segment_fixed_size: 0
    .sgpr_count:     21
    .sgpr_spill_count: 0
    .symbol:         _ZN4vllm3moe17topkGatingSoftmaxIDF16_Li16ELi256ELi8ELi32ELb1ELi2ELNS0_23SharedExpertScoringFuncE1EEEvPKT_PKbPfiPiS9_iiiiii.kd
    .uniform_work_group_size: 1
    .uses_dynamic_stack: false
    .vgpr_count:     53
    .vgpr_spill_count: 0
    .wavefront_size: 32
    .workgroup_processor_mode: 1
  - .args:
      - .address_space:  global
        .offset:         0
        .size:           8
        .value_kind:     global_buffer
      - .address_space:  global
        .offset:         8
        .size:           8
        .value_kind:     global_buffer
      - .address_space:  global
        .offset:         16
        .size:           8
        .value_kind:     global_buffer
      - .offset:         24
        .size:           4
        .value_kind:     by_value
      - .address_space:  global
        .offset:         32
        .size:           8
        .value_kind:     global_buffer
      - .address_space:  global
        .offset:         40
        .size:           8
        .value_kind:     global_buffer
      - .offset:         48
        .size:           4
        .value_kind:     by_value
      - .offset:         52
        .size:           4
        .value_kind:     by_value
      - .offset:         56
        .size:           4
        .value_kind:     by_value
      - .offset:         60
        .size:           4
        .value_kind:     by_value
      - .offset:         64
        .size:           4
        .value_kind:     by_value
      - .offset:         68
        .size:           4
        .value_kind:     by_value
    .group_segment_fixed_size: 0
    .kernarg_segment_align: 8
    .kernarg_segment_size: 72
    .language:       OpenCL C
    .language_version:
      - 2
      - 0
    .max_flat_workgroup_size: 256
    .name:           _ZN4vllm3moe17topkGatingSoftmaxIDF16_Li16ELi256ELi8ELi32ELb0ELi2ELNS0_23SharedExpertScoringFuncE1EEEvPKT_PKbPfiPiS9_iiiiii
    .private_segment_fixed_size: 0
    .sgpr_count:     21
    .sgpr_spill_count: 0
    .symbol:         _ZN4vllm3moe17topkGatingSoftmaxIDF16_Li16ELi256ELi8ELi32ELb0ELi2ELNS0_23SharedExpertScoringFuncE1EEEvPKT_PKbPfiPiS9_iiiiii.kd
    .uniform_work_group_size: 1
    .uses_dynamic_stack: false
    .vgpr_count:     53
    .vgpr_spill_count: 0
    .wavefront_size: 32
    .workgroup_processor_mode: 1
  - .args:
      - .address_space:  global
        .offset:         0
        .size:           8
        .value_kind:     global_buffer
      - .address_space:  global
        .offset:         8
        .size:           8
        .value_kind:     global_buffer
      - .address_space:  global
        .offset:         16
        .size:           8
        .value_kind:     global_buffer
      - .offset:         24
        .size:           4
        .value_kind:     by_value
      - .address_space:  global
        .offset:         32
        .size:           8
        .value_kind:     global_buffer
      - .address_space:  global
        .offset:         40
        .size:           8
        .value_kind:     global_buffer
      - .offset:         48
        .size:           4
        .value_kind:     by_value
      - .offset:         52
        .size:           4
        .value_kind:     by_value
      - .offset:         56
        .size:           4
        .value_kind:     by_value
      - .offset:         60
        .size:           4
        .value_kind:     by_value
      - .offset:         64
        .size:           4
        .value_kind:     by_value
      - .offset:         68
        .size:           4
        .value_kind:     by_value
    .group_segment_fixed_size: 0
    .kernarg_segment_align: 8
    .kernarg_segment_size: 72
    .language:       OpenCL C
    .language_version:
      - 2
      - 0
    .max_flat_workgroup_size: 256
    .name:           _ZN4vllm3moe17topkGatingSoftmaxIDF16_Li16ELi256ELi8ELi32ELb1ELi4ELNS0_23SharedExpertScoringFuncE1EEEvPKT_PKbPfiPiS9_iiiiii
    .private_segment_fixed_size: 0
    .sgpr_count:     21
    .sgpr_spill_count: 0
    .symbol:         _ZN4vllm3moe17topkGatingSoftmaxIDF16_Li16ELi256ELi8ELi32ELb1ELi4ELNS0_23SharedExpertScoringFuncE1EEEvPKT_PKbPfiPiS9_iiiiii.kd
    .uniform_work_group_size: 1
    .uses_dynamic_stack: false
    .vgpr_count:     53
    .vgpr_spill_count: 0
    .wavefront_size: 32
    .workgroup_processor_mode: 1
  - .args:
      - .address_space:  global
        .offset:         0
        .size:           8
        .value_kind:     global_buffer
      - .address_space:  global
        .offset:         8
        .size:           8
        .value_kind:     global_buffer
      - .address_space:  global
        .offset:         16
        .size:           8
        .value_kind:     global_buffer
      - .offset:         24
        .size:           4
        .value_kind:     by_value
      - .address_space:  global
        .offset:         32
        .size:           8
        .value_kind:     global_buffer
      - .address_space:  global
        .offset:         40
        .size:           8
        .value_kind:     global_buffer
      - .offset:         48
        .size:           4
        .value_kind:     by_value
      - .offset:         52
        .size:           4
        .value_kind:     by_value
      - .offset:         56
        .size:           4
        .value_kind:     by_value
      - .offset:         60
        .size:           4
        .value_kind:     by_value
      - .offset:         64
        .size:           4
        .value_kind:     by_value
      - .offset:         68
        .size:           4
        .value_kind:     by_value
    .group_segment_fixed_size: 0
    .kernarg_segment_align: 8
    .kernarg_segment_size: 72
    .language:       OpenCL C
    .language_version:
      - 2
      - 0
    .max_flat_workgroup_size: 256
    .name:           _ZN4vllm3moe17topkGatingSoftmaxIDF16_Li16ELi256ELi8ELi32ELb0ELi4ELNS0_23SharedExpertScoringFuncE1EEEvPKT_PKbPfiPiS9_iiiiii
    .private_segment_fixed_size: 0
    .sgpr_count:     21
    .sgpr_spill_count: 0
    .symbol:         _ZN4vllm3moe17topkGatingSoftmaxIDF16_Li16ELi256ELi8ELi32ELb0ELi4ELNS0_23SharedExpertScoringFuncE1EEEvPKT_PKbPfiPiS9_iiiiii.kd
    .uniform_work_group_size: 1
    .uses_dynamic_stack: false
    .vgpr_count:     53
    .vgpr_spill_count: 0
    .wavefront_size: 32
    .workgroup_processor_mode: 1
  - .args:
      - .address_space:  global
        .offset:         0
        .size:           8
        .value_kind:     global_buffer
      - .address_space:  global
        .offset:         8
        .size:           8
        .value_kind:     global_buffer
      - .address_space:  global
        .offset:         16
        .size:           8
        .value_kind:     global_buffer
      - .offset:         24
        .size:           4
        .value_kind:     by_value
      - .address_space:  global
        .offset:         32
        .size:           8
        .value_kind:     global_buffer
      - .address_space:  global
        .offset:         40
        .size:           8
        .value_kind:     global_buffer
      - .offset:         48
        .size:           4
        .value_kind:     by_value
      - .offset:         52
        .size:           4
        .value_kind:     by_value
      - .offset:         56
        .size:           4
        .value_kind:     by_value
      - .offset:         60
        .size:           4
        .value_kind:     by_value
      - .offset:         64
        .size:           4
        .value_kind:     by_value
      - .offset:         68
        .size:           4
        .value_kind:     by_value
    .group_segment_fixed_size: 0
    .kernarg_segment_align: 8
    .kernarg_segment_size: 72
    .language:       OpenCL C
    .language_version:
      - 2
      - 0
    .max_flat_workgroup_size: 256
    .name:           _ZN4vllm3moe17topkGatingSoftmaxIDF16_Li16ELi256ELi8ELi32ELb1ELi8ELNS0_23SharedExpertScoringFuncE1EEEvPKT_PKbPfiPiS9_iiiiii
    .private_segment_fixed_size: 0
    .sgpr_count:     21
    .sgpr_spill_count: 0
    .symbol:         _ZN4vllm3moe17topkGatingSoftmaxIDF16_Li16ELi256ELi8ELi32ELb1ELi8ELNS0_23SharedExpertScoringFuncE1EEEvPKT_PKbPfiPiS9_iiiiii.kd
    .uniform_work_group_size: 1
    .uses_dynamic_stack: false
    .vgpr_count:     53
    .vgpr_spill_count: 0
    .wavefront_size: 32
    .workgroup_processor_mode: 1
  - .args:
      - .address_space:  global
        .offset:         0
        .size:           8
        .value_kind:     global_buffer
      - .address_space:  global
        .offset:         8
        .size:           8
        .value_kind:     global_buffer
      - .address_space:  global
        .offset:         16
        .size:           8
        .value_kind:     global_buffer
      - .offset:         24
        .size:           4
        .value_kind:     by_value
      - .address_space:  global
        .offset:         32
        .size:           8
        .value_kind:     global_buffer
      - .address_space:  global
        .offset:         40
        .size:           8
        .value_kind:     global_buffer
      - .offset:         48
        .size:           4
        .value_kind:     by_value
      - .offset:         52
        .size:           4
        .value_kind:     by_value
      - .offset:         56
        .size:           4
        .value_kind:     by_value
      - .offset:         60
        .size:           4
        .value_kind:     by_value
      - .offset:         64
        .size:           4
        .value_kind:     by_value
      - .offset:         68
        .size:           4
        .value_kind:     by_value
    .group_segment_fixed_size: 0
    .kernarg_segment_align: 8
    .kernarg_segment_size: 72
    .language:       OpenCL C
    .language_version:
      - 2
      - 0
    .max_flat_workgroup_size: 256
    .name:           _ZN4vllm3moe17topkGatingSoftmaxIDF16_Li16ELi256ELi8ELi32ELb0ELi8ELNS0_23SharedExpertScoringFuncE1EEEvPKT_PKbPfiPiS9_iiiiii
    .private_segment_fixed_size: 0
    .sgpr_count:     21
    .sgpr_spill_count: 0
    .symbol:         _ZN4vllm3moe17topkGatingSoftmaxIDF16_Li16ELi256ELi8ELi32ELb0ELi8ELNS0_23SharedExpertScoringFuncE1EEEvPKT_PKbPfiPiS9_iiiiii.kd
    .uniform_work_group_size: 1
    .uses_dynamic_stack: false
    .vgpr_count:     53
    .vgpr_spill_count: 0
    .wavefront_size: 32
    .workgroup_processor_mode: 1
  - .args:
      - .address_space:  global
        .offset:         0
        .size:           8
        .value_kind:     global_buffer
      - .address_space:  global
        .offset:         8
        .size:           8
        .value_kind:     global_buffer
      - .address_space:  global
        .offset:         16
        .size:           8
        .value_kind:     global_buffer
      - .offset:         24
        .size:           4
        .value_kind:     by_value
      - .address_space:  global
        .offset:         32
        .size:           8
        .value_kind:     global_buffer
      - .address_space:  global
        .offset:         40
        .size:           8
        .value_kind:     global_buffer
      - .offset:         48
        .size:           4
        .value_kind:     by_value
      - .offset:         52
        .size:           4
        .value_kind:     by_value
      - .offset:         56
        .size:           4
        .value_kind:     by_value
      - .offset:         60
        .size:           4
        .value_kind:     by_value
      - .offset:         64
        .size:           4
        .value_kind:     by_value
      - .offset:         68
        .size:           4
        .value_kind:     by_value
    .group_segment_fixed_size: 0
    .kernarg_segment_align: 8
    .kernarg_segment_size: 72
    .language:       OpenCL C
    .language_version:
      - 2
      - 0
    .max_flat_workgroup_size: 64
    .name:           _ZN4vllm3moe17topkGatingSoftmaxIDF16_Li32ELi512ELi2ELi64ELb1ELi0ELNS0_23SharedExpertScoringFuncE0EEEvPKT_PKbPfiPiS9_iiiiii
    .private_segment_fixed_size: 144
    .sgpr_count:     21
    .sgpr_spill_count: 0
    .symbol:         _ZN4vllm3moe17topkGatingSoftmaxIDF16_Li32ELi512ELi2ELi64ELb1ELi0ELNS0_23SharedExpertScoringFuncE0EEEvPKT_PKbPfiPiS9_iiiiii.kd
    .uniform_work_group_size: 1
    .uses_dynamic_stack: false
    .vgpr_count:     76
    .vgpr_spill_count: 0
    .wavefront_size: 32
    .workgroup_processor_mode: 1
  - .args:
      - .address_space:  global
        .offset:         0
        .size:           8
        .value_kind:     global_buffer
      - .address_space:  global
        .offset:         8
        .size:           8
        .value_kind:     global_buffer
      - .address_space:  global
        .offset:         16
        .size:           8
        .value_kind:     global_buffer
      - .offset:         24
        .size:           4
        .value_kind:     by_value
      - .address_space:  global
        .offset:         32
        .size:           8
        .value_kind:     global_buffer
      - .address_space:  global
        .offset:         40
        .size:           8
        .value_kind:     global_buffer
      - .offset:         48
        .size:           4
        .value_kind:     by_value
      - .offset:         52
        .size:           4
        .value_kind:     by_value
      - .offset:         56
        .size:           4
        .value_kind:     by_value
      - .offset:         60
        .size:           4
        .value_kind:     by_value
      - .offset:         64
        .size:           4
        .value_kind:     by_value
      - .offset:         68
        .size:           4
        .value_kind:     by_value
    .group_segment_fixed_size: 0
    .kernarg_segment_align: 8
    .kernarg_segment_size: 72
    .language:       OpenCL C
    .language_version:
      - 2
      - 0
    .max_flat_workgroup_size: 64
    .name:           _ZN4vllm3moe17topkGatingSoftmaxIDF16_Li32ELi512ELi2ELi64ELb0ELi0ELNS0_23SharedExpertScoringFuncE0EEEvPKT_PKbPfiPiS9_iiiiii
    .private_segment_fixed_size: 144
    .sgpr_count:     21
    .sgpr_spill_count: 0
    .symbol:         _ZN4vllm3moe17topkGatingSoftmaxIDF16_Li32ELi512ELi2ELi64ELb0ELi0ELNS0_23SharedExpertScoringFuncE0EEEvPKT_PKbPfiPiS9_iiiiii.kd
    .uniform_work_group_size: 1
    .uses_dynamic_stack: false
    .vgpr_count:     76
    .vgpr_spill_count: 0
    .wavefront_size: 32
    .workgroup_processor_mode: 1
  - .args:
      - .address_space:  global
        .offset:         0
        .size:           8
        .value_kind:     global_buffer
      - .address_space:  global
        .offset:         8
        .size:           8
        .value_kind:     global_buffer
      - .address_space:  global
        .offset:         16
        .size:           8
        .value_kind:     global_buffer
      - .offset:         24
        .size:           4
        .value_kind:     by_value
      - .address_space:  global
        .offset:         32
        .size:           8
        .value_kind:     global_buffer
      - .address_space:  global
        .offset:         40
        .size:           8
        .value_kind:     global_buffer
      - .offset:         48
        .size:           4
        .value_kind:     by_value
      - .offset:         52
        .size:           4
        .value_kind:     by_value
      - .offset:         56
        .size:           4
        .value_kind:     by_value
      - .offset:         60
        .size:           4
        .value_kind:     by_value
      - .offset:         64
        .size:           4
        .value_kind:     by_value
      - .offset:         68
        .size:           4
        .value_kind:     by_value
    .group_segment_fixed_size: 0
    .kernarg_segment_align: 8
    .kernarg_segment_size: 72
    .language:       OpenCL C
    .language_version:
      - 2
      - 0
    .max_flat_workgroup_size: 64
    .name:           _ZN4vllm3moe17topkGatingSoftmaxIDF16_Li32ELi512ELi2ELi64ELb1ELi1ELNS0_23SharedExpertScoringFuncE1EEEvPKT_PKbPfiPiS9_iiiiii
    .private_segment_fixed_size: 144
    .sgpr_count:     21
    .sgpr_spill_count: 0
    .symbol:         _ZN4vllm3moe17topkGatingSoftmaxIDF16_Li32ELi512ELi2ELi64ELb1ELi1ELNS0_23SharedExpertScoringFuncE1EEEvPKT_PKbPfiPiS9_iiiiii.kd
    .uniform_work_group_size: 1
    .uses_dynamic_stack: false
    .vgpr_count:     77
    .vgpr_spill_count: 0
    .wavefront_size: 32
    .workgroup_processor_mode: 1
  - .args:
      - .address_space:  global
        .offset:         0
        .size:           8
        .value_kind:     global_buffer
      - .address_space:  global
        .offset:         8
        .size:           8
        .value_kind:     global_buffer
      - .address_space:  global
        .offset:         16
        .size:           8
        .value_kind:     global_buffer
      - .offset:         24
        .size:           4
        .value_kind:     by_value
      - .address_space:  global
        .offset:         32
        .size:           8
        .value_kind:     global_buffer
      - .address_space:  global
        .offset:         40
        .size:           8
        .value_kind:     global_buffer
      - .offset:         48
        .size:           4
        .value_kind:     by_value
      - .offset:         52
        .size:           4
        .value_kind:     by_value
      - .offset:         56
        .size:           4
        .value_kind:     by_value
      - .offset:         60
        .size:           4
        .value_kind:     by_value
      - .offset:         64
        .size:           4
        .value_kind:     by_value
      - .offset:         68
        .size:           4
        .value_kind:     by_value
    .group_segment_fixed_size: 0
    .kernarg_segment_align: 8
    .kernarg_segment_size: 72
    .language:       OpenCL C
    .language_version:
      - 2
      - 0
    .max_flat_workgroup_size: 64
    .name:           _ZN4vllm3moe17topkGatingSoftmaxIDF16_Li32ELi512ELi2ELi64ELb0ELi1ELNS0_23SharedExpertScoringFuncE1EEEvPKT_PKbPfiPiS9_iiiiii
    .private_segment_fixed_size: 144
    .sgpr_count:     21
    .sgpr_spill_count: 0
    .symbol:         _ZN4vllm3moe17topkGatingSoftmaxIDF16_Li32ELi512ELi2ELi64ELb0ELi1ELNS0_23SharedExpertScoringFuncE1EEEvPKT_PKbPfiPiS9_iiiiii.kd
    .uniform_work_group_size: 1
    .uses_dynamic_stack: false
    .vgpr_count:     77
    .vgpr_spill_count: 0
    .wavefront_size: 32
    .workgroup_processor_mode: 1
  - .args:
      - .address_space:  global
        .offset:         0
        .size:           8
        .value_kind:     global_buffer
      - .address_space:  global
        .offset:         8
        .size:           8
        .value_kind:     global_buffer
      - .address_space:  global
        .offset:         16
        .size:           8
        .value_kind:     global_buffer
      - .offset:         24
        .size:           4
        .value_kind:     by_value
      - .address_space:  global
        .offset:         32
        .size:           8
        .value_kind:     global_buffer
      - .address_space:  global
        .offset:         40
        .size:           8
        .value_kind:     global_buffer
      - .offset:         48
        .size:           4
        .value_kind:     by_value
      - .offset:         52
        .size:           4
        .value_kind:     by_value
      - .offset:         56
        .size:           4
        .value_kind:     by_value
      - .offset:         60
        .size:           4
        .value_kind:     by_value
      - .offset:         64
        .size:           4
        .value_kind:     by_value
      - .offset:         68
        .size:           4
        .value_kind:     by_value
    .group_segment_fixed_size: 0
    .kernarg_segment_align: 8
    .kernarg_segment_size: 72
    .language:       OpenCL C
    .language_version:
      - 2
      - 0
    .max_flat_workgroup_size: 64
    .name:           _ZN4vllm3moe17topkGatingSoftmaxIDF16_Li32ELi512ELi2ELi64ELb1ELi2ELNS0_23SharedExpertScoringFuncE1EEEvPKT_PKbPfiPiS9_iiiiii
    .private_segment_fixed_size: 144
    .sgpr_count:     21
    .sgpr_spill_count: 0
    .symbol:         _ZN4vllm3moe17topkGatingSoftmaxIDF16_Li32ELi512ELi2ELi64ELb1ELi2ELNS0_23SharedExpertScoringFuncE1EEEvPKT_PKbPfiPiS9_iiiiii.kd
    .uniform_work_group_size: 1
    .uses_dynamic_stack: false
    .vgpr_count:     77
    .vgpr_spill_count: 0
    .wavefront_size: 32
    .workgroup_processor_mode: 1
  - .args:
      - .address_space:  global
        .offset:         0
        .size:           8
        .value_kind:     global_buffer
      - .address_space:  global
        .offset:         8
        .size:           8
        .value_kind:     global_buffer
      - .address_space:  global
        .offset:         16
        .size:           8
        .value_kind:     global_buffer
      - .offset:         24
        .size:           4
        .value_kind:     by_value
      - .address_space:  global
        .offset:         32
        .size:           8
        .value_kind:     global_buffer
      - .address_space:  global
        .offset:         40
        .size:           8
        .value_kind:     global_buffer
      - .offset:         48
        .size:           4
        .value_kind:     by_value
      - .offset:         52
        .size:           4
        .value_kind:     by_value
      - .offset:         56
        .size:           4
        .value_kind:     by_value
      - .offset:         60
        .size:           4
        .value_kind:     by_value
      - .offset:         64
        .size:           4
        .value_kind:     by_value
      - .offset:         68
        .size:           4
        .value_kind:     by_value
    .group_segment_fixed_size: 0
    .kernarg_segment_align: 8
    .kernarg_segment_size: 72
    .language:       OpenCL C
    .language_version:
      - 2
      - 0
    .max_flat_workgroup_size: 64
    .name:           _ZN4vllm3moe17topkGatingSoftmaxIDF16_Li32ELi512ELi2ELi64ELb0ELi2ELNS0_23SharedExpertScoringFuncE1EEEvPKT_PKbPfiPiS9_iiiiii
    .private_segment_fixed_size: 144
    .sgpr_count:     21
    .sgpr_spill_count: 0
    .symbol:         _ZN4vllm3moe17topkGatingSoftmaxIDF16_Li32ELi512ELi2ELi64ELb0ELi2ELNS0_23SharedExpertScoringFuncE1EEEvPKT_PKbPfiPiS9_iiiiii.kd
    .uniform_work_group_size: 1
    .uses_dynamic_stack: false
    .vgpr_count:     77
    .vgpr_spill_count: 0
    .wavefront_size: 32
    .workgroup_processor_mode: 1
  - .args:
      - .address_space:  global
        .offset:         0
        .size:           8
        .value_kind:     global_buffer
      - .address_space:  global
        .offset:         8
        .size:           8
        .value_kind:     global_buffer
      - .address_space:  global
        .offset:         16
        .size:           8
        .value_kind:     global_buffer
      - .offset:         24
        .size:           4
        .value_kind:     by_value
      - .address_space:  global
        .offset:         32
        .size:           8
        .value_kind:     global_buffer
      - .address_space:  global
        .offset:         40
        .size:           8
        .value_kind:     global_buffer
      - .offset:         48
        .size:           4
        .value_kind:     by_value
      - .offset:         52
        .size:           4
        .value_kind:     by_value
      - .offset:         56
        .size:           4
        .value_kind:     by_value
      - .offset:         60
        .size:           4
        .value_kind:     by_value
      - .offset:         64
        .size:           4
        .value_kind:     by_value
      - .offset:         68
        .size:           4
        .value_kind:     by_value
    .group_segment_fixed_size: 0
    .kernarg_segment_align: 8
    .kernarg_segment_size: 72
    .language:       OpenCL C
    .language_version:
      - 2
      - 0
    .max_flat_workgroup_size: 64
    .name:           _ZN4vllm3moe17topkGatingSoftmaxIDF16_Li32ELi512ELi2ELi64ELb1ELi4ELNS0_23SharedExpertScoringFuncE1EEEvPKT_PKbPfiPiS9_iiiiii
    .private_segment_fixed_size: 144
    .sgpr_count:     21
    .sgpr_spill_count: 0
    .symbol:         _ZN4vllm3moe17topkGatingSoftmaxIDF16_Li32ELi512ELi2ELi64ELb1ELi4ELNS0_23SharedExpertScoringFuncE1EEEvPKT_PKbPfiPiS9_iiiiii.kd
    .uniform_work_group_size: 1
    .uses_dynamic_stack: false
    .vgpr_count:     77
    .vgpr_spill_count: 0
    .wavefront_size: 32
    .workgroup_processor_mode: 1
  - .args:
      - .address_space:  global
        .offset:         0
        .size:           8
        .value_kind:     global_buffer
      - .address_space:  global
        .offset:         8
        .size:           8
        .value_kind:     global_buffer
      - .address_space:  global
        .offset:         16
        .size:           8
        .value_kind:     global_buffer
      - .offset:         24
        .size:           4
        .value_kind:     by_value
      - .address_space:  global
        .offset:         32
        .size:           8
        .value_kind:     global_buffer
      - .address_space:  global
        .offset:         40
        .size:           8
        .value_kind:     global_buffer
      - .offset:         48
        .size:           4
        .value_kind:     by_value
      - .offset:         52
        .size:           4
        .value_kind:     by_value
      - .offset:         56
        .size:           4
        .value_kind:     by_value
      - .offset:         60
        .size:           4
        .value_kind:     by_value
      - .offset:         64
        .size:           4
        .value_kind:     by_value
      - .offset:         68
        .size:           4
        .value_kind:     by_value
    .group_segment_fixed_size: 0
    .kernarg_segment_align: 8
    .kernarg_segment_size: 72
    .language:       OpenCL C
    .language_version:
      - 2
      - 0
    .max_flat_workgroup_size: 64
    .name:           _ZN4vllm3moe17topkGatingSoftmaxIDF16_Li32ELi512ELi2ELi64ELb0ELi4ELNS0_23SharedExpertScoringFuncE1EEEvPKT_PKbPfiPiS9_iiiiii
    .private_segment_fixed_size: 144
    .sgpr_count:     21
    .sgpr_spill_count: 0
    .symbol:         _ZN4vllm3moe17topkGatingSoftmaxIDF16_Li32ELi512ELi2ELi64ELb0ELi4ELNS0_23SharedExpertScoringFuncE1EEEvPKT_PKbPfiPiS9_iiiiii.kd
    .uniform_work_group_size: 1
    .uses_dynamic_stack: false
    .vgpr_count:     77
    .vgpr_spill_count: 0
    .wavefront_size: 32
    .workgroup_processor_mode: 1
  - .args:
      - .address_space:  global
        .offset:         0
        .size:           8
        .value_kind:     global_buffer
      - .address_space:  global
        .offset:         8
        .size:           8
        .value_kind:     global_buffer
      - .address_space:  global
        .offset:         16
        .size:           8
        .value_kind:     global_buffer
      - .offset:         24
        .size:           4
        .value_kind:     by_value
      - .address_space:  global
        .offset:         32
        .size:           8
        .value_kind:     global_buffer
      - .address_space:  global
        .offset:         40
        .size:           8
        .value_kind:     global_buffer
      - .offset:         48
        .size:           4
        .value_kind:     by_value
      - .offset:         52
        .size:           4
        .value_kind:     by_value
      - .offset:         56
        .size:           4
        .value_kind:     by_value
      - .offset:         60
        .size:           4
        .value_kind:     by_value
      - .offset:         64
        .size:           4
        .value_kind:     by_value
      - .offset:         68
        .size:           4
        .value_kind:     by_value
    .group_segment_fixed_size: 0
    .kernarg_segment_align: 8
    .kernarg_segment_size: 72
    .language:       OpenCL C
    .language_version:
      - 2
      - 0
    .max_flat_workgroup_size: 64
    .name:           _ZN4vllm3moe17topkGatingSoftmaxIDF16_Li32ELi512ELi2ELi64ELb1ELi8ELNS0_23SharedExpertScoringFuncE1EEEvPKT_PKbPfiPiS9_iiiiii
    .private_segment_fixed_size: 144
    .sgpr_count:     21
    .sgpr_spill_count: 0
    .symbol:         _ZN4vllm3moe17topkGatingSoftmaxIDF16_Li32ELi512ELi2ELi64ELb1ELi8ELNS0_23SharedExpertScoringFuncE1EEEvPKT_PKbPfiPiS9_iiiiii.kd
    .uniform_work_group_size: 1
    .uses_dynamic_stack: false
    .vgpr_count:     77
    .vgpr_spill_count: 0
    .wavefront_size: 32
    .workgroup_processor_mode: 1
  - .args:
      - .address_space:  global
        .offset:         0
        .size:           8
        .value_kind:     global_buffer
      - .address_space:  global
        .offset:         8
        .size:           8
        .value_kind:     global_buffer
      - .address_space:  global
        .offset:         16
        .size:           8
        .value_kind:     global_buffer
      - .offset:         24
        .size:           4
        .value_kind:     by_value
      - .address_space:  global
        .offset:         32
        .size:           8
        .value_kind:     global_buffer
      - .address_space:  global
        .offset:         40
        .size:           8
        .value_kind:     global_buffer
      - .offset:         48
        .size:           4
        .value_kind:     by_value
      - .offset:         52
        .size:           4
        .value_kind:     by_value
      - .offset:         56
        .size:           4
        .value_kind:     by_value
      - .offset:         60
        .size:           4
        .value_kind:     by_value
      - .offset:         64
        .size:           4
        .value_kind:     by_value
      - .offset:         68
        .size:           4
        .value_kind:     by_value
    .group_segment_fixed_size: 0
    .kernarg_segment_align: 8
    .kernarg_segment_size: 72
    .language:       OpenCL C
    .language_version:
      - 2
      - 0
    .max_flat_workgroup_size: 64
    .name:           _ZN4vllm3moe17topkGatingSoftmaxIDF16_Li32ELi512ELi2ELi64ELb0ELi8ELNS0_23SharedExpertScoringFuncE1EEEvPKT_PKbPfiPiS9_iiiiii
    .private_segment_fixed_size: 144
    .sgpr_count:     21
    .sgpr_spill_count: 0
    .symbol:         _ZN4vllm3moe17topkGatingSoftmaxIDF16_Li32ELi512ELi2ELi64ELb0ELi8ELNS0_23SharedExpertScoringFuncE1EEEvPKT_PKbPfiPiS9_iiiiii.kd
    .uniform_work_group_size: 1
    .uses_dynamic_stack: false
    .vgpr_count:     77
    .vgpr_spill_count: 0
    .wavefront_size: 32
    .workgroup_processor_mode: 1
  - .args:
      - .address_space:  global
        .offset:         0
        .size:           8
        .value_kind:     global_buffer
      - .address_space:  global
        .offset:         8
        .size:           8
        .value_kind:     global_buffer
      - .address_space:  global
        .offset:         16
        .size:           8
        .value_kind:     global_buffer
      - .offset:         24
        .size:           4
        .value_kind:     by_value
    .group_segment_fixed_size: 40
    .kernarg_segment_align: 8
    .kernarg_segment_size: 28
    .language:       OpenCL C
    .language_version:
      - 2
      - 0
    .max_flat_workgroup_size: 256
    .name:           _ZN4vllm3moe10moeSoftmaxIDF16_Li256EEEvPKT_PKbPfi
    .private_segment_fixed_size: 0
    .sgpr_count:     18
    .sgpr_spill_count: 0
    .symbol:         _ZN4vllm3moe10moeSoftmaxIDF16_Li256EEEvPKT_PKbPfi.kd
    .uniform_work_group_size: 1
    .uses_dynamic_stack: false
    .vgpr_count:     15
    .vgpr_spill_count: 0
    .wavefront_size: 32
    .workgroup_processor_mode: 1
  - .args:
      - .address_space:  global
        .offset:         0
        .size:           8
        .value_kind:     global_buffer
      - .address_space:  global
        .offset:         8
        .size:           8
        .value_kind:     global_buffer
      - .offset:         16
        .size:           4
        .value_kind:     by_value
      - .offset:         20
        .size:           4
        .value_kind:     by_value
      - .offset:         24
        .size:           4
        .value_kind:     by_value
      - .offset:         28
        .size:           4
        .value_kind:     by_value
      - .offset:         32
        .size:           4
        .value_kind:     by_value
    .group_segment_fixed_size: 0
    .kernarg_segment_align: 8
    .kernarg_segment_size: 36
    .language:       OpenCL C
    .language_version:
      - 2
      - 0
    .max_flat_workgroup_size: 256
    .name:           _ZN4vllm3moe24applySharedExpertSigmoidIDF16_Li256EEEvPKT_Pfiiiii
    .private_segment_fixed_size: 0
    .sgpr_count:     18
    .sgpr_spill_count: 0
    .symbol:         _ZN4vllm3moe24applySharedExpertSigmoidIDF16_Li256EEEvPKT_Pfiiiii.kd
    .uniform_work_group_size: 1
    .uses_dynamic_stack: false
    .vgpr_count:     9
    .vgpr_spill_count: 0
    .wavefront_size: 32
    .workgroup_processor_mode: 1
  - .args:
      - .address_space:  global
        .offset:         0
        .size:           8
        .value_kind:     global_buffer
      - .address_space:  global
        .offset:         8
        .size:           8
        .value_kind:     global_buffer
      - .address_space:  global
        .offset:         16
        .size:           8
        .value_kind:     global_buffer
      - .offset:         24
        .size:           4
        .value_kind:     by_value
      - .address_space:  global
        .offset:         32
        .size:           8
        .value_kind:     global_buffer
      - .address_space:  global
        .offset:         40
        .size:           8
        .value_kind:     global_buffer
      - .offset:         48
        .size:           4
        .value_kind:     by_value
      - .offset:         52
        .size:           4
        .value_kind:     by_value
      - .offset:         56
        .size:           4
        .value_kind:     by_value
      - .offset:         60
        .size:           4
        .value_kind:     by_value
      - .offset:         64
        .size:           4
        .value_kind:     by_value
      - .offset:         68
        .size:           4
        .value_kind:     by_value
    .group_segment_fixed_size: 0
    .kernarg_segment_align: 8
    .kernarg_segment_size: 72
    .language:       OpenCL C
    .language_version:
      - 2
      - 0
    .max_flat_workgroup_size: 256
    .name:           _ZN4vllm3moe17topkGatingSoftmaxItLi1ELi1ELi8ELi2ELb1ELi0ELNS0_23SharedExpertScoringFuncE0EEEvPKT_PKbPfiPiS9_iiiiii
    .private_segment_fixed_size: 0
    .sgpr_count:     20
    .sgpr_spill_count: 0
    .symbol:         _ZN4vllm3moe17topkGatingSoftmaxItLi1ELi1ELi8ELi2ELb1ELi0ELNS0_23SharedExpertScoringFuncE0EEEvPKT_PKbPfiPiS9_iiiiii.kd
    .uniform_work_group_size: 1
    .uses_dynamic_stack: false
    .vgpr_count:     16
    .vgpr_spill_count: 0
    .wavefront_size: 32
    .workgroup_processor_mode: 1
  - .args:
      - .address_space:  global
        .offset:         0
        .size:           8
        .value_kind:     global_buffer
      - .address_space:  global
        .offset:         8
        .size:           8
        .value_kind:     global_buffer
      - .address_space:  global
        .offset:         16
        .size:           8
        .value_kind:     global_buffer
      - .offset:         24
        .size:           4
        .value_kind:     by_value
      - .address_space:  global
        .offset:         32
        .size:           8
        .value_kind:     global_buffer
      - .address_space:  global
        .offset:         40
        .size:           8
        .value_kind:     global_buffer
      - .offset:         48
        .size:           4
        .value_kind:     by_value
      - .offset:         52
        .size:           4
        .value_kind:     by_value
      - .offset:         56
        .size:           4
        .value_kind:     by_value
      - .offset:         60
        .size:           4
        .value_kind:     by_value
      - .offset:         64
        .size:           4
        .value_kind:     by_value
      - .offset:         68
        .size:           4
        .value_kind:     by_value
    .group_segment_fixed_size: 0
    .kernarg_segment_align: 8
    .kernarg_segment_size: 72
    .language:       OpenCL C
    .language_version:
      - 2
      - 0
    .max_flat_workgroup_size: 256
    .name:           _ZN4vllm3moe17topkGatingSoftmaxItLi1ELi1ELi8ELi2ELb0ELi0ELNS0_23SharedExpertScoringFuncE0EEEvPKT_PKbPfiPiS9_iiiiii
    .private_segment_fixed_size: 0
    .sgpr_count:     18
    .sgpr_spill_count: 0
    .symbol:         _ZN4vllm3moe17topkGatingSoftmaxItLi1ELi1ELi8ELi2ELb0ELi0ELNS0_23SharedExpertScoringFuncE0EEEvPKT_PKbPfiPiS9_iiiiii.kd
    .uniform_work_group_size: 1
    .uses_dynamic_stack: false
    .vgpr_count:     17
    .vgpr_spill_count: 0
    .wavefront_size: 32
    .workgroup_processor_mode: 1
  - .args:
      - .address_space:  global
        .offset:         0
        .size:           8
        .value_kind:     global_buffer
      - .address_space:  global
        .offset:         8
        .size:           8
        .value_kind:     global_buffer
      - .address_space:  global
        .offset:         16
        .size:           8
        .value_kind:     global_buffer
      - .offset:         24
        .size:           4
        .value_kind:     by_value
      - .address_space:  global
        .offset:         32
        .size:           8
        .value_kind:     global_buffer
      - .address_space:  global
        .offset:         40
        .size:           8
        .value_kind:     global_buffer
      - .offset:         48
        .size:           4
        .value_kind:     by_value
      - .offset:         52
        .size:           4
        .value_kind:     by_value
      - .offset:         56
        .size:           4
        .value_kind:     by_value
      - .offset:         60
        .size:           4
        .value_kind:     by_value
      - .offset:         64
        .size:           4
        .value_kind:     by_value
      - .offset:         68
        .size:           4
        .value_kind:     by_value
    .group_segment_fixed_size: 0
    .kernarg_segment_align: 8
    .kernarg_segment_size: 72
    .language:       OpenCL C
    .language_version:
      - 2
      - 0
    .max_flat_workgroup_size: 256
    .name:           _ZN4vllm3moe17topkGatingSoftmaxItLi1ELi1ELi8ELi2ELb1ELi1ELNS0_23SharedExpertScoringFuncE1EEEvPKT_PKbPfiPiS9_iiiiii
    .private_segment_fixed_size: 0
    .sgpr_count:     18
    .sgpr_spill_count: 0
    .symbol:         _ZN4vllm3moe17topkGatingSoftmaxItLi1ELi1ELi8ELi2ELb1ELi1ELNS0_23SharedExpertScoringFuncE1EEEvPKT_PKbPfiPiS9_iiiiii.kd
    .uniform_work_group_size: 1
    .uses_dynamic_stack: false
    .vgpr_count:     17
    .vgpr_spill_count: 0
    .wavefront_size: 32
    .workgroup_processor_mode: 1
  - .args:
      - .address_space:  global
        .offset:         0
        .size:           8
        .value_kind:     global_buffer
      - .address_space:  global
        .offset:         8
        .size:           8
        .value_kind:     global_buffer
      - .address_space:  global
        .offset:         16
        .size:           8
        .value_kind:     global_buffer
      - .offset:         24
        .size:           4
        .value_kind:     by_value
      - .address_space:  global
        .offset:         32
        .size:           8
        .value_kind:     global_buffer
      - .address_space:  global
        .offset:         40
        .size:           8
        .value_kind:     global_buffer
      - .offset:         48
        .size:           4
        .value_kind:     by_value
      - .offset:         52
        .size:           4
        .value_kind:     by_value
      - .offset:         56
        .size:           4
        .value_kind:     by_value
      - .offset:         60
        .size:           4
        .value_kind:     by_value
      - .offset:         64
        .size:           4
        .value_kind:     by_value
      - .offset:         68
        .size:           4
        .value_kind:     by_value
    .group_segment_fixed_size: 0
    .kernarg_segment_align: 8
    .kernarg_segment_size: 72
    .language:       OpenCL C
    .language_version:
      - 2
      - 0
    .max_flat_workgroup_size: 256
    .name:           _ZN4vllm3moe17topkGatingSoftmaxItLi1ELi1ELi8ELi2ELb0ELi1ELNS0_23SharedExpertScoringFuncE1EEEvPKT_PKbPfiPiS9_iiiiii
    .private_segment_fixed_size: 0
    .sgpr_count:     18
    .sgpr_spill_count: 0
    .symbol:         _ZN4vllm3moe17topkGatingSoftmaxItLi1ELi1ELi8ELi2ELb0ELi1ELNS0_23SharedExpertScoringFuncE1EEEvPKT_PKbPfiPiS9_iiiiii.kd
    .uniform_work_group_size: 1
    .uses_dynamic_stack: false
    .vgpr_count:     17
    .vgpr_spill_count: 0
    .wavefront_size: 32
    .workgroup_processor_mode: 1
  - .args:
      - .address_space:  global
        .offset:         0
        .size:           8
        .value_kind:     global_buffer
      - .address_space:  global
        .offset:         8
        .size:           8
        .value_kind:     global_buffer
      - .address_space:  global
        .offset:         16
        .size:           8
        .value_kind:     global_buffer
      - .offset:         24
        .size:           4
        .value_kind:     by_value
      - .address_space:  global
        .offset:         32
        .size:           8
        .value_kind:     global_buffer
      - .address_space:  global
        .offset:         40
        .size:           8
        .value_kind:     global_buffer
      - .offset:         48
        .size:           4
        .value_kind:     by_value
      - .offset:         52
        .size:           4
        .value_kind:     by_value
      - .offset:         56
        .size:           4
        .value_kind:     by_value
      - .offset:         60
        .size:           4
        .value_kind:     by_value
      - .offset:         64
        .size:           4
        .value_kind:     by_value
      - .offset:         68
        .size:           4
        .value_kind:     by_value
    .group_segment_fixed_size: 0
    .kernarg_segment_align: 8
    .kernarg_segment_size: 72
    .language:       OpenCL C
    .language_version:
      - 2
      - 0
    .max_flat_workgroup_size: 256
    .name:           _ZN4vllm3moe17topkGatingSoftmaxItLi1ELi1ELi8ELi2ELb1ELi2ELNS0_23SharedExpertScoringFuncE1EEEvPKT_PKbPfiPiS9_iiiiii
    .private_segment_fixed_size: 0
    .sgpr_count:     18
    .sgpr_spill_count: 0
    .symbol:         _ZN4vllm3moe17topkGatingSoftmaxItLi1ELi1ELi8ELi2ELb1ELi2ELNS0_23SharedExpertScoringFuncE1EEEvPKT_PKbPfiPiS9_iiiiii.kd
    .uniform_work_group_size: 1
    .uses_dynamic_stack: false
    .vgpr_count:     18
    .vgpr_spill_count: 0
    .wavefront_size: 32
    .workgroup_processor_mode: 1
  - .args:
      - .address_space:  global
        .offset:         0
        .size:           8
        .value_kind:     global_buffer
      - .address_space:  global
        .offset:         8
        .size:           8
        .value_kind:     global_buffer
      - .address_space:  global
        .offset:         16
        .size:           8
        .value_kind:     global_buffer
      - .offset:         24
        .size:           4
        .value_kind:     by_value
      - .address_space:  global
        .offset:         32
        .size:           8
        .value_kind:     global_buffer
      - .address_space:  global
        .offset:         40
        .size:           8
        .value_kind:     global_buffer
      - .offset:         48
        .size:           4
        .value_kind:     by_value
      - .offset:         52
        .size:           4
        .value_kind:     by_value
      - .offset:         56
        .size:           4
        .value_kind:     by_value
      - .offset:         60
        .size:           4
        .value_kind:     by_value
      - .offset:         64
        .size:           4
        .value_kind:     by_value
      - .offset:         68
        .size:           4
        .value_kind:     by_value
    .group_segment_fixed_size: 0
    .kernarg_segment_align: 8
    .kernarg_segment_size: 72
    .language:       OpenCL C
    .language_version:
      - 2
      - 0
    .max_flat_workgroup_size: 256
    .name:           _ZN4vllm3moe17topkGatingSoftmaxItLi1ELi1ELi8ELi2ELb0ELi2ELNS0_23SharedExpertScoringFuncE1EEEvPKT_PKbPfiPiS9_iiiiii
    .private_segment_fixed_size: 0
    .sgpr_count:     18
    .sgpr_spill_count: 0
    .symbol:         _ZN4vllm3moe17topkGatingSoftmaxItLi1ELi1ELi8ELi2ELb0ELi2ELNS0_23SharedExpertScoringFuncE1EEEvPKT_PKbPfiPiS9_iiiiii.kd
    .uniform_work_group_size: 1
    .uses_dynamic_stack: false
    .vgpr_count:     19
    .vgpr_spill_count: 0
    .wavefront_size: 32
    .workgroup_processor_mode: 1
  - .args:
      - .address_space:  global
        .offset:         0
        .size:           8
        .value_kind:     global_buffer
      - .address_space:  global
        .offset:         8
        .size:           8
        .value_kind:     global_buffer
      - .address_space:  global
        .offset:         16
        .size:           8
        .value_kind:     global_buffer
      - .offset:         24
        .size:           4
        .value_kind:     by_value
      - .address_space:  global
        .offset:         32
        .size:           8
        .value_kind:     global_buffer
      - .address_space:  global
        .offset:         40
        .size:           8
        .value_kind:     global_buffer
      - .offset:         48
        .size:           4
        .value_kind:     by_value
      - .offset:         52
        .size:           4
        .value_kind:     by_value
      - .offset:         56
        .size:           4
        .value_kind:     by_value
      - .offset:         60
        .size:           4
        .value_kind:     by_value
      - .offset:         64
        .size:           4
        .value_kind:     by_value
      - .offset:         68
        .size:           4
        .value_kind:     by_value
    .group_segment_fixed_size: 0
    .kernarg_segment_align: 8
    .kernarg_segment_size: 72
    .language:       OpenCL C
    .language_version:
      - 2
      - 0
    .max_flat_workgroup_size: 256
    .name:           _ZN4vllm3moe17topkGatingSoftmaxItLi1ELi1ELi8ELi2ELb1ELi4ELNS0_23SharedExpertScoringFuncE1EEEvPKT_PKbPfiPiS9_iiiiii
    .private_segment_fixed_size: 0
    .sgpr_count:     19
    .sgpr_spill_count: 0
    .symbol:         _ZN4vllm3moe17topkGatingSoftmaxItLi1ELi1ELi8ELi2ELb1ELi4ELNS0_23SharedExpertScoringFuncE1EEEvPKT_PKbPfiPiS9_iiiiii.kd
    .uniform_work_group_size: 1
    .uses_dynamic_stack: false
    .vgpr_count:     31
    .vgpr_spill_count: 0
    .wavefront_size: 32
    .workgroup_processor_mode: 1
  - .args:
      - .address_space:  global
        .offset:         0
        .size:           8
        .value_kind:     global_buffer
      - .address_space:  global
        .offset:         8
        .size:           8
        .value_kind:     global_buffer
      - .address_space:  global
        .offset:         16
        .size:           8
        .value_kind:     global_buffer
      - .offset:         24
        .size:           4
        .value_kind:     by_value
      - .address_space:  global
        .offset:         32
        .size:           8
        .value_kind:     global_buffer
      - .address_space:  global
        .offset:         40
        .size:           8
        .value_kind:     global_buffer
      - .offset:         48
        .size:           4
        .value_kind:     by_value
      - .offset:         52
        .size:           4
        .value_kind:     by_value
      - .offset:         56
        .size:           4
        .value_kind:     by_value
      - .offset:         60
        .size:           4
        .value_kind:     by_value
      - .offset:         64
        .size:           4
        .value_kind:     by_value
      - .offset:         68
        .size:           4
        .value_kind:     by_value
    .group_segment_fixed_size: 0
    .kernarg_segment_align: 8
    .kernarg_segment_size: 72
    .language:       OpenCL C
    .language_version:
      - 2
      - 0
    .max_flat_workgroup_size: 256
    .name:           _ZN4vllm3moe17topkGatingSoftmaxItLi1ELi1ELi8ELi2ELb0ELi4ELNS0_23SharedExpertScoringFuncE1EEEvPKT_PKbPfiPiS9_iiiiii
    .private_segment_fixed_size: 0
    .sgpr_count:     19
    .sgpr_spill_count: 0
    .symbol:         _ZN4vllm3moe17topkGatingSoftmaxItLi1ELi1ELi8ELi2ELb0ELi4ELNS0_23SharedExpertScoringFuncE1EEEvPKT_PKbPfiPiS9_iiiiii.kd
    .uniform_work_group_size: 1
    .uses_dynamic_stack: false
    .vgpr_count:     33
    .vgpr_spill_count: 0
    .wavefront_size: 32
    .workgroup_processor_mode: 1
  - .args:
      - .address_space:  global
        .offset:         0
        .size:           8
        .value_kind:     global_buffer
      - .address_space:  global
        .offset:         8
        .size:           8
        .value_kind:     global_buffer
      - .address_space:  global
        .offset:         16
        .size:           8
        .value_kind:     global_buffer
      - .offset:         24
        .size:           4
        .value_kind:     by_value
      - .address_space:  global
        .offset:         32
        .size:           8
        .value_kind:     global_buffer
      - .address_space:  global
        .offset:         40
        .size:           8
        .value_kind:     global_buffer
      - .offset:         48
        .size:           4
        .value_kind:     by_value
      - .offset:         52
        .size:           4
        .value_kind:     by_value
      - .offset:         56
        .size:           4
        .value_kind:     by_value
      - .offset:         60
        .size:           4
        .value_kind:     by_value
      - .offset:         64
        .size:           4
        .value_kind:     by_value
      - .offset:         68
        .size:           4
        .value_kind:     by_value
    .group_segment_fixed_size: 0
    .kernarg_segment_align: 8
    .kernarg_segment_size: 72
    .language:       OpenCL C
    .language_version:
      - 2
      - 0
    .max_flat_workgroup_size: 256
    .name:           _ZN4vllm3moe17topkGatingSoftmaxItLi1ELi1ELi8ELi2ELb1ELi8ELNS0_23SharedExpertScoringFuncE1EEEvPKT_PKbPfiPiS9_iiiiii
    .private_segment_fixed_size: 0
    .sgpr_count:     22
    .sgpr_spill_count: 0
    .symbol:         _ZN4vllm3moe17topkGatingSoftmaxItLi1ELi1ELi8ELi2ELb1ELi8ELNS0_23SharedExpertScoringFuncE1EEEvPKT_PKbPfiPiS9_iiiiii.kd
    .uniform_work_group_size: 1
    .uses_dynamic_stack: false
    .vgpr_count:     55
    .vgpr_spill_count: 0
    .wavefront_size: 32
    .workgroup_processor_mode: 1
  - .args:
      - .address_space:  global
        .offset:         0
        .size:           8
        .value_kind:     global_buffer
      - .address_space:  global
        .offset:         8
        .size:           8
        .value_kind:     global_buffer
      - .address_space:  global
        .offset:         16
        .size:           8
        .value_kind:     global_buffer
      - .offset:         24
        .size:           4
        .value_kind:     by_value
      - .address_space:  global
        .offset:         32
        .size:           8
        .value_kind:     global_buffer
      - .address_space:  global
        .offset:         40
        .size:           8
        .value_kind:     global_buffer
      - .offset:         48
        .size:           4
        .value_kind:     by_value
      - .offset:         52
        .size:           4
        .value_kind:     by_value
      - .offset:         56
        .size:           4
        .value_kind:     by_value
      - .offset:         60
        .size:           4
        .value_kind:     by_value
      - .offset:         64
        .size:           4
        .value_kind:     by_value
      - .offset:         68
        .size:           4
        .value_kind:     by_value
    .group_segment_fixed_size: 0
    .kernarg_segment_align: 8
    .kernarg_segment_size: 72
    .language:       OpenCL C
    .language_version:
      - 2
      - 0
    .max_flat_workgroup_size: 256
    .name:           _ZN4vllm3moe17topkGatingSoftmaxItLi1ELi1ELi8ELi2ELb0ELi8ELNS0_23SharedExpertScoringFuncE1EEEvPKT_PKbPfiPiS9_iiiiii
    .private_segment_fixed_size: 0
    .sgpr_count:     22
    .sgpr_spill_count: 0
    .symbol:         _ZN4vllm3moe17topkGatingSoftmaxItLi1ELi1ELi8ELi2ELb0ELi8ELNS0_23SharedExpertScoringFuncE1EEEvPKT_PKbPfiPiS9_iiiiii.kd
    .uniform_work_group_size: 1
    .uses_dynamic_stack: false
    .vgpr_count:     55
    .vgpr_spill_count: 0
    .wavefront_size: 32
    .workgroup_processor_mode: 1
  - .args:
      - .address_space:  global
        .offset:         0
        .size:           8
        .value_kind:     global_buffer
      - .address_space:  global
        .offset:         8
        .size:           8
        .value_kind:     global_buffer
      - .address_space:  global
        .offset:         16
        .size:           8
        .value_kind:     global_buffer
      - .offset:         24
        .size:           4
        .value_kind:     by_value
      - .address_space:  global
        .offset:         32
        .size:           8
        .value_kind:     global_buffer
      - .address_space:  global
        .offset:         40
        .size:           8
        .value_kind:     global_buffer
      - .offset:         48
        .size:           4
        .value_kind:     by_value
      - .offset:         52
        .size:           4
        .value_kind:     by_value
      - .offset:         56
        .size:           4
        .value_kind:     by_value
      - .offset:         60
        .size:           4
        .value_kind:     by_value
      - .offset:         64
        .size:           4
        .value_kind:     by_value
      - .offset:         68
        .size:           4
        .value_kind:     by_value
    .group_segment_fixed_size: 0
    .kernarg_segment_align: 8
    .kernarg_segment_size: 72
    .language:       OpenCL C
    .language_version:
      - 2
      - 0
    .max_flat_workgroup_size: 256
    .name:           _ZN4vllm3moe17topkGatingSoftmaxItLi2ELi2ELi8ELi4ELb1ELi0ELNS0_23SharedExpertScoringFuncE0EEEvPKT_PKbPfiPiS9_iiiiii
    .private_segment_fixed_size: 0
    .sgpr_count:     24
    .sgpr_spill_count: 0
    .symbol:         _ZN4vllm3moe17topkGatingSoftmaxItLi2ELi2ELi8ELi4ELb1ELi0ELNS0_23SharedExpertScoringFuncE0EEEvPKT_PKbPfiPiS9_iiiiii.kd
    .uniform_work_group_size: 1
    .uses_dynamic_stack: false
    .vgpr_count:     19
    .vgpr_spill_count: 0
    .wavefront_size: 32
    .workgroup_processor_mode: 1
  - .args:
      - .address_space:  global
        .offset:         0
        .size:           8
        .value_kind:     global_buffer
      - .address_space:  global
        .offset:         8
        .size:           8
        .value_kind:     global_buffer
      - .address_space:  global
        .offset:         16
        .size:           8
        .value_kind:     global_buffer
      - .offset:         24
        .size:           4
        .value_kind:     by_value
      - .address_space:  global
        .offset:         32
        .size:           8
        .value_kind:     global_buffer
      - .address_space:  global
        .offset:         40
        .size:           8
        .value_kind:     global_buffer
      - .offset:         48
        .size:           4
        .value_kind:     by_value
      - .offset:         52
        .size:           4
        .value_kind:     by_value
      - .offset:         56
        .size:           4
        .value_kind:     by_value
      - .offset:         60
        .size:           4
        .value_kind:     by_value
      - .offset:         64
        .size:           4
        .value_kind:     by_value
      - .offset:         68
        .size:           4
        .value_kind:     by_value
    .group_segment_fixed_size: 0
    .kernarg_segment_align: 8
    .kernarg_segment_size: 72
    .language:       OpenCL C
    .language_version:
      - 2
      - 0
    .max_flat_workgroup_size: 256
    .name:           _ZN4vllm3moe17topkGatingSoftmaxItLi2ELi2ELi8ELi4ELb0ELi0ELNS0_23SharedExpertScoringFuncE0EEEvPKT_PKbPfiPiS9_iiiiii
    .private_segment_fixed_size: 0
    .sgpr_count:     19
    .sgpr_spill_count: 0
    .symbol:         _ZN4vllm3moe17topkGatingSoftmaxItLi2ELi2ELi8ELi4ELb0ELi0ELNS0_23SharedExpertScoringFuncE0EEEvPKT_PKbPfiPiS9_iiiiii.kd
    .uniform_work_group_size: 1
    .uses_dynamic_stack: false
    .vgpr_count:     20
    .vgpr_spill_count: 0
    .wavefront_size: 32
    .workgroup_processor_mode: 1
  - .args:
      - .address_space:  global
        .offset:         0
        .size:           8
        .value_kind:     global_buffer
      - .address_space:  global
        .offset:         8
        .size:           8
        .value_kind:     global_buffer
      - .address_space:  global
        .offset:         16
        .size:           8
        .value_kind:     global_buffer
      - .offset:         24
        .size:           4
        .value_kind:     by_value
      - .address_space:  global
        .offset:         32
        .size:           8
        .value_kind:     global_buffer
      - .address_space:  global
        .offset:         40
        .size:           8
        .value_kind:     global_buffer
      - .offset:         48
        .size:           4
        .value_kind:     by_value
      - .offset:         52
        .size:           4
        .value_kind:     by_value
      - .offset:         56
        .size:           4
        .value_kind:     by_value
      - .offset:         60
        .size:           4
        .value_kind:     by_value
      - .offset:         64
        .size:           4
        .value_kind:     by_value
      - .offset:         68
        .size:           4
        .value_kind:     by_value
    .group_segment_fixed_size: 0
    .kernarg_segment_align: 8
    .kernarg_segment_size: 72
    .language:       OpenCL C
    .language_version:
      - 2
      - 0
    .max_flat_workgroup_size: 256
    .name:           _ZN4vllm3moe17topkGatingSoftmaxItLi2ELi2ELi8ELi4ELb1ELi1ELNS0_23SharedExpertScoringFuncE1EEEvPKT_PKbPfiPiS9_iiiiii
    .private_segment_fixed_size: 0
    .sgpr_count:     18
    .sgpr_spill_count: 0
    .symbol:         _ZN4vllm3moe17topkGatingSoftmaxItLi2ELi2ELi8ELi4ELb1ELi1ELNS0_23SharedExpertScoringFuncE1EEEvPKT_PKbPfiPiS9_iiiiii.kd
    .uniform_work_group_size: 1
    .uses_dynamic_stack: false
    .vgpr_count:     20
    .vgpr_spill_count: 0
    .wavefront_size: 32
    .workgroup_processor_mode: 1
  - .args:
      - .address_space:  global
        .offset:         0
        .size:           8
        .value_kind:     global_buffer
      - .address_space:  global
        .offset:         8
        .size:           8
        .value_kind:     global_buffer
      - .address_space:  global
        .offset:         16
        .size:           8
        .value_kind:     global_buffer
      - .offset:         24
        .size:           4
        .value_kind:     by_value
      - .address_space:  global
        .offset:         32
        .size:           8
        .value_kind:     global_buffer
      - .address_space:  global
        .offset:         40
        .size:           8
        .value_kind:     global_buffer
      - .offset:         48
        .size:           4
        .value_kind:     by_value
      - .offset:         52
        .size:           4
        .value_kind:     by_value
      - .offset:         56
        .size:           4
        .value_kind:     by_value
      - .offset:         60
        .size:           4
        .value_kind:     by_value
      - .offset:         64
        .size:           4
        .value_kind:     by_value
      - .offset:         68
        .size:           4
        .value_kind:     by_value
    .group_segment_fixed_size: 0
    .kernarg_segment_align: 8
    .kernarg_segment_size: 72
    .language:       OpenCL C
    .language_version:
      - 2
      - 0
    .max_flat_workgroup_size: 256
    .name:           _ZN4vllm3moe17topkGatingSoftmaxItLi2ELi2ELi8ELi4ELb0ELi1ELNS0_23SharedExpertScoringFuncE1EEEvPKT_PKbPfiPiS9_iiiiii
    .private_segment_fixed_size: 0
    .sgpr_count:     19
    .sgpr_spill_count: 0
    .symbol:         _ZN4vllm3moe17topkGatingSoftmaxItLi2ELi2ELi8ELi4ELb0ELi1ELNS0_23SharedExpertScoringFuncE1EEEvPKT_PKbPfiPiS9_iiiiii.kd
    .uniform_work_group_size: 1
    .uses_dynamic_stack: false
    .vgpr_count:     21
    .vgpr_spill_count: 0
    .wavefront_size: 32
    .workgroup_processor_mode: 1
  - .args:
      - .address_space:  global
        .offset:         0
        .size:           8
        .value_kind:     global_buffer
      - .address_space:  global
        .offset:         8
        .size:           8
        .value_kind:     global_buffer
      - .address_space:  global
        .offset:         16
        .size:           8
        .value_kind:     global_buffer
      - .offset:         24
        .size:           4
        .value_kind:     by_value
      - .address_space:  global
        .offset:         32
        .size:           8
        .value_kind:     global_buffer
      - .address_space:  global
        .offset:         40
        .size:           8
        .value_kind:     global_buffer
      - .offset:         48
        .size:           4
        .value_kind:     by_value
      - .offset:         52
        .size:           4
        .value_kind:     by_value
      - .offset:         56
        .size:           4
        .value_kind:     by_value
      - .offset:         60
        .size:           4
        .value_kind:     by_value
      - .offset:         64
        .size:           4
        .value_kind:     by_value
      - .offset:         68
        .size:           4
        .value_kind:     by_value
    .group_segment_fixed_size: 0
    .kernarg_segment_align: 8
    .kernarg_segment_size: 72
    .language:       OpenCL C
    .language_version:
      - 2
      - 0
    .max_flat_workgroup_size: 256
    .name:           _ZN4vllm3moe17topkGatingSoftmaxItLi2ELi2ELi8ELi4ELb1ELi2ELNS0_23SharedExpertScoringFuncE1EEEvPKT_PKbPfiPiS9_iiiiii
    .private_segment_fixed_size: 0
    .sgpr_count:     18
    .sgpr_spill_count: 0
    .symbol:         _ZN4vllm3moe17topkGatingSoftmaxItLi2ELi2ELi8ELi4ELb1ELi2ELNS0_23SharedExpertScoringFuncE1EEEvPKT_PKbPfiPiS9_iiiiii.kd
    .uniform_work_group_size: 1
    .uses_dynamic_stack: false
    .vgpr_count:     20
    .vgpr_spill_count: 0
    .wavefront_size: 32
    .workgroup_processor_mode: 1
  - .args:
      - .address_space:  global
        .offset:         0
        .size:           8
        .value_kind:     global_buffer
      - .address_space:  global
        .offset:         8
        .size:           8
        .value_kind:     global_buffer
      - .address_space:  global
        .offset:         16
        .size:           8
        .value_kind:     global_buffer
      - .offset:         24
        .size:           4
        .value_kind:     by_value
      - .address_space:  global
        .offset:         32
        .size:           8
        .value_kind:     global_buffer
      - .address_space:  global
        .offset:         40
        .size:           8
        .value_kind:     global_buffer
      - .offset:         48
        .size:           4
        .value_kind:     by_value
      - .offset:         52
        .size:           4
        .value_kind:     by_value
      - .offset:         56
        .size:           4
        .value_kind:     by_value
      - .offset:         60
        .size:           4
        .value_kind:     by_value
      - .offset:         64
        .size:           4
        .value_kind:     by_value
      - .offset:         68
        .size:           4
        .value_kind:     by_value
    .group_segment_fixed_size: 0
    .kernarg_segment_align: 8
    .kernarg_segment_size: 72
    .language:       OpenCL C
    .language_version:
      - 2
      - 0
    .max_flat_workgroup_size: 256
    .name:           _ZN4vllm3moe17topkGatingSoftmaxItLi2ELi2ELi8ELi4ELb0ELi2ELNS0_23SharedExpertScoringFuncE1EEEvPKT_PKbPfiPiS9_iiiiii
    .private_segment_fixed_size: 0
    .sgpr_count:     20
    .sgpr_spill_count: 0
    .symbol:         _ZN4vllm3moe17topkGatingSoftmaxItLi2ELi2ELi8ELi4ELb0ELi2ELNS0_23SharedExpertScoringFuncE1EEEvPKT_PKbPfiPiS9_iiiiii.kd
    .uniform_work_group_size: 1
    .uses_dynamic_stack: false
    .vgpr_count:     21
    .vgpr_spill_count: 0
    .wavefront_size: 32
    .workgroup_processor_mode: 1
  - .args:
      - .address_space:  global
        .offset:         0
        .size:           8
        .value_kind:     global_buffer
      - .address_space:  global
        .offset:         8
        .size:           8
        .value_kind:     global_buffer
      - .address_space:  global
        .offset:         16
        .size:           8
        .value_kind:     global_buffer
      - .offset:         24
        .size:           4
        .value_kind:     by_value
      - .address_space:  global
        .offset:         32
        .size:           8
        .value_kind:     global_buffer
      - .address_space:  global
        .offset:         40
        .size:           8
        .value_kind:     global_buffer
      - .offset:         48
        .size:           4
        .value_kind:     by_value
      - .offset:         52
        .size:           4
        .value_kind:     by_value
      - .offset:         56
        .size:           4
        .value_kind:     by_value
      - .offset:         60
        .size:           4
        .value_kind:     by_value
      - .offset:         64
        .size:           4
        .value_kind:     by_value
      - .offset:         68
        .size:           4
        .value_kind:     by_value
    .group_segment_fixed_size: 0
    .kernarg_segment_align: 8
    .kernarg_segment_size: 72
    .language:       OpenCL C
    .language_version:
      - 2
      - 0
    .max_flat_workgroup_size: 256
    .name:           _ZN4vllm3moe17topkGatingSoftmaxItLi2ELi2ELi8ELi4ELb1ELi4ELNS0_23SharedExpertScoringFuncE1EEEvPKT_PKbPfiPiS9_iiiiii
    .private_segment_fixed_size: 0
    .sgpr_count:     19
    .sgpr_spill_count: 0
    .symbol:         _ZN4vllm3moe17topkGatingSoftmaxItLi2ELi2ELi8ELi4ELb1ELi4ELNS0_23SharedExpertScoringFuncE1EEEvPKT_PKbPfiPiS9_iiiiii.kd
    .uniform_work_group_size: 1
    .uses_dynamic_stack: false
    .vgpr_count:     31
    .vgpr_spill_count: 0
    .wavefront_size: 32
    .workgroup_processor_mode: 1
  - .args:
      - .address_space:  global
        .offset:         0
        .size:           8
        .value_kind:     global_buffer
      - .address_space:  global
        .offset:         8
        .size:           8
        .value_kind:     global_buffer
      - .address_space:  global
        .offset:         16
        .size:           8
        .value_kind:     global_buffer
      - .offset:         24
        .size:           4
        .value_kind:     by_value
      - .address_space:  global
        .offset:         32
        .size:           8
        .value_kind:     global_buffer
      - .address_space:  global
        .offset:         40
        .size:           8
        .value_kind:     global_buffer
      - .offset:         48
        .size:           4
        .value_kind:     by_value
      - .offset:         52
        .size:           4
        .value_kind:     by_value
      - .offset:         56
        .size:           4
        .value_kind:     by_value
      - .offset:         60
        .size:           4
        .value_kind:     by_value
      - .offset:         64
        .size:           4
        .value_kind:     by_value
      - .offset:         68
        .size:           4
        .value_kind:     by_value
    .group_segment_fixed_size: 0
    .kernarg_segment_align: 8
    .kernarg_segment_size: 72
    .language:       OpenCL C
    .language_version:
      - 2
      - 0
    .max_flat_workgroup_size: 256
    .name:           _ZN4vllm3moe17topkGatingSoftmaxItLi2ELi2ELi8ELi4ELb0ELi4ELNS0_23SharedExpertScoringFuncE1EEEvPKT_PKbPfiPiS9_iiiiii
    .private_segment_fixed_size: 0
    .sgpr_count:     21
    .sgpr_spill_count: 0
    .symbol:         _ZN4vllm3moe17topkGatingSoftmaxItLi2ELi2ELi8ELi4ELb0ELi4ELNS0_23SharedExpertScoringFuncE1EEEvPKT_PKbPfiPiS9_iiiiii.kd
    .uniform_work_group_size: 1
    .uses_dynamic_stack: false
    .vgpr_count:     32
    .vgpr_spill_count: 0
    .wavefront_size: 32
    .workgroup_processor_mode: 1
  - .args:
      - .address_space:  global
        .offset:         0
        .size:           8
        .value_kind:     global_buffer
      - .address_space:  global
        .offset:         8
        .size:           8
        .value_kind:     global_buffer
      - .address_space:  global
        .offset:         16
        .size:           8
        .value_kind:     global_buffer
      - .offset:         24
        .size:           4
        .value_kind:     by_value
      - .address_space:  global
        .offset:         32
        .size:           8
        .value_kind:     global_buffer
      - .address_space:  global
        .offset:         40
        .size:           8
        .value_kind:     global_buffer
      - .offset:         48
        .size:           4
        .value_kind:     by_value
      - .offset:         52
        .size:           4
        .value_kind:     by_value
      - .offset:         56
        .size:           4
        .value_kind:     by_value
      - .offset:         60
        .size:           4
        .value_kind:     by_value
      - .offset:         64
        .size:           4
        .value_kind:     by_value
      - .offset:         68
        .size:           4
        .value_kind:     by_value
    .group_segment_fixed_size: 0
    .kernarg_segment_align: 8
    .kernarg_segment_size: 72
    .language:       OpenCL C
    .language_version:
      - 2
      - 0
    .max_flat_workgroup_size: 256
    .name:           _ZN4vllm3moe17topkGatingSoftmaxItLi2ELi2ELi8ELi4ELb1ELi8ELNS0_23SharedExpertScoringFuncE1EEEvPKT_PKbPfiPiS9_iiiiii
    .private_segment_fixed_size: 0
    .sgpr_count:     22
    .sgpr_spill_count: 0
    .symbol:         _ZN4vllm3moe17topkGatingSoftmaxItLi2ELi2ELi8ELi4ELb1ELi8ELNS0_23SharedExpertScoringFuncE1EEEvPKT_PKbPfiPiS9_iiiiii.kd
    .uniform_work_group_size: 1
    .uses_dynamic_stack: false
    .vgpr_count:     55
    .vgpr_spill_count: 0
    .wavefront_size: 32
    .workgroup_processor_mode: 1
  - .args:
      - .address_space:  global
        .offset:         0
        .size:           8
        .value_kind:     global_buffer
      - .address_space:  global
        .offset:         8
        .size:           8
        .value_kind:     global_buffer
      - .address_space:  global
        .offset:         16
        .size:           8
        .value_kind:     global_buffer
      - .offset:         24
        .size:           4
        .value_kind:     by_value
      - .address_space:  global
        .offset:         32
        .size:           8
        .value_kind:     global_buffer
      - .address_space:  global
        .offset:         40
        .size:           8
        .value_kind:     global_buffer
      - .offset:         48
        .size:           4
        .value_kind:     by_value
      - .offset:         52
        .size:           4
        .value_kind:     by_value
      - .offset:         56
        .size:           4
        .value_kind:     by_value
      - .offset:         60
        .size:           4
        .value_kind:     by_value
      - .offset:         64
        .size:           4
        .value_kind:     by_value
      - .offset:         68
        .size:           4
        .value_kind:     by_value
    .group_segment_fixed_size: 0
    .kernarg_segment_align: 8
    .kernarg_segment_size: 72
    .language:       OpenCL C
    .language_version:
      - 2
      - 0
    .max_flat_workgroup_size: 256
    .name:           _ZN4vllm3moe17topkGatingSoftmaxItLi2ELi2ELi8ELi4ELb0ELi8ELNS0_23SharedExpertScoringFuncE1EEEvPKT_PKbPfiPiS9_iiiiii
    .private_segment_fixed_size: 0
    .sgpr_count:     23
    .sgpr_spill_count: 0
    .symbol:         _ZN4vllm3moe17topkGatingSoftmaxItLi2ELi2ELi8ELi4ELb0ELi8ELNS0_23SharedExpertScoringFuncE1EEEvPKT_PKbPfiPiS9_iiiiii.kd
    .uniform_work_group_size: 1
    .uses_dynamic_stack: false
    .vgpr_count:     57
    .vgpr_spill_count: 0
    .wavefront_size: 32
    .workgroup_processor_mode: 1
  - .args:
      - .address_space:  global
        .offset:         0
        .size:           8
        .value_kind:     global_buffer
      - .address_space:  global
        .offset:         8
        .size:           8
        .value_kind:     global_buffer
      - .address_space:  global
        .offset:         16
        .size:           8
        .value_kind:     global_buffer
      - .offset:         24
        .size:           4
        .value_kind:     by_value
      - .address_space:  global
        .offset:         32
        .size:           8
        .value_kind:     global_buffer
      - .address_space:  global
        .offset:         40
        .size:           8
        .value_kind:     global_buffer
      - .offset:         48
        .size:           4
        .value_kind:     by_value
      - .offset:         52
        .size:           4
        .value_kind:     by_value
      - .offset:         56
        .size:           4
        .value_kind:     by_value
      - .offset:         60
        .size:           4
        .value_kind:     by_value
      - .offset:         64
        .size:           4
        .value_kind:     by_value
      - .offset:         68
        .size:           4
        .value_kind:     by_value
    .group_segment_fixed_size: 0
    .kernarg_segment_align: 8
    .kernarg_segment_size: 72
    .language:       OpenCL C
    .language_version:
      - 2
      - 0
    .max_flat_workgroup_size: 256
    .name:           _ZN4vllm3moe17topkGatingSoftmaxItLi4ELi4ELi8ELi8ELb1ELi0ELNS0_23SharedExpertScoringFuncE0EEEvPKT_PKbPfiPiS9_iiiiii
    .private_segment_fixed_size: 0
    .sgpr_count:     22
    .sgpr_spill_count: 0
    .symbol:         _ZN4vllm3moe17topkGatingSoftmaxItLi4ELi4ELi8ELi8ELb1ELi0ELNS0_23SharedExpertScoringFuncE0EEEvPKT_PKbPfiPiS9_iiiiii.kd
    .uniform_work_group_size: 1
    .uses_dynamic_stack: false
    .vgpr_count:     21
    .vgpr_spill_count: 0
    .wavefront_size: 32
    .workgroup_processor_mode: 1
  - .args:
      - .address_space:  global
        .offset:         0
        .size:           8
        .value_kind:     global_buffer
      - .address_space:  global
        .offset:         8
        .size:           8
        .value_kind:     global_buffer
      - .address_space:  global
        .offset:         16
        .size:           8
        .value_kind:     global_buffer
      - .offset:         24
        .size:           4
        .value_kind:     by_value
      - .address_space:  global
        .offset:         32
        .size:           8
        .value_kind:     global_buffer
      - .address_space:  global
        .offset:         40
        .size:           8
        .value_kind:     global_buffer
      - .offset:         48
        .size:           4
        .value_kind:     by_value
      - .offset:         52
        .size:           4
        .value_kind:     by_value
      - .offset:         56
        .size:           4
        .value_kind:     by_value
      - .offset:         60
        .size:           4
        .value_kind:     by_value
      - .offset:         64
        .size:           4
        .value_kind:     by_value
      - .offset:         68
        .size:           4
        .value_kind:     by_value
    .group_segment_fixed_size: 0
    .kernarg_segment_align: 8
    .kernarg_segment_size: 72
    .language:       OpenCL C
    .language_version:
      - 2
      - 0
    .max_flat_workgroup_size: 256
    .name:           _ZN4vllm3moe17topkGatingSoftmaxItLi4ELi4ELi8ELi8ELb0ELi0ELNS0_23SharedExpertScoringFuncE0EEEvPKT_PKbPfiPiS9_iiiiii
    .private_segment_fixed_size: 0
    .sgpr_count:     20
    .sgpr_spill_count: 0
    .symbol:         _ZN4vllm3moe17topkGatingSoftmaxItLi4ELi4ELi8ELi8ELb0ELi0ELNS0_23SharedExpertScoringFuncE0EEEvPKT_PKbPfiPiS9_iiiiii.kd
    .uniform_work_group_size: 1
    .uses_dynamic_stack: false
    .vgpr_count:     22
    .vgpr_spill_count: 0
    .wavefront_size: 32
    .workgroup_processor_mode: 1
  - .args:
      - .address_space:  global
        .offset:         0
        .size:           8
        .value_kind:     global_buffer
      - .address_space:  global
        .offset:         8
        .size:           8
        .value_kind:     global_buffer
      - .address_space:  global
        .offset:         16
        .size:           8
        .value_kind:     global_buffer
      - .offset:         24
        .size:           4
        .value_kind:     by_value
      - .address_space:  global
        .offset:         32
        .size:           8
        .value_kind:     global_buffer
      - .address_space:  global
        .offset:         40
        .size:           8
        .value_kind:     global_buffer
      - .offset:         48
        .size:           4
        .value_kind:     by_value
      - .offset:         52
        .size:           4
        .value_kind:     by_value
      - .offset:         56
        .size:           4
        .value_kind:     by_value
      - .offset:         60
        .size:           4
        .value_kind:     by_value
      - .offset:         64
        .size:           4
        .value_kind:     by_value
      - .offset:         68
        .size:           4
        .value_kind:     by_value
    .group_segment_fixed_size: 0
    .kernarg_segment_align: 8
    .kernarg_segment_size: 72
    .language:       OpenCL C
    .language_version:
      - 2
      - 0
    .max_flat_workgroup_size: 256
    .name:           _ZN4vllm3moe17topkGatingSoftmaxItLi4ELi4ELi8ELi8ELb1ELi1ELNS0_23SharedExpertScoringFuncE1EEEvPKT_PKbPfiPiS9_iiiiii
    .private_segment_fixed_size: 0
    .sgpr_count:     18
    .sgpr_spill_count: 0
    .symbol:         _ZN4vllm3moe17topkGatingSoftmaxItLi4ELi4ELi8ELi8ELb1ELi1ELNS0_23SharedExpertScoringFuncE1EEEvPKT_PKbPfiPiS9_iiiiii.kd
    .uniform_work_group_size: 1
    .uses_dynamic_stack: false
    .vgpr_count:     22
    .vgpr_spill_count: 0
    .wavefront_size: 32
    .workgroup_processor_mode: 1
  - .args:
      - .address_space:  global
        .offset:         0
        .size:           8
        .value_kind:     global_buffer
      - .address_space:  global
        .offset:         8
        .size:           8
        .value_kind:     global_buffer
      - .address_space:  global
        .offset:         16
        .size:           8
        .value_kind:     global_buffer
      - .offset:         24
        .size:           4
        .value_kind:     by_value
      - .address_space:  global
        .offset:         32
        .size:           8
        .value_kind:     global_buffer
      - .address_space:  global
        .offset:         40
        .size:           8
        .value_kind:     global_buffer
      - .offset:         48
        .size:           4
        .value_kind:     by_value
      - .offset:         52
        .size:           4
        .value_kind:     by_value
      - .offset:         56
        .size:           4
        .value_kind:     by_value
      - .offset:         60
        .size:           4
        .value_kind:     by_value
      - .offset:         64
        .size:           4
        .value_kind:     by_value
      - .offset:         68
        .size:           4
        .value_kind:     by_value
    .group_segment_fixed_size: 0
    .kernarg_segment_align: 8
    .kernarg_segment_size: 72
    .language:       OpenCL C
    .language_version:
      - 2
      - 0
    .max_flat_workgroup_size: 256
    .name:           _ZN4vllm3moe17topkGatingSoftmaxItLi4ELi4ELi8ELi8ELb0ELi1ELNS0_23SharedExpertScoringFuncE1EEEvPKT_PKbPfiPiS9_iiiiii
    .private_segment_fixed_size: 0
    .sgpr_count:     19
    .sgpr_spill_count: 0
    .symbol:         _ZN4vllm3moe17topkGatingSoftmaxItLi4ELi4ELi8ELi8ELb0ELi1ELNS0_23SharedExpertScoringFuncE1EEEvPKT_PKbPfiPiS9_iiiiii.kd
    .uniform_work_group_size: 1
    .uses_dynamic_stack: false
    .vgpr_count:     23
    .vgpr_spill_count: 0
    .wavefront_size: 32
    .workgroup_processor_mode: 1
  - .args:
      - .address_space:  global
        .offset:         0
        .size:           8
        .value_kind:     global_buffer
      - .address_space:  global
        .offset:         8
        .size:           8
        .value_kind:     global_buffer
      - .address_space:  global
        .offset:         16
        .size:           8
        .value_kind:     global_buffer
      - .offset:         24
        .size:           4
        .value_kind:     by_value
      - .address_space:  global
        .offset:         32
        .size:           8
        .value_kind:     global_buffer
      - .address_space:  global
        .offset:         40
        .size:           8
        .value_kind:     global_buffer
      - .offset:         48
        .size:           4
        .value_kind:     by_value
      - .offset:         52
        .size:           4
        .value_kind:     by_value
      - .offset:         56
        .size:           4
        .value_kind:     by_value
      - .offset:         60
        .size:           4
        .value_kind:     by_value
      - .offset:         64
        .size:           4
        .value_kind:     by_value
      - .offset:         68
        .size:           4
        .value_kind:     by_value
    .group_segment_fixed_size: 0
    .kernarg_segment_align: 8
    .kernarg_segment_size: 72
    .language:       OpenCL C
    .language_version:
      - 2
      - 0
    .max_flat_workgroup_size: 256
    .name:           _ZN4vllm3moe17topkGatingSoftmaxItLi4ELi4ELi8ELi8ELb1ELi2ELNS0_23SharedExpertScoringFuncE1EEEvPKT_PKbPfiPiS9_iiiiii
    .private_segment_fixed_size: 0
    .sgpr_count:     18
    .sgpr_spill_count: 0
    .symbol:         _ZN4vllm3moe17topkGatingSoftmaxItLi4ELi4ELi8ELi8ELb1ELi2ELNS0_23SharedExpertScoringFuncE1EEEvPKT_PKbPfiPiS9_iiiiii.kd
    .uniform_work_group_size: 1
    .uses_dynamic_stack: false
    .vgpr_count:     22
    .vgpr_spill_count: 0
    .wavefront_size: 32
    .workgroup_processor_mode: 1
  - .args:
      - .address_space:  global
        .offset:         0
        .size:           8
        .value_kind:     global_buffer
      - .address_space:  global
        .offset:         8
        .size:           8
        .value_kind:     global_buffer
      - .address_space:  global
        .offset:         16
        .size:           8
        .value_kind:     global_buffer
      - .offset:         24
        .size:           4
        .value_kind:     by_value
      - .address_space:  global
        .offset:         32
        .size:           8
        .value_kind:     global_buffer
      - .address_space:  global
        .offset:         40
        .size:           8
        .value_kind:     global_buffer
      - .offset:         48
        .size:           4
        .value_kind:     by_value
      - .offset:         52
        .size:           4
        .value_kind:     by_value
      - .offset:         56
        .size:           4
        .value_kind:     by_value
      - .offset:         60
        .size:           4
        .value_kind:     by_value
      - .offset:         64
        .size:           4
        .value_kind:     by_value
      - .offset:         68
        .size:           4
        .value_kind:     by_value
    .group_segment_fixed_size: 0
    .kernarg_segment_align: 8
    .kernarg_segment_size: 72
    .language:       OpenCL C
    .language_version:
      - 2
      - 0
    .max_flat_workgroup_size: 256
    .name:           _ZN4vllm3moe17topkGatingSoftmaxItLi4ELi4ELi8ELi8ELb0ELi2ELNS0_23SharedExpertScoringFuncE1EEEvPKT_PKbPfiPiS9_iiiiii
    .private_segment_fixed_size: 0
    .sgpr_count:     19
    .sgpr_spill_count: 0
    .symbol:         _ZN4vllm3moe17topkGatingSoftmaxItLi4ELi4ELi8ELi8ELb0ELi2ELNS0_23SharedExpertScoringFuncE1EEEvPKT_PKbPfiPiS9_iiiiii.kd
    .uniform_work_group_size: 1
    .uses_dynamic_stack: false
    .vgpr_count:     25
    .vgpr_spill_count: 0
    .wavefront_size: 32
    .workgroup_processor_mode: 1
  - .args:
      - .address_space:  global
        .offset:         0
        .size:           8
        .value_kind:     global_buffer
      - .address_space:  global
        .offset:         8
        .size:           8
        .value_kind:     global_buffer
      - .address_space:  global
        .offset:         16
        .size:           8
        .value_kind:     global_buffer
      - .offset:         24
        .size:           4
        .value_kind:     by_value
      - .address_space:  global
        .offset:         32
        .size:           8
        .value_kind:     global_buffer
      - .address_space:  global
        .offset:         40
        .size:           8
        .value_kind:     global_buffer
      - .offset:         48
        .size:           4
        .value_kind:     by_value
      - .offset:         52
        .size:           4
        .value_kind:     by_value
      - .offset:         56
        .size:           4
        .value_kind:     by_value
      - .offset:         60
        .size:           4
        .value_kind:     by_value
      - .offset:         64
        .size:           4
        .value_kind:     by_value
      - .offset:         68
        .size:           4
        .value_kind:     by_value
    .group_segment_fixed_size: 0
    .kernarg_segment_align: 8
    .kernarg_segment_size: 72
    .language:       OpenCL C
    .language_version:
      - 2
      - 0
    .max_flat_workgroup_size: 256
    .name:           _ZN4vllm3moe17topkGatingSoftmaxItLi4ELi4ELi8ELi8ELb1ELi4ELNS0_23SharedExpertScoringFuncE1EEEvPKT_PKbPfiPiS9_iiiiii
    .private_segment_fixed_size: 0
    .sgpr_count:     19
    .sgpr_spill_count: 0
    .symbol:         _ZN4vllm3moe17topkGatingSoftmaxItLi4ELi4ELi8ELi8ELb1ELi4ELNS0_23SharedExpertScoringFuncE1EEEvPKT_PKbPfiPiS9_iiiiii.kd
    .uniform_work_group_size: 1
    .uses_dynamic_stack: false
    .vgpr_count:     32
    .vgpr_spill_count: 0
    .wavefront_size: 32
    .workgroup_processor_mode: 1
  - .args:
      - .address_space:  global
        .offset:         0
        .size:           8
        .value_kind:     global_buffer
      - .address_space:  global
        .offset:         8
        .size:           8
        .value_kind:     global_buffer
      - .address_space:  global
        .offset:         16
        .size:           8
        .value_kind:     global_buffer
      - .offset:         24
        .size:           4
        .value_kind:     by_value
      - .address_space:  global
        .offset:         32
        .size:           8
        .value_kind:     global_buffer
      - .address_space:  global
        .offset:         40
        .size:           8
        .value_kind:     global_buffer
      - .offset:         48
        .size:           4
        .value_kind:     by_value
      - .offset:         52
        .size:           4
        .value_kind:     by_value
      - .offset:         56
        .size:           4
        .value_kind:     by_value
      - .offset:         60
        .size:           4
        .value_kind:     by_value
      - .offset:         64
        .size:           4
        .value_kind:     by_value
      - .offset:         68
        .size:           4
        .value_kind:     by_value
    .group_segment_fixed_size: 0
    .kernarg_segment_align: 8
    .kernarg_segment_size: 72
    .language:       OpenCL C
    .language_version:
      - 2
      - 0
    .max_flat_workgroup_size: 256
    .name:           _ZN4vllm3moe17topkGatingSoftmaxItLi4ELi4ELi8ELi8ELb0ELi4ELNS0_23SharedExpertScoringFuncE1EEEvPKT_PKbPfiPiS9_iiiiii
    .private_segment_fixed_size: 0
    .sgpr_count:     21
    .sgpr_spill_count: 0
    .symbol:         _ZN4vllm3moe17topkGatingSoftmaxItLi4ELi4ELi8ELi8ELb0ELi4ELNS0_23SharedExpertScoringFuncE1EEEvPKT_PKbPfiPiS9_iiiiii.kd
    .uniform_work_group_size: 1
    .uses_dynamic_stack: false
    .vgpr_count:     35
    .vgpr_spill_count: 0
    .wavefront_size: 32
    .workgroup_processor_mode: 1
  - .args:
      - .address_space:  global
        .offset:         0
        .size:           8
        .value_kind:     global_buffer
      - .address_space:  global
        .offset:         8
        .size:           8
        .value_kind:     global_buffer
      - .address_space:  global
        .offset:         16
        .size:           8
        .value_kind:     global_buffer
      - .offset:         24
        .size:           4
        .value_kind:     by_value
      - .address_space:  global
        .offset:         32
        .size:           8
        .value_kind:     global_buffer
      - .address_space:  global
        .offset:         40
        .size:           8
        .value_kind:     global_buffer
      - .offset:         48
        .size:           4
        .value_kind:     by_value
      - .offset:         52
        .size:           4
        .value_kind:     by_value
      - .offset:         56
        .size:           4
        .value_kind:     by_value
      - .offset:         60
        .size:           4
        .value_kind:     by_value
      - .offset:         64
        .size:           4
        .value_kind:     by_value
      - .offset:         68
        .size:           4
        .value_kind:     by_value
    .group_segment_fixed_size: 0
    .kernarg_segment_align: 8
    .kernarg_segment_size: 72
    .language:       OpenCL C
    .language_version:
      - 2
      - 0
    .max_flat_workgroup_size: 256
    .name:           _ZN4vllm3moe17topkGatingSoftmaxItLi4ELi4ELi8ELi8ELb1ELi8ELNS0_23SharedExpertScoringFuncE1EEEvPKT_PKbPfiPiS9_iiiiii
    .private_segment_fixed_size: 0
    .sgpr_count:     22
    .sgpr_spill_count: 0
    .symbol:         _ZN4vllm3moe17topkGatingSoftmaxItLi4ELi4ELi8ELi8ELb1ELi8ELNS0_23SharedExpertScoringFuncE1EEEvPKT_PKbPfiPiS9_iiiiii.kd
    .uniform_work_group_size: 1
    .uses_dynamic_stack: false
    .vgpr_count:     56
    .vgpr_spill_count: 0
    .wavefront_size: 32
    .workgroup_processor_mode: 1
  - .args:
      - .address_space:  global
        .offset:         0
        .size:           8
        .value_kind:     global_buffer
      - .address_space:  global
        .offset:         8
        .size:           8
        .value_kind:     global_buffer
      - .address_space:  global
        .offset:         16
        .size:           8
        .value_kind:     global_buffer
      - .offset:         24
        .size:           4
        .value_kind:     by_value
      - .address_space:  global
        .offset:         32
        .size:           8
        .value_kind:     global_buffer
      - .address_space:  global
        .offset:         40
        .size:           8
        .value_kind:     global_buffer
      - .offset:         48
        .size:           4
        .value_kind:     by_value
      - .offset:         52
        .size:           4
        .value_kind:     by_value
      - .offset:         56
        .size:           4
        .value_kind:     by_value
      - .offset:         60
        .size:           4
        .value_kind:     by_value
      - .offset:         64
        .size:           4
        .value_kind:     by_value
      - .offset:         68
        .size:           4
        .value_kind:     by_value
    .group_segment_fixed_size: 0
    .kernarg_segment_align: 8
    .kernarg_segment_size: 72
    .language:       OpenCL C
    .language_version:
      - 2
      - 0
    .max_flat_workgroup_size: 256
    .name:           _ZN4vllm3moe17topkGatingSoftmaxItLi4ELi4ELi8ELi8ELb0ELi8ELNS0_23SharedExpertScoringFuncE1EEEvPKT_PKbPfiPiS9_iiiiii
    .private_segment_fixed_size: 0
    .sgpr_count:     25
    .sgpr_spill_count: 0
    .symbol:         _ZN4vllm3moe17topkGatingSoftmaxItLi4ELi4ELi8ELi8ELb0ELi8ELNS0_23SharedExpertScoringFuncE1EEEvPKT_PKbPfiPiS9_iiiiii.kd
    .uniform_work_group_size: 1
    .uses_dynamic_stack: false
    .vgpr_count:     59
    .vgpr_spill_count: 0
    .wavefront_size: 32
    .workgroup_processor_mode: 1
  - .args:
      - .address_space:  global
        .offset:         0
        .size:           8
        .value_kind:     global_buffer
      - .address_space:  global
        .offset:         8
        .size:           8
        .value_kind:     global_buffer
      - .address_space:  global
        .offset:         16
        .size:           8
        .value_kind:     global_buffer
      - .offset:         24
        .size:           4
        .value_kind:     by_value
      - .address_space:  global
        .offset:         32
        .size:           8
        .value_kind:     global_buffer
      - .address_space:  global
        .offset:         40
        .size:           8
        .value_kind:     global_buffer
      - .offset:         48
        .size:           4
        .value_kind:     by_value
      - .offset:         52
        .size:           4
        .value_kind:     by_value
      - .offset:         56
        .size:           4
        .value_kind:     by_value
      - .offset:         60
        .size:           4
        .value_kind:     by_value
      - .offset:         64
        .size:           4
        .value_kind:     by_value
      - .offset:         68
        .size:           4
        .value_kind:     by_value
    .group_segment_fixed_size: 0
    .kernarg_segment_align: 8
    .kernarg_segment_size: 72
    .language:       OpenCL C
    .language_version:
      - 2
      - 0
    .max_flat_workgroup_size: 256
    .name:           _ZN4vllm3moe17topkGatingSoftmaxItLi8ELi8ELi8ELi16ELb1ELi0ELNS0_23SharedExpertScoringFuncE0EEEvPKT_PKbPfiPiS9_iiiiii
    .private_segment_fixed_size: 0
    .sgpr_count:     22
    .sgpr_spill_count: 0
    .symbol:         _ZN4vllm3moe17topkGatingSoftmaxItLi8ELi8ELi8ELi16ELb1ELi0ELNS0_23SharedExpertScoringFuncE0EEEvPKT_PKbPfiPiS9_iiiiii.kd
    .uniform_work_group_size: 1
    .uses_dynamic_stack: false
    .vgpr_count:     25
    .vgpr_spill_count: 0
    .wavefront_size: 32
    .workgroup_processor_mode: 1
  - .args:
      - .address_space:  global
        .offset:         0
        .size:           8
        .value_kind:     global_buffer
      - .address_space:  global
        .offset:         8
        .size:           8
        .value_kind:     global_buffer
      - .address_space:  global
        .offset:         16
        .size:           8
        .value_kind:     global_buffer
      - .offset:         24
        .size:           4
        .value_kind:     by_value
      - .address_space:  global
        .offset:         32
        .size:           8
        .value_kind:     global_buffer
      - .address_space:  global
        .offset:         40
        .size:           8
        .value_kind:     global_buffer
      - .offset:         48
        .size:           4
        .value_kind:     by_value
      - .offset:         52
        .size:           4
        .value_kind:     by_value
      - .offset:         56
        .size:           4
        .value_kind:     by_value
      - .offset:         60
        .size:           4
        .value_kind:     by_value
      - .offset:         64
        .size:           4
        .value_kind:     by_value
      - .offset:         68
        .size:           4
        .value_kind:     by_value
    .group_segment_fixed_size: 0
    .kernarg_segment_align: 8
    .kernarg_segment_size: 72
    .language:       OpenCL C
    .language_version:
      - 2
      - 0
    .max_flat_workgroup_size: 256
    .name:           _ZN4vllm3moe17topkGatingSoftmaxItLi8ELi8ELi8ELi16ELb0ELi0ELNS0_23SharedExpertScoringFuncE0EEEvPKT_PKbPfiPiS9_iiiiii
    .private_segment_fixed_size: 0
    .sgpr_count:     21
    .sgpr_spill_count: 0
    .symbol:         _ZN4vllm3moe17topkGatingSoftmaxItLi8ELi8ELi8ELi16ELb0ELi0ELNS0_23SharedExpertScoringFuncE0EEEvPKT_PKbPfiPiS9_iiiiii.kd
    .uniform_work_group_size: 1
    .uses_dynamic_stack: false
    .vgpr_count:     25
    .vgpr_spill_count: 0
    .wavefront_size: 32
    .workgroup_processor_mode: 1
  - .args:
      - .address_space:  global
        .offset:         0
        .size:           8
        .value_kind:     global_buffer
      - .address_space:  global
        .offset:         8
        .size:           8
        .value_kind:     global_buffer
      - .address_space:  global
        .offset:         16
        .size:           8
        .value_kind:     global_buffer
      - .offset:         24
        .size:           4
        .value_kind:     by_value
      - .address_space:  global
        .offset:         32
        .size:           8
        .value_kind:     global_buffer
      - .address_space:  global
        .offset:         40
        .size:           8
        .value_kind:     global_buffer
      - .offset:         48
        .size:           4
        .value_kind:     by_value
      - .offset:         52
        .size:           4
        .value_kind:     by_value
      - .offset:         56
        .size:           4
        .value_kind:     by_value
      - .offset:         60
        .size:           4
        .value_kind:     by_value
      - .offset:         64
        .size:           4
        .value_kind:     by_value
      - .offset:         68
        .size:           4
        .value_kind:     by_value
    .group_segment_fixed_size: 0
    .kernarg_segment_align: 8
    .kernarg_segment_size: 72
    .language:       OpenCL C
    .language_version:
      - 2
      - 0
    .max_flat_workgroup_size: 256
    .name:           _ZN4vllm3moe17topkGatingSoftmaxItLi8ELi8ELi8ELi16ELb1ELi1ELNS0_23SharedExpertScoringFuncE1EEEvPKT_PKbPfiPiS9_iiiiii
    .private_segment_fixed_size: 0
    .sgpr_count:     18
    .sgpr_spill_count: 0
    .symbol:         _ZN4vllm3moe17topkGatingSoftmaxItLi8ELi8ELi8ELi16ELb1ELi1ELNS0_23SharedExpertScoringFuncE1EEEvPKT_PKbPfiPiS9_iiiiii.kd
    .uniform_work_group_size: 1
    .uses_dynamic_stack: false
    .vgpr_count:     26
    .vgpr_spill_count: 0
    .wavefront_size: 32
    .workgroup_processor_mode: 1
  - .args:
      - .address_space:  global
        .offset:         0
        .size:           8
        .value_kind:     global_buffer
      - .address_space:  global
        .offset:         8
        .size:           8
        .value_kind:     global_buffer
      - .address_space:  global
        .offset:         16
        .size:           8
        .value_kind:     global_buffer
      - .offset:         24
        .size:           4
        .value_kind:     by_value
      - .address_space:  global
        .offset:         32
        .size:           8
        .value_kind:     global_buffer
      - .address_space:  global
        .offset:         40
        .size:           8
        .value_kind:     global_buffer
      - .offset:         48
        .size:           4
        .value_kind:     by_value
      - .offset:         52
        .size:           4
        .value_kind:     by_value
      - .offset:         56
        .size:           4
        .value_kind:     by_value
      - .offset:         60
        .size:           4
        .value_kind:     by_value
      - .offset:         64
        .size:           4
        .value_kind:     by_value
      - .offset:         68
        .size:           4
        .value_kind:     by_value
    .group_segment_fixed_size: 0
    .kernarg_segment_align: 8
    .kernarg_segment_size: 72
    .language:       OpenCL C
    .language_version:
      - 2
      - 0
    .max_flat_workgroup_size: 256
    .name:           _ZN4vllm3moe17topkGatingSoftmaxItLi8ELi8ELi8ELi16ELb0ELi1ELNS0_23SharedExpertScoringFuncE1EEEvPKT_PKbPfiPiS9_iiiiii
    .private_segment_fixed_size: 0
    .sgpr_count:     21
    .sgpr_spill_count: 0
    .symbol:         _ZN4vllm3moe17topkGatingSoftmaxItLi8ELi8ELi8ELi16ELb0ELi1ELNS0_23SharedExpertScoringFuncE1EEEvPKT_PKbPfiPiS9_iiiiii.kd
    .uniform_work_group_size: 1
    .uses_dynamic_stack: false
    .vgpr_count:     26
    .vgpr_spill_count: 0
    .wavefront_size: 32
    .workgroup_processor_mode: 1
  - .args:
      - .address_space:  global
        .offset:         0
        .size:           8
        .value_kind:     global_buffer
      - .address_space:  global
        .offset:         8
        .size:           8
        .value_kind:     global_buffer
      - .address_space:  global
        .offset:         16
        .size:           8
        .value_kind:     global_buffer
      - .offset:         24
        .size:           4
        .value_kind:     by_value
      - .address_space:  global
        .offset:         32
        .size:           8
        .value_kind:     global_buffer
      - .address_space:  global
        .offset:         40
        .size:           8
        .value_kind:     global_buffer
      - .offset:         48
        .size:           4
        .value_kind:     by_value
      - .offset:         52
        .size:           4
        .value_kind:     by_value
      - .offset:         56
        .size:           4
        .value_kind:     by_value
      - .offset:         60
        .size:           4
        .value_kind:     by_value
      - .offset:         64
        .size:           4
        .value_kind:     by_value
      - .offset:         68
        .size:           4
        .value_kind:     by_value
    .group_segment_fixed_size: 0
    .kernarg_segment_align: 8
    .kernarg_segment_size: 72
    .language:       OpenCL C
    .language_version:
      - 2
      - 0
    .max_flat_workgroup_size: 256
    .name:           _ZN4vllm3moe17topkGatingSoftmaxItLi8ELi8ELi8ELi16ELb1ELi2ELNS0_23SharedExpertScoringFuncE1EEEvPKT_PKbPfiPiS9_iiiiii
    .private_segment_fixed_size: 0
    .sgpr_count:     18
    .sgpr_spill_count: 0
    .symbol:         _ZN4vllm3moe17topkGatingSoftmaxItLi8ELi8ELi8ELi16ELb1ELi2ELNS0_23SharedExpertScoringFuncE1EEEvPKT_PKbPfiPiS9_iiiiii.kd
    .uniform_work_group_size: 1
    .uses_dynamic_stack: false
    .vgpr_count:     26
    .vgpr_spill_count: 0
    .wavefront_size: 32
    .workgroup_processor_mode: 1
  - .args:
      - .address_space:  global
        .offset:         0
        .size:           8
        .value_kind:     global_buffer
      - .address_space:  global
        .offset:         8
        .size:           8
        .value_kind:     global_buffer
      - .address_space:  global
        .offset:         16
        .size:           8
        .value_kind:     global_buffer
      - .offset:         24
        .size:           4
        .value_kind:     by_value
      - .address_space:  global
        .offset:         32
        .size:           8
        .value_kind:     global_buffer
      - .address_space:  global
        .offset:         40
        .size:           8
        .value_kind:     global_buffer
      - .offset:         48
        .size:           4
        .value_kind:     by_value
      - .offset:         52
        .size:           4
        .value_kind:     by_value
      - .offset:         56
        .size:           4
        .value_kind:     by_value
      - .offset:         60
        .size:           4
        .value_kind:     by_value
      - .offset:         64
        .size:           4
        .value_kind:     by_value
      - .offset:         68
        .size:           4
        .value_kind:     by_value
    .group_segment_fixed_size: 0
    .kernarg_segment_align: 8
    .kernarg_segment_size: 72
    .language:       OpenCL C
    .language_version:
      - 2
      - 0
    .max_flat_workgroup_size: 256
    .name:           _ZN4vllm3moe17topkGatingSoftmaxItLi8ELi8ELi8ELi16ELb0ELi2ELNS0_23SharedExpertScoringFuncE1EEEvPKT_PKbPfiPiS9_iiiiii
    .private_segment_fixed_size: 0
    .sgpr_count:     22
    .sgpr_spill_count: 0
    .symbol:         _ZN4vllm3moe17topkGatingSoftmaxItLi8ELi8ELi8ELi16ELb0ELi2ELNS0_23SharedExpertScoringFuncE1EEEvPKT_PKbPfiPiS9_iiiiii.kd
    .uniform_work_group_size: 1
    .uses_dynamic_stack: false
    .vgpr_count:     29
    .vgpr_spill_count: 0
    .wavefront_size: 32
    .workgroup_processor_mode: 1
  - .args:
      - .address_space:  global
        .offset:         0
        .size:           8
        .value_kind:     global_buffer
      - .address_space:  global
        .offset:         8
        .size:           8
        .value_kind:     global_buffer
      - .address_space:  global
        .offset:         16
        .size:           8
        .value_kind:     global_buffer
      - .offset:         24
        .size:           4
        .value_kind:     by_value
      - .address_space:  global
        .offset:         32
        .size:           8
        .value_kind:     global_buffer
      - .address_space:  global
        .offset:         40
        .size:           8
        .value_kind:     global_buffer
      - .offset:         48
        .size:           4
        .value_kind:     by_value
      - .offset:         52
        .size:           4
        .value_kind:     by_value
      - .offset:         56
        .size:           4
        .value_kind:     by_value
      - .offset:         60
        .size:           4
        .value_kind:     by_value
      - .offset:         64
        .size:           4
        .value_kind:     by_value
      - .offset:         68
        .size:           4
        .value_kind:     by_value
    .group_segment_fixed_size: 0
    .kernarg_segment_align: 8
    .kernarg_segment_size: 72
    .language:       OpenCL C
    .language_version:
      - 2
      - 0
    .max_flat_workgroup_size: 256
    .name:           _ZN4vllm3moe17topkGatingSoftmaxItLi8ELi8ELi8ELi16ELb1ELi4ELNS0_23SharedExpertScoringFuncE1EEEvPKT_PKbPfiPiS9_iiiiii
    .private_segment_fixed_size: 0
    .sgpr_count:     19
    .sgpr_spill_count: 0
    .symbol:         _ZN4vllm3moe17topkGatingSoftmaxItLi8ELi8ELi8ELi16ELb1ELi4ELNS0_23SharedExpertScoringFuncE1EEEvPKT_PKbPfiPiS9_iiiiii.kd
    .uniform_work_group_size: 1
    .uses_dynamic_stack: false
    .vgpr_count:     34
    .vgpr_spill_count: 0
    .wavefront_size: 32
    .workgroup_processor_mode: 1
  - .args:
      - .address_space:  global
        .offset:         0
        .size:           8
        .value_kind:     global_buffer
      - .address_space:  global
        .offset:         8
        .size:           8
        .value_kind:     global_buffer
      - .address_space:  global
        .offset:         16
        .size:           8
        .value_kind:     global_buffer
      - .offset:         24
        .size:           4
        .value_kind:     by_value
      - .address_space:  global
        .offset:         32
        .size:           8
        .value_kind:     global_buffer
      - .address_space:  global
        .offset:         40
        .size:           8
        .value_kind:     global_buffer
      - .offset:         48
        .size:           4
        .value_kind:     by_value
      - .offset:         52
        .size:           4
        .value_kind:     by_value
      - .offset:         56
        .size:           4
        .value_kind:     by_value
      - .offset:         60
        .size:           4
        .value_kind:     by_value
      - .offset:         64
        .size:           4
        .value_kind:     by_value
      - .offset:         68
        .size:           4
        .value_kind:     by_value
    .group_segment_fixed_size: 0
    .kernarg_segment_align: 8
    .kernarg_segment_size: 72
    .language:       OpenCL C
    .language_version:
      - 2
      - 0
    .max_flat_workgroup_size: 256
    .name:           _ZN4vllm3moe17topkGatingSoftmaxItLi8ELi8ELi8ELi16ELb0ELi4ELNS0_23SharedExpertScoringFuncE1EEEvPKT_PKbPfiPiS9_iiiiii
    .private_segment_fixed_size: 0
    .sgpr_count:     25
    .sgpr_spill_count: 0
    .symbol:         _ZN4vllm3moe17topkGatingSoftmaxItLi8ELi8ELi8ELi16ELb0ELi4ELNS0_23SharedExpertScoringFuncE1EEEvPKT_PKbPfiPiS9_iiiiii.kd
    .uniform_work_group_size: 1
    .uses_dynamic_stack: false
    .vgpr_count:     39
    .vgpr_spill_count: 0
    .wavefront_size: 32
    .workgroup_processor_mode: 1
  - .args:
      - .address_space:  global
        .offset:         0
        .size:           8
        .value_kind:     global_buffer
      - .address_space:  global
        .offset:         8
        .size:           8
        .value_kind:     global_buffer
      - .address_space:  global
        .offset:         16
        .size:           8
        .value_kind:     global_buffer
      - .offset:         24
        .size:           4
        .value_kind:     by_value
      - .address_space:  global
        .offset:         32
        .size:           8
        .value_kind:     global_buffer
      - .address_space:  global
        .offset:         40
        .size:           8
        .value_kind:     global_buffer
      - .offset:         48
        .size:           4
        .value_kind:     by_value
      - .offset:         52
        .size:           4
        .value_kind:     by_value
      - .offset:         56
        .size:           4
        .value_kind:     by_value
      - .offset:         60
        .size:           4
        .value_kind:     by_value
      - .offset:         64
        .size:           4
        .value_kind:     by_value
      - .offset:         68
        .size:           4
        .value_kind:     by_value
    .group_segment_fixed_size: 0
    .kernarg_segment_align: 8
    .kernarg_segment_size: 72
    .language:       OpenCL C
    .language_version:
      - 2
      - 0
    .max_flat_workgroup_size: 256
    .name:           _ZN4vllm3moe17topkGatingSoftmaxItLi8ELi8ELi8ELi16ELb1ELi8ELNS0_23SharedExpertScoringFuncE1EEEvPKT_PKbPfiPiS9_iiiiii
    .private_segment_fixed_size: 0
    .sgpr_count:     22
    .sgpr_spill_count: 0
    .symbol:         _ZN4vllm3moe17topkGatingSoftmaxItLi8ELi8ELi8ELi16ELb1ELi8ELNS0_23SharedExpertScoringFuncE1EEEvPKT_PKbPfiPiS9_iiiiii.kd
    .uniform_work_group_size: 1
    .uses_dynamic_stack: false
    .vgpr_count:     58
    .vgpr_spill_count: 0
    .wavefront_size: 32
    .workgroup_processor_mode: 1
  - .args:
      - .address_space:  global
        .offset:         0
        .size:           8
        .value_kind:     global_buffer
      - .address_space:  global
        .offset:         8
        .size:           8
        .value_kind:     global_buffer
      - .address_space:  global
        .offset:         16
        .size:           8
        .value_kind:     global_buffer
      - .offset:         24
        .size:           4
        .value_kind:     by_value
      - .address_space:  global
        .offset:         32
        .size:           8
        .value_kind:     global_buffer
      - .address_space:  global
        .offset:         40
        .size:           8
        .value_kind:     global_buffer
      - .offset:         48
        .size:           4
        .value_kind:     by_value
      - .offset:         52
        .size:           4
        .value_kind:     by_value
      - .offset:         56
        .size:           4
        .value_kind:     by_value
      - .offset:         60
        .size:           4
        .value_kind:     by_value
      - .offset:         64
        .size:           4
        .value_kind:     by_value
      - .offset:         68
        .size:           4
        .value_kind:     by_value
    .group_segment_fixed_size: 0
    .kernarg_segment_align: 8
    .kernarg_segment_size: 72
    .language:       OpenCL C
    .language_version:
      - 2
      - 0
    .max_flat_workgroup_size: 256
    .name:           _ZN4vllm3moe17topkGatingSoftmaxItLi8ELi8ELi8ELi16ELb0ELi8ELNS0_23SharedExpertScoringFuncE1EEEvPKT_PKbPfiPiS9_iiiiii
    .private_segment_fixed_size: 0
    .sgpr_count:     29
    .sgpr_spill_count: 0
    .symbol:         _ZN4vllm3moe17topkGatingSoftmaxItLi8ELi8ELi8ELi16ELb0ELi8ELNS0_23SharedExpertScoringFuncE1EEEvPKT_PKbPfiPiS9_iiiiii.kd
    .uniform_work_group_size: 1
    .uses_dynamic_stack: false
    .vgpr_count:     63
    .vgpr_spill_count: 0
    .wavefront_size: 32
    .workgroup_processor_mode: 1
  - .args:
      - .address_space:  global
        .offset:         0
        .size:           8
        .value_kind:     global_buffer
      - .address_space:  global
        .offset:         8
        .size:           8
        .value_kind:     global_buffer
      - .address_space:  global
        .offset:         16
        .size:           8
        .value_kind:     global_buffer
      - .offset:         24
        .size:           4
        .value_kind:     by_value
      - .address_space:  global
        .offset:         32
        .size:           8
        .value_kind:     global_buffer
      - .address_space:  global
        .offset:         40
        .size:           8
        .value_kind:     global_buffer
      - .offset:         48
        .size:           4
        .value_kind:     by_value
      - .offset:         52
        .size:           4
        .value_kind:     by_value
      - .offset:         56
        .size:           4
        .value_kind:     by_value
      - .offset:         60
        .size:           4
        .value_kind:     by_value
      - .offset:         64
        .size:           4
        .value_kind:     by_value
      - .offset:         68
        .size:           4
        .value_kind:     by_value
    .group_segment_fixed_size: 0
    .kernarg_segment_align: 8
    .kernarg_segment_size: 72
    .language:       OpenCL C
    .language_version:
      - 2
      - 0
    .max_flat_workgroup_size: 256
    .name:           _ZN4vllm3moe17topkGatingSoftmaxItLi16ELi16ELi8ELi32ELb1ELi0ELNS0_23SharedExpertScoringFuncE0EEEvPKT_PKbPfiPiS9_iiiiii
    .private_segment_fixed_size: 0
    .sgpr_count:     22
    .sgpr_spill_count: 0
    .symbol:         _ZN4vllm3moe17topkGatingSoftmaxItLi16ELi16ELi8ELi32ELb1ELi0ELNS0_23SharedExpertScoringFuncE0EEEvPKT_PKbPfiPiS9_iiiiii.kd
    .uniform_work_group_size: 1
    .uses_dynamic_stack: false
    .vgpr_count:     33
    .vgpr_spill_count: 0
    .wavefront_size: 32
    .workgroup_processor_mode: 1
  - .args:
      - .address_space:  global
        .offset:         0
        .size:           8
        .value_kind:     global_buffer
      - .address_space:  global
        .offset:         8
        .size:           8
        .value_kind:     global_buffer
      - .address_space:  global
        .offset:         16
        .size:           8
        .value_kind:     global_buffer
      - .offset:         24
        .size:           4
        .value_kind:     by_value
      - .address_space:  global
        .offset:         32
        .size:           8
        .value_kind:     global_buffer
      - .address_space:  global
        .offset:         40
        .size:           8
        .value_kind:     global_buffer
      - .offset:         48
        .size:           4
        .value_kind:     by_value
      - .offset:         52
        .size:           4
        .value_kind:     by_value
      - .offset:         56
        .size:           4
        .value_kind:     by_value
      - .offset:         60
        .size:           4
        .value_kind:     by_value
      - .offset:         64
        .size:           4
        .value_kind:     by_value
      - .offset:         68
        .size:           4
        .value_kind:     by_value
    .group_segment_fixed_size: 0
    .kernarg_segment_align: 8
    .kernarg_segment_size: 72
    .language:       OpenCL C
    .language_version:
      - 2
      - 0
    .max_flat_workgroup_size: 256
    .name:           _ZN4vllm3moe17topkGatingSoftmaxItLi16ELi16ELi8ELi32ELb0ELi0ELNS0_23SharedExpertScoringFuncE0EEEvPKT_PKbPfiPiS9_iiiiii
    .private_segment_fixed_size: 0
    .sgpr_count:     29
    .sgpr_spill_count: 0
    .symbol:         _ZN4vllm3moe17topkGatingSoftmaxItLi16ELi16ELi8ELi32ELb0ELi0ELNS0_23SharedExpertScoringFuncE0EEEvPKT_PKbPfiPiS9_iiiiii.kd
    .uniform_work_group_size: 1
    .uses_dynamic_stack: false
    .vgpr_count:     33
    .vgpr_spill_count: 0
    .wavefront_size: 32
    .workgroup_processor_mode: 1
  - .args:
      - .address_space:  global
        .offset:         0
        .size:           8
        .value_kind:     global_buffer
      - .address_space:  global
        .offset:         8
        .size:           8
        .value_kind:     global_buffer
      - .address_space:  global
        .offset:         16
        .size:           8
        .value_kind:     global_buffer
      - .offset:         24
        .size:           4
        .value_kind:     by_value
      - .address_space:  global
        .offset:         32
        .size:           8
        .value_kind:     global_buffer
      - .address_space:  global
        .offset:         40
        .size:           8
        .value_kind:     global_buffer
      - .offset:         48
        .size:           4
        .value_kind:     by_value
      - .offset:         52
        .size:           4
        .value_kind:     by_value
      - .offset:         56
        .size:           4
        .value_kind:     by_value
      - .offset:         60
        .size:           4
        .value_kind:     by_value
      - .offset:         64
        .size:           4
        .value_kind:     by_value
      - .offset:         68
        .size:           4
        .value_kind:     by_value
    .group_segment_fixed_size: 0
    .kernarg_segment_align: 8
    .kernarg_segment_size: 72
    .language:       OpenCL C
    .language_version:
      - 2
      - 0
    .max_flat_workgroup_size: 256
    .name:           _ZN4vllm3moe17topkGatingSoftmaxItLi16ELi16ELi8ELi32ELb1ELi1ELNS0_23SharedExpertScoringFuncE1EEEvPKT_PKbPfiPiS9_iiiiii
    .private_segment_fixed_size: 0
    .sgpr_count:     18
    .sgpr_spill_count: 0
    .symbol:         _ZN4vllm3moe17topkGatingSoftmaxItLi16ELi16ELi8ELi32ELb1ELi1ELNS0_23SharedExpertScoringFuncE1EEEvPKT_PKbPfiPiS9_iiiiii.kd
    .uniform_work_group_size: 1
    .uses_dynamic_stack: false
    .vgpr_count:     35
    .vgpr_spill_count: 0
    .wavefront_size: 32
    .workgroup_processor_mode: 1
  - .args:
      - .address_space:  global
        .offset:         0
        .size:           8
        .value_kind:     global_buffer
      - .address_space:  global
        .offset:         8
        .size:           8
        .value_kind:     global_buffer
      - .address_space:  global
        .offset:         16
        .size:           8
        .value_kind:     global_buffer
      - .offset:         24
        .size:           4
        .value_kind:     by_value
      - .address_space:  global
        .offset:         32
        .size:           8
        .value_kind:     global_buffer
      - .address_space:  global
        .offset:         40
        .size:           8
        .value_kind:     global_buffer
      - .offset:         48
        .size:           4
        .value_kind:     by_value
      - .offset:         52
        .size:           4
        .value_kind:     by_value
      - .offset:         56
        .size:           4
        .value_kind:     by_value
      - .offset:         60
        .size:           4
        .value_kind:     by_value
      - .offset:         64
        .size:           4
        .value_kind:     by_value
      - .offset:         68
        .size:           4
        .value_kind:     by_value
    .group_segment_fixed_size: 0
    .kernarg_segment_align: 8
    .kernarg_segment_size: 72
    .language:       OpenCL C
    .language_version:
      - 2
      - 0
    .max_flat_workgroup_size: 256
    .name:           _ZN4vllm3moe17topkGatingSoftmaxItLi16ELi16ELi8ELi32ELb0ELi1ELNS0_23SharedExpertScoringFuncE1EEEvPKT_PKbPfiPiS9_iiiiii
    .private_segment_fixed_size: 0
    .sgpr_count:     29
    .sgpr_spill_count: 0
    .symbol:         _ZN4vllm3moe17topkGatingSoftmaxItLi16ELi16ELi8ELi32ELb0ELi1ELNS0_23SharedExpertScoringFuncE1EEEvPKT_PKbPfiPiS9_iiiiii.kd
    .uniform_work_group_size: 1
    .uses_dynamic_stack: false
    .vgpr_count:     34
    .vgpr_spill_count: 0
    .wavefront_size: 32
    .workgroup_processor_mode: 1
  - .args:
      - .address_space:  global
        .offset:         0
        .size:           8
        .value_kind:     global_buffer
      - .address_space:  global
        .offset:         8
        .size:           8
        .value_kind:     global_buffer
      - .address_space:  global
        .offset:         16
        .size:           8
        .value_kind:     global_buffer
      - .offset:         24
        .size:           4
        .value_kind:     by_value
      - .address_space:  global
        .offset:         32
        .size:           8
        .value_kind:     global_buffer
      - .address_space:  global
        .offset:         40
        .size:           8
        .value_kind:     global_buffer
      - .offset:         48
        .size:           4
        .value_kind:     by_value
      - .offset:         52
        .size:           4
        .value_kind:     by_value
      - .offset:         56
        .size:           4
        .value_kind:     by_value
      - .offset:         60
        .size:           4
        .value_kind:     by_value
      - .offset:         64
        .size:           4
        .value_kind:     by_value
      - .offset:         68
        .size:           4
        .value_kind:     by_value
    .group_segment_fixed_size: 0
    .kernarg_segment_align: 8
    .kernarg_segment_size: 72
    .language:       OpenCL C
    .language_version:
      - 2
      - 0
    .max_flat_workgroup_size: 256
    .name:           _ZN4vllm3moe17topkGatingSoftmaxItLi16ELi16ELi8ELi32ELb1ELi2ELNS0_23SharedExpertScoringFuncE1EEEvPKT_PKbPfiPiS9_iiiiii
    .private_segment_fixed_size: 0
    .sgpr_count:     18
    .sgpr_spill_count: 0
    .symbol:         _ZN4vllm3moe17topkGatingSoftmaxItLi16ELi16ELi8ELi32ELb1ELi2ELNS0_23SharedExpertScoringFuncE1EEEvPKT_PKbPfiPiS9_iiiiii.kd
    .uniform_work_group_size: 1
    .uses_dynamic_stack: false
    .vgpr_count:     35
    .vgpr_spill_count: 0
    .wavefront_size: 32
    .workgroup_processor_mode: 1
  - .args:
      - .address_space:  global
        .offset:         0
        .size:           8
        .value_kind:     global_buffer
      - .address_space:  global
        .offset:         8
        .size:           8
        .value_kind:     global_buffer
      - .address_space:  global
        .offset:         16
        .size:           8
        .value_kind:     global_buffer
      - .offset:         24
        .size:           4
        .value_kind:     by_value
      - .address_space:  global
        .offset:         32
        .size:           8
        .value_kind:     global_buffer
      - .address_space:  global
        .offset:         40
        .size:           8
        .value_kind:     global_buffer
      - .offset:         48
        .size:           4
        .value_kind:     by_value
      - .offset:         52
        .size:           4
        .value_kind:     by_value
      - .offset:         56
        .size:           4
        .value_kind:     by_value
      - .offset:         60
        .size:           4
        .value_kind:     by_value
      - .offset:         64
        .size:           4
        .value_kind:     by_value
      - .offset:         68
        .size:           4
        .value_kind:     by_value
    .group_segment_fixed_size: 0
    .kernarg_segment_align: 8
    .kernarg_segment_size: 72
    .language:       OpenCL C
    .language_version:
      - 2
      - 0
    .max_flat_workgroup_size: 256
    .name:           _ZN4vllm3moe17topkGatingSoftmaxItLi16ELi16ELi8ELi32ELb0ELi2ELNS0_23SharedExpertScoringFuncE1EEEvPKT_PKbPfiPiS9_iiiiii
    .private_segment_fixed_size: 0
    .sgpr_count:     30
    .sgpr_spill_count: 0
    .symbol:         _ZN4vllm3moe17topkGatingSoftmaxItLi16ELi16ELi8ELi32ELb0ELi2ELNS0_23SharedExpertScoringFuncE1EEEvPKT_PKbPfiPiS9_iiiiii.kd
    .uniform_work_group_size: 1
    .uses_dynamic_stack: false
    .vgpr_count:     36
    .vgpr_spill_count: 0
    .wavefront_size: 32
    .workgroup_processor_mode: 1
  - .args:
      - .address_space:  global
        .offset:         0
        .size:           8
        .value_kind:     global_buffer
      - .address_space:  global
        .offset:         8
        .size:           8
        .value_kind:     global_buffer
      - .address_space:  global
        .offset:         16
        .size:           8
        .value_kind:     global_buffer
      - .offset:         24
        .size:           4
        .value_kind:     by_value
      - .address_space:  global
        .offset:         32
        .size:           8
        .value_kind:     global_buffer
      - .address_space:  global
        .offset:         40
        .size:           8
        .value_kind:     global_buffer
      - .offset:         48
        .size:           4
        .value_kind:     by_value
      - .offset:         52
        .size:           4
        .value_kind:     by_value
      - .offset:         56
        .size:           4
        .value_kind:     by_value
      - .offset:         60
        .size:           4
        .value_kind:     by_value
      - .offset:         64
        .size:           4
        .value_kind:     by_value
      - .offset:         68
        .size:           4
        .value_kind:     by_value
    .group_segment_fixed_size: 0
    .kernarg_segment_align: 8
    .kernarg_segment_size: 72
    .language:       OpenCL C
    .language_version:
      - 2
      - 0
    .max_flat_workgroup_size: 256
    .name:           _ZN4vllm3moe17topkGatingSoftmaxItLi16ELi16ELi8ELi32ELb1ELi4ELNS0_23SharedExpertScoringFuncE1EEEvPKT_PKbPfiPiS9_iiiiii
    .private_segment_fixed_size: 0
    .sgpr_count:     19
    .sgpr_spill_count: 0
    .symbol:         _ZN4vllm3moe17topkGatingSoftmaxItLi16ELi16ELi8ELi32ELb1ELi4ELNS0_23SharedExpertScoringFuncE1EEEvPKT_PKbPfiPiS9_iiiiii.kd
    .uniform_work_group_size: 1
    .uses_dynamic_stack: false
    .vgpr_count:     38
    .vgpr_spill_count: 0
    .wavefront_size: 32
    .workgroup_processor_mode: 1
  - .args:
      - .address_space:  global
        .offset:         0
        .size:           8
        .value_kind:     global_buffer
      - .address_space:  global
        .offset:         8
        .size:           8
        .value_kind:     global_buffer
      - .address_space:  global
        .offset:         16
        .size:           8
        .value_kind:     global_buffer
      - .offset:         24
        .size:           4
        .value_kind:     by_value
      - .address_space:  global
        .offset:         32
        .size:           8
        .value_kind:     global_buffer
      - .address_space:  global
        .offset:         40
        .size:           8
        .value_kind:     global_buffer
      - .offset:         48
        .size:           4
        .value_kind:     by_value
      - .offset:         52
        .size:           4
        .value_kind:     by_value
      - .offset:         56
        .size:           4
        .value_kind:     by_value
      - .offset:         60
        .size:           4
        .value_kind:     by_value
      - .offset:         64
        .size:           4
        .value_kind:     by_value
      - .offset:         68
        .size:           4
        .value_kind:     by_value
    .group_segment_fixed_size: 0
    .kernarg_segment_align: 8
    .kernarg_segment_size: 72
    .language:       OpenCL C
    .language_version:
      - 2
      - 0
    .max_flat_workgroup_size: 256
    .name:           _ZN4vllm3moe17topkGatingSoftmaxItLi16ELi16ELi8ELi32ELb0ELi4ELNS0_23SharedExpertScoringFuncE1EEEvPKT_PKbPfiPiS9_iiiiii
    .private_segment_fixed_size: 0
    .sgpr_count:     32
    .sgpr_spill_count: 0
    .symbol:         _ZN4vllm3moe17topkGatingSoftmaxItLi16ELi16ELi8ELi32ELb0ELi4ELNS0_23SharedExpertScoringFuncE1EEEvPKT_PKbPfiPiS9_iiiiii.kd
    .uniform_work_group_size: 1
    .uses_dynamic_stack: false
    .vgpr_count:     47
    .vgpr_spill_count: 0
    .wavefront_size: 32
    .workgroup_processor_mode: 1
  - .args:
      - .address_space:  global
        .offset:         0
        .size:           8
        .value_kind:     global_buffer
      - .address_space:  global
        .offset:         8
        .size:           8
        .value_kind:     global_buffer
      - .address_space:  global
        .offset:         16
        .size:           8
        .value_kind:     global_buffer
      - .offset:         24
        .size:           4
        .value_kind:     by_value
      - .address_space:  global
        .offset:         32
        .size:           8
        .value_kind:     global_buffer
      - .address_space:  global
        .offset:         40
        .size:           8
        .value_kind:     global_buffer
      - .offset:         48
        .size:           4
        .value_kind:     by_value
      - .offset:         52
        .size:           4
        .value_kind:     by_value
      - .offset:         56
        .size:           4
        .value_kind:     by_value
      - .offset:         60
        .size:           4
        .value_kind:     by_value
      - .offset:         64
        .size:           4
        .value_kind:     by_value
      - .offset:         68
        .size:           4
        .value_kind:     by_value
    .group_segment_fixed_size: 0
    .kernarg_segment_align: 8
    .kernarg_segment_size: 72
    .language:       OpenCL C
    .language_version:
      - 2
      - 0
    .max_flat_workgroup_size: 256
    .name:           _ZN4vllm3moe17topkGatingSoftmaxItLi16ELi16ELi8ELi32ELb1ELi8ELNS0_23SharedExpertScoringFuncE1EEEvPKT_PKbPfiPiS9_iiiiii
    .private_segment_fixed_size: 0
    .sgpr_count:     22
    .sgpr_spill_count: 0
    .symbol:         _ZN4vllm3moe17topkGatingSoftmaxItLi16ELi16ELi8ELi32ELb1ELi8ELNS0_23SharedExpertScoringFuncE1EEEvPKT_PKbPfiPiS9_iiiiii.kd
    .uniform_work_group_size: 1
    .uses_dynamic_stack: false
    .vgpr_count:     62
    .vgpr_spill_count: 0
    .wavefront_size: 32
    .workgroup_processor_mode: 1
  - .args:
      - .address_space:  global
        .offset:         0
        .size:           8
        .value_kind:     global_buffer
      - .address_space:  global
        .offset:         8
        .size:           8
        .value_kind:     global_buffer
      - .address_space:  global
        .offset:         16
        .size:           8
        .value_kind:     global_buffer
      - .offset:         24
        .size:           4
        .value_kind:     by_value
      - .address_space:  global
        .offset:         32
        .size:           8
        .value_kind:     global_buffer
      - .address_space:  global
        .offset:         40
        .size:           8
        .value_kind:     global_buffer
      - .offset:         48
        .size:           4
        .value_kind:     by_value
      - .offset:         52
        .size:           4
        .value_kind:     by_value
      - .offset:         56
        .size:           4
        .value_kind:     by_value
      - .offset:         60
        .size:           4
        .value_kind:     by_value
      - .offset:         64
        .size:           4
        .value_kind:     by_value
      - .offset:         68
        .size:           4
        .value_kind:     by_value
    .group_segment_fixed_size: 0
    .kernarg_segment_align: 8
    .kernarg_segment_size: 72
    .language:       OpenCL C
    .language_version:
      - 2
      - 0
    .max_flat_workgroup_size: 256
    .name:           _ZN4vllm3moe17topkGatingSoftmaxItLi16ELi16ELi8ELi32ELb0ELi8ELNS0_23SharedExpertScoringFuncE1EEEvPKT_PKbPfiPiS9_iiiiii
    .private_segment_fixed_size: 0
    .sgpr_count:     38
    .sgpr_spill_count: 0
    .symbol:         _ZN4vllm3moe17topkGatingSoftmaxItLi16ELi16ELi8ELi32ELb0ELi8ELNS0_23SharedExpertScoringFuncE1EEEvPKT_PKbPfiPiS9_iiiiii.kd
    .uniform_work_group_size: 1
    .uses_dynamic_stack: false
    .vgpr_count:     71
    .vgpr_spill_count: 0
    .wavefront_size: 32
    .workgroup_processor_mode: 1
  - .args:
      - .address_space:  global
        .offset:         0
        .size:           8
        .value_kind:     global_buffer
      - .address_space:  global
        .offset:         8
        .size:           8
        .value_kind:     global_buffer
      - .address_space:  global
        .offset:         16
        .size:           8
        .value_kind:     global_buffer
      - .offset:         24
        .size:           4
        .value_kind:     by_value
      - .address_space:  global
        .offset:         32
        .size:           8
        .value_kind:     global_buffer
      - .address_space:  global
        .offset:         40
        .size:           8
        .value_kind:     global_buffer
      - .offset:         48
        .size:           4
        .value_kind:     by_value
      - .offset:         52
        .size:           4
        .value_kind:     by_value
      - .offset:         56
        .size:           4
        .value_kind:     by_value
      - .offset:         60
        .size:           4
        .value_kind:     by_value
      - .offset:         64
        .size:           4
        .value_kind:     by_value
      - .offset:         68
        .size:           4
        .value_kind:     by_value
    .group_segment_fixed_size: 0
    .kernarg_segment_align: 8
    .kernarg_segment_size: 72
    .language:       OpenCL C
    .language_version:
      - 2
      - 0
    .max_flat_workgroup_size: 256
    .name:           _ZN4vllm3moe17topkGatingSoftmaxItLi16ELi32ELi8ELi32ELb1ELi0ELNS0_23SharedExpertScoringFuncE0EEEvPKT_PKbPfiPiS9_iiiiii
    .private_segment_fixed_size: 0
    .sgpr_count:     20
    .sgpr_spill_count: 0
    .symbol:         _ZN4vllm3moe17topkGatingSoftmaxItLi16ELi32ELi8ELi32ELb1ELi0ELNS0_23SharedExpertScoringFuncE0EEEvPKT_PKbPfiPiS9_iiiiii.kd
    .uniform_work_group_size: 1
    .uses_dynamic_stack: false
    .vgpr_count:     53
    .vgpr_spill_count: 0
    .wavefront_size: 32
    .workgroup_processor_mode: 1
  - .args:
      - .address_space:  global
        .offset:         0
        .size:           8
        .value_kind:     global_buffer
      - .address_space:  global
        .offset:         8
        .size:           8
        .value_kind:     global_buffer
      - .address_space:  global
        .offset:         16
        .size:           8
        .value_kind:     global_buffer
      - .offset:         24
        .size:           4
        .value_kind:     by_value
      - .address_space:  global
        .offset:         32
        .size:           8
        .value_kind:     global_buffer
      - .address_space:  global
        .offset:         40
        .size:           8
        .value_kind:     global_buffer
      - .offset:         48
        .size:           4
        .value_kind:     by_value
      - .offset:         52
        .size:           4
        .value_kind:     by_value
      - .offset:         56
        .size:           4
        .value_kind:     by_value
      - .offset:         60
        .size:           4
        .value_kind:     by_value
      - .offset:         64
        .size:           4
        .value_kind:     by_value
      - .offset:         68
        .size:           4
        .value_kind:     by_value
    .group_segment_fixed_size: 0
    .kernarg_segment_align: 8
    .kernarg_segment_size: 72
    .language:       OpenCL C
    .language_version:
      - 2
      - 0
    .max_flat_workgroup_size: 256
    .name:           _ZN4vllm3moe17topkGatingSoftmaxItLi16ELi32ELi8ELi32ELb0ELi0ELNS0_23SharedExpertScoringFuncE0EEEvPKT_PKbPfiPiS9_iiiiii
    .private_segment_fixed_size: 0
    .sgpr_count:     21
    .sgpr_spill_count: 0
    .symbol:         _ZN4vllm3moe17topkGatingSoftmaxItLi16ELi32ELi8ELi32ELb0ELi0ELNS0_23SharedExpertScoringFuncE0EEEvPKT_PKbPfiPiS9_iiiiii.kd
    .uniform_work_group_size: 1
    .uses_dynamic_stack: false
    .vgpr_count:     53
    .vgpr_spill_count: 0
    .wavefront_size: 32
    .workgroup_processor_mode: 1
  - .args:
      - .address_space:  global
        .offset:         0
        .size:           8
        .value_kind:     global_buffer
      - .address_space:  global
        .offset:         8
        .size:           8
        .value_kind:     global_buffer
      - .address_space:  global
        .offset:         16
        .size:           8
        .value_kind:     global_buffer
      - .offset:         24
        .size:           4
        .value_kind:     by_value
      - .address_space:  global
        .offset:         32
        .size:           8
        .value_kind:     global_buffer
      - .address_space:  global
        .offset:         40
        .size:           8
        .value_kind:     global_buffer
      - .offset:         48
        .size:           4
        .value_kind:     by_value
      - .offset:         52
        .size:           4
        .value_kind:     by_value
      - .offset:         56
        .size:           4
        .value_kind:     by_value
      - .offset:         60
        .size:           4
        .value_kind:     by_value
      - .offset:         64
        .size:           4
        .value_kind:     by_value
      - .offset:         68
        .size:           4
        .value_kind:     by_value
    .group_segment_fixed_size: 0
    .kernarg_segment_align: 8
    .kernarg_segment_size: 72
    .language:       OpenCL C
    .language_version:
      - 2
      - 0
    .max_flat_workgroup_size: 256
    .name:           _ZN4vllm3moe17topkGatingSoftmaxItLi16ELi32ELi8ELi32ELb1ELi1ELNS0_23SharedExpertScoringFuncE1EEEvPKT_PKbPfiPiS9_iiiiii
    .private_segment_fixed_size: 0
    .sgpr_count:     20
    .sgpr_spill_count: 0
    .symbol:         _ZN4vllm3moe17topkGatingSoftmaxItLi16ELi32ELi8ELi32ELb1ELi1ELNS0_23SharedExpertScoringFuncE1EEEvPKT_PKbPfiPiS9_iiiiii.kd
    .uniform_work_group_size: 1
    .uses_dynamic_stack: false
    .vgpr_count:     53
    .vgpr_spill_count: 0
    .wavefront_size: 32
    .workgroup_processor_mode: 1
  - .args:
      - .address_space:  global
        .offset:         0
        .size:           8
        .value_kind:     global_buffer
      - .address_space:  global
        .offset:         8
        .size:           8
        .value_kind:     global_buffer
      - .address_space:  global
        .offset:         16
        .size:           8
        .value_kind:     global_buffer
      - .offset:         24
        .size:           4
        .value_kind:     by_value
      - .address_space:  global
        .offset:         32
        .size:           8
        .value_kind:     global_buffer
      - .address_space:  global
        .offset:         40
        .size:           8
        .value_kind:     global_buffer
      - .offset:         48
        .size:           4
        .value_kind:     by_value
      - .offset:         52
        .size:           4
        .value_kind:     by_value
      - .offset:         56
        .size:           4
        .value_kind:     by_value
      - .offset:         60
        .size:           4
        .value_kind:     by_value
      - .offset:         64
        .size:           4
        .value_kind:     by_value
      - .offset:         68
        .size:           4
        .value_kind:     by_value
    .group_segment_fixed_size: 0
    .kernarg_segment_align: 8
    .kernarg_segment_size: 72
    .language:       OpenCL C
    .language_version:
      - 2
      - 0
    .max_flat_workgroup_size: 256
    .name:           _ZN4vllm3moe17topkGatingSoftmaxItLi16ELi32ELi8ELi32ELb0ELi1ELNS0_23SharedExpertScoringFuncE1EEEvPKT_PKbPfiPiS9_iiiiii
    .private_segment_fixed_size: 0
    .sgpr_count:     21
    .sgpr_spill_count: 0
    .symbol:         _ZN4vllm3moe17topkGatingSoftmaxItLi16ELi32ELi8ELi32ELb0ELi1ELNS0_23SharedExpertScoringFuncE1EEEvPKT_PKbPfiPiS9_iiiiii.kd
    .uniform_work_group_size: 1
    .uses_dynamic_stack: false
    .vgpr_count:     53
    .vgpr_spill_count: 0
    .wavefront_size: 32
    .workgroup_processor_mode: 1
  - .args:
      - .address_space:  global
        .offset:         0
        .size:           8
        .value_kind:     global_buffer
      - .address_space:  global
        .offset:         8
        .size:           8
        .value_kind:     global_buffer
      - .address_space:  global
        .offset:         16
        .size:           8
        .value_kind:     global_buffer
      - .offset:         24
        .size:           4
        .value_kind:     by_value
      - .address_space:  global
        .offset:         32
        .size:           8
        .value_kind:     global_buffer
      - .address_space:  global
        .offset:         40
        .size:           8
        .value_kind:     global_buffer
      - .offset:         48
        .size:           4
        .value_kind:     by_value
      - .offset:         52
        .size:           4
        .value_kind:     by_value
      - .offset:         56
        .size:           4
        .value_kind:     by_value
      - .offset:         60
        .size:           4
        .value_kind:     by_value
      - .offset:         64
        .size:           4
        .value_kind:     by_value
      - .offset:         68
        .size:           4
        .value_kind:     by_value
    .group_segment_fixed_size: 0
    .kernarg_segment_align: 8
    .kernarg_segment_size: 72
    .language:       OpenCL C
    .language_version:
      - 2
      - 0
    .max_flat_workgroup_size: 256
    .name:           _ZN4vllm3moe17topkGatingSoftmaxItLi16ELi32ELi8ELi32ELb1ELi2ELNS0_23SharedExpertScoringFuncE1EEEvPKT_PKbPfiPiS9_iiiiii
    .private_segment_fixed_size: 0
    .sgpr_count:     20
    .sgpr_spill_count: 0
    .symbol:         _ZN4vllm3moe17topkGatingSoftmaxItLi16ELi32ELi8ELi32ELb1ELi2ELNS0_23SharedExpertScoringFuncE1EEEvPKT_PKbPfiPiS9_iiiiii.kd
    .uniform_work_group_size: 1
    .uses_dynamic_stack: false
    .vgpr_count:     53
    .vgpr_spill_count: 0
    .wavefront_size: 32
    .workgroup_processor_mode: 1
  - .args:
      - .address_space:  global
        .offset:         0
        .size:           8
        .value_kind:     global_buffer
      - .address_space:  global
        .offset:         8
        .size:           8
        .value_kind:     global_buffer
      - .address_space:  global
        .offset:         16
        .size:           8
        .value_kind:     global_buffer
      - .offset:         24
        .size:           4
        .value_kind:     by_value
      - .address_space:  global
        .offset:         32
        .size:           8
        .value_kind:     global_buffer
      - .address_space:  global
        .offset:         40
        .size:           8
        .value_kind:     global_buffer
      - .offset:         48
        .size:           4
        .value_kind:     by_value
      - .offset:         52
        .size:           4
        .value_kind:     by_value
      - .offset:         56
        .size:           4
        .value_kind:     by_value
      - .offset:         60
        .size:           4
        .value_kind:     by_value
      - .offset:         64
        .size:           4
        .value_kind:     by_value
      - .offset:         68
        .size:           4
        .value_kind:     by_value
    .group_segment_fixed_size: 0
    .kernarg_segment_align: 8
    .kernarg_segment_size: 72
    .language:       OpenCL C
    .language_version:
      - 2
      - 0
    .max_flat_workgroup_size: 256
    .name:           _ZN4vllm3moe17topkGatingSoftmaxItLi16ELi32ELi8ELi32ELb0ELi2ELNS0_23SharedExpertScoringFuncE1EEEvPKT_PKbPfiPiS9_iiiiii
    .private_segment_fixed_size: 0
    .sgpr_count:     21
    .sgpr_spill_count: 0
    .symbol:         _ZN4vllm3moe17topkGatingSoftmaxItLi16ELi32ELi8ELi32ELb0ELi2ELNS0_23SharedExpertScoringFuncE1EEEvPKT_PKbPfiPiS9_iiiiii.kd
    .uniform_work_group_size: 1
    .uses_dynamic_stack: false
    .vgpr_count:     53
    .vgpr_spill_count: 0
    .wavefront_size: 32
    .workgroup_processor_mode: 1
  - .args:
      - .address_space:  global
        .offset:         0
        .size:           8
        .value_kind:     global_buffer
      - .address_space:  global
        .offset:         8
        .size:           8
        .value_kind:     global_buffer
      - .address_space:  global
        .offset:         16
        .size:           8
        .value_kind:     global_buffer
      - .offset:         24
        .size:           4
        .value_kind:     by_value
      - .address_space:  global
        .offset:         32
        .size:           8
        .value_kind:     global_buffer
      - .address_space:  global
        .offset:         40
        .size:           8
        .value_kind:     global_buffer
      - .offset:         48
        .size:           4
        .value_kind:     by_value
      - .offset:         52
        .size:           4
        .value_kind:     by_value
      - .offset:         56
        .size:           4
        .value_kind:     by_value
      - .offset:         60
        .size:           4
        .value_kind:     by_value
      - .offset:         64
        .size:           4
        .value_kind:     by_value
      - .offset:         68
        .size:           4
        .value_kind:     by_value
    .group_segment_fixed_size: 0
    .kernarg_segment_align: 8
    .kernarg_segment_size: 72
    .language:       OpenCL C
    .language_version:
      - 2
      - 0
    .max_flat_workgroup_size: 256
    .name:           _ZN4vllm3moe17topkGatingSoftmaxItLi16ELi32ELi8ELi32ELb1ELi4ELNS0_23SharedExpertScoringFuncE1EEEvPKT_PKbPfiPiS9_iiiiii
    .private_segment_fixed_size: 0
    .sgpr_count:     20
    .sgpr_spill_count: 0
    .symbol:         _ZN4vllm3moe17topkGatingSoftmaxItLi16ELi32ELi8ELi32ELb1ELi4ELNS0_23SharedExpertScoringFuncE1EEEvPKT_PKbPfiPiS9_iiiiii.kd
    .uniform_work_group_size: 1
    .uses_dynamic_stack: false
    .vgpr_count:     52
    .vgpr_spill_count: 0
    .wavefront_size: 32
    .workgroup_processor_mode: 1
  - .args:
      - .address_space:  global
        .offset:         0
        .size:           8
        .value_kind:     global_buffer
      - .address_space:  global
        .offset:         8
        .size:           8
        .value_kind:     global_buffer
      - .address_space:  global
        .offset:         16
        .size:           8
        .value_kind:     global_buffer
      - .offset:         24
        .size:           4
        .value_kind:     by_value
      - .address_space:  global
        .offset:         32
        .size:           8
        .value_kind:     global_buffer
      - .address_space:  global
        .offset:         40
        .size:           8
        .value_kind:     global_buffer
      - .offset:         48
        .size:           4
        .value_kind:     by_value
      - .offset:         52
        .size:           4
        .value_kind:     by_value
      - .offset:         56
        .size:           4
        .value_kind:     by_value
      - .offset:         60
        .size:           4
        .value_kind:     by_value
      - .offset:         64
        .size:           4
        .value_kind:     by_value
      - .offset:         68
        .size:           4
        .value_kind:     by_value
    .group_segment_fixed_size: 0
    .kernarg_segment_align: 8
    .kernarg_segment_size: 72
    .language:       OpenCL C
    .language_version:
      - 2
      - 0
    .max_flat_workgroup_size: 256
    .name:           _ZN4vllm3moe17topkGatingSoftmaxItLi16ELi32ELi8ELi32ELb0ELi4ELNS0_23SharedExpertScoringFuncE1EEEvPKT_PKbPfiPiS9_iiiiii
    .private_segment_fixed_size: 0
    .sgpr_count:     21
    .sgpr_spill_count: 0
    .symbol:         _ZN4vllm3moe17topkGatingSoftmaxItLi16ELi32ELi8ELi32ELb0ELi4ELNS0_23SharedExpertScoringFuncE1EEEvPKT_PKbPfiPiS9_iiiiii.kd
    .uniform_work_group_size: 1
    .uses_dynamic_stack: false
    .vgpr_count:     52
    .vgpr_spill_count: 0
    .wavefront_size: 32
    .workgroup_processor_mode: 1
  - .args:
      - .address_space:  global
        .offset:         0
        .size:           8
        .value_kind:     global_buffer
      - .address_space:  global
        .offset:         8
        .size:           8
        .value_kind:     global_buffer
      - .address_space:  global
        .offset:         16
        .size:           8
        .value_kind:     global_buffer
      - .offset:         24
        .size:           4
        .value_kind:     by_value
      - .address_space:  global
        .offset:         32
        .size:           8
        .value_kind:     global_buffer
      - .address_space:  global
        .offset:         40
        .size:           8
        .value_kind:     global_buffer
      - .offset:         48
        .size:           4
        .value_kind:     by_value
      - .offset:         52
        .size:           4
        .value_kind:     by_value
      - .offset:         56
        .size:           4
        .value_kind:     by_value
      - .offset:         60
        .size:           4
        .value_kind:     by_value
      - .offset:         64
        .size:           4
        .value_kind:     by_value
      - .offset:         68
        .size:           4
        .value_kind:     by_value
    .group_segment_fixed_size: 0
    .kernarg_segment_align: 8
    .kernarg_segment_size: 72
    .language:       OpenCL C
    .language_version:
      - 2
      - 0
    .max_flat_workgroup_size: 256
    .name:           _ZN4vllm3moe17topkGatingSoftmaxItLi16ELi32ELi8ELi32ELb1ELi8ELNS0_23SharedExpertScoringFuncE1EEEvPKT_PKbPfiPiS9_iiiiii
    .private_segment_fixed_size: 0
    .sgpr_count:     20
    .sgpr_spill_count: 0
    .symbol:         _ZN4vllm3moe17topkGatingSoftmaxItLi16ELi32ELi8ELi32ELb1ELi8ELNS0_23SharedExpertScoringFuncE1EEEvPKT_PKbPfiPiS9_iiiiii.kd
    .uniform_work_group_size: 1
    .uses_dynamic_stack: false
    .vgpr_count:     52
    .vgpr_spill_count: 0
    .wavefront_size: 32
    .workgroup_processor_mode: 1
  - .args:
      - .address_space:  global
        .offset:         0
        .size:           8
        .value_kind:     global_buffer
      - .address_space:  global
        .offset:         8
        .size:           8
        .value_kind:     global_buffer
      - .address_space:  global
        .offset:         16
        .size:           8
        .value_kind:     global_buffer
      - .offset:         24
        .size:           4
        .value_kind:     by_value
      - .address_space:  global
        .offset:         32
        .size:           8
        .value_kind:     global_buffer
      - .address_space:  global
        .offset:         40
        .size:           8
        .value_kind:     global_buffer
      - .offset:         48
        .size:           4
        .value_kind:     by_value
      - .offset:         52
        .size:           4
        .value_kind:     by_value
      - .offset:         56
        .size:           4
        .value_kind:     by_value
      - .offset:         60
        .size:           4
        .value_kind:     by_value
      - .offset:         64
        .size:           4
        .value_kind:     by_value
      - .offset:         68
        .size:           4
        .value_kind:     by_value
    .group_segment_fixed_size: 0
    .kernarg_segment_align: 8
    .kernarg_segment_size: 72
    .language:       OpenCL C
    .language_version:
      - 2
      - 0
    .max_flat_workgroup_size: 256
    .name:           _ZN4vllm3moe17topkGatingSoftmaxItLi16ELi32ELi8ELi32ELb0ELi8ELNS0_23SharedExpertScoringFuncE1EEEvPKT_PKbPfiPiS9_iiiiii
    .private_segment_fixed_size: 0
    .sgpr_count:     21
    .sgpr_spill_count: 0
    .symbol:         _ZN4vllm3moe17topkGatingSoftmaxItLi16ELi32ELi8ELi32ELb0ELi8ELNS0_23SharedExpertScoringFuncE1EEEvPKT_PKbPfiPiS9_iiiiii.kd
    .uniform_work_group_size: 1
    .uses_dynamic_stack: false
    .vgpr_count:     52
    .vgpr_spill_count: 0
    .wavefront_size: 32
    .workgroup_processor_mode: 1
  - .args:
      - .address_space:  global
        .offset:         0
        .size:           8
        .value_kind:     global_buffer
      - .address_space:  global
        .offset:         8
        .size:           8
        .value_kind:     global_buffer
      - .address_space:  global
        .offset:         16
        .size:           8
        .value_kind:     global_buffer
      - .offset:         24
        .size:           4
        .value_kind:     by_value
      - .address_space:  global
        .offset:         32
        .size:           8
        .value_kind:     global_buffer
      - .address_space:  global
        .offset:         40
        .size:           8
        .value_kind:     global_buffer
      - .offset:         48
        .size:           4
        .value_kind:     by_value
      - .offset:         52
        .size:           4
        .value_kind:     by_value
      - .offset:         56
        .size:           4
        .value_kind:     by_value
      - .offset:         60
        .size:           4
        .value_kind:     by_value
      - .offset:         64
        .size:           4
        .value_kind:     by_value
      - .offset:         68
        .size:           4
        .value_kind:     by_value
    .group_segment_fixed_size: 0
    .kernarg_segment_align: 8
    .kernarg_segment_size: 72
    .language:       OpenCL C
    .language_version:
      - 2
      - 0
    .max_flat_workgroup_size: 256
    .name:           _ZN4vllm3moe17topkGatingSoftmaxItLi16ELi64ELi8ELi32ELb1ELi0ELNS0_23SharedExpertScoringFuncE0EEEvPKT_PKbPfiPiS9_iiiiii
    .private_segment_fixed_size: 0
    .sgpr_count:     21
    .sgpr_spill_count: 0
    .symbol:         _ZN4vllm3moe17topkGatingSoftmaxItLi16ELi64ELi8ELi32ELb1ELi0ELNS0_23SharedExpertScoringFuncE0EEEvPKT_PKbPfiPiS9_iiiiii.kd
    .uniform_work_group_size: 1
    .uses_dynamic_stack: false
    .vgpr_count:     53
    .vgpr_spill_count: 0
    .wavefront_size: 32
    .workgroup_processor_mode: 1
  - .args:
      - .address_space:  global
        .offset:         0
        .size:           8
        .value_kind:     global_buffer
      - .address_space:  global
        .offset:         8
        .size:           8
        .value_kind:     global_buffer
      - .address_space:  global
        .offset:         16
        .size:           8
        .value_kind:     global_buffer
      - .offset:         24
        .size:           4
        .value_kind:     by_value
      - .address_space:  global
        .offset:         32
        .size:           8
        .value_kind:     global_buffer
      - .address_space:  global
        .offset:         40
        .size:           8
        .value_kind:     global_buffer
      - .offset:         48
        .size:           4
        .value_kind:     by_value
      - .offset:         52
        .size:           4
        .value_kind:     by_value
      - .offset:         56
        .size:           4
        .value_kind:     by_value
      - .offset:         60
        .size:           4
        .value_kind:     by_value
      - .offset:         64
        .size:           4
        .value_kind:     by_value
      - .offset:         68
        .size:           4
        .value_kind:     by_value
    .group_segment_fixed_size: 0
    .kernarg_segment_align: 8
    .kernarg_segment_size: 72
    .language:       OpenCL C
    .language_version:
      - 2
      - 0
    .max_flat_workgroup_size: 256
    .name:           _ZN4vllm3moe17topkGatingSoftmaxItLi16ELi64ELi8ELi32ELb0ELi0ELNS0_23SharedExpertScoringFuncE0EEEvPKT_PKbPfiPiS9_iiiiii
    .private_segment_fixed_size: 0
    .sgpr_count:     21
    .sgpr_spill_count: 0
    .symbol:         _ZN4vllm3moe17topkGatingSoftmaxItLi16ELi64ELi8ELi32ELb0ELi0ELNS0_23SharedExpertScoringFuncE0EEEvPKT_PKbPfiPiS9_iiiiii.kd
    .uniform_work_group_size: 1
    .uses_dynamic_stack: false
    .vgpr_count:     53
    .vgpr_spill_count: 0
    .wavefront_size: 32
    .workgroup_processor_mode: 1
  - .args:
      - .address_space:  global
        .offset:         0
        .size:           8
        .value_kind:     global_buffer
      - .address_space:  global
        .offset:         8
        .size:           8
        .value_kind:     global_buffer
      - .address_space:  global
        .offset:         16
        .size:           8
        .value_kind:     global_buffer
      - .offset:         24
        .size:           4
        .value_kind:     by_value
      - .address_space:  global
        .offset:         32
        .size:           8
        .value_kind:     global_buffer
      - .address_space:  global
        .offset:         40
        .size:           8
        .value_kind:     global_buffer
      - .offset:         48
        .size:           4
        .value_kind:     by_value
      - .offset:         52
        .size:           4
        .value_kind:     by_value
      - .offset:         56
        .size:           4
        .value_kind:     by_value
      - .offset:         60
        .size:           4
        .value_kind:     by_value
      - .offset:         64
        .size:           4
        .value_kind:     by_value
      - .offset:         68
        .size:           4
        .value_kind:     by_value
    .group_segment_fixed_size: 0
    .kernarg_segment_align: 8
    .kernarg_segment_size: 72
    .language:       OpenCL C
    .language_version:
      - 2
      - 0
    .max_flat_workgroup_size: 256
    .name:           _ZN4vllm3moe17topkGatingSoftmaxItLi16ELi64ELi8ELi32ELb1ELi1ELNS0_23SharedExpertScoringFuncE1EEEvPKT_PKbPfiPiS9_iiiiii
    .private_segment_fixed_size: 0
    .sgpr_count:     21
    .sgpr_spill_count: 0
    .symbol:         _ZN4vllm3moe17topkGatingSoftmaxItLi16ELi64ELi8ELi32ELb1ELi1ELNS0_23SharedExpertScoringFuncE1EEEvPKT_PKbPfiPiS9_iiiiii.kd
    .uniform_work_group_size: 1
    .uses_dynamic_stack: false
    .vgpr_count:     53
    .vgpr_spill_count: 0
    .wavefront_size: 32
    .workgroup_processor_mode: 1
  - .args:
      - .address_space:  global
        .offset:         0
        .size:           8
        .value_kind:     global_buffer
      - .address_space:  global
        .offset:         8
        .size:           8
        .value_kind:     global_buffer
      - .address_space:  global
        .offset:         16
        .size:           8
        .value_kind:     global_buffer
      - .offset:         24
        .size:           4
        .value_kind:     by_value
      - .address_space:  global
        .offset:         32
        .size:           8
        .value_kind:     global_buffer
      - .address_space:  global
        .offset:         40
        .size:           8
        .value_kind:     global_buffer
      - .offset:         48
        .size:           4
        .value_kind:     by_value
      - .offset:         52
        .size:           4
        .value_kind:     by_value
      - .offset:         56
        .size:           4
        .value_kind:     by_value
      - .offset:         60
        .size:           4
        .value_kind:     by_value
      - .offset:         64
        .size:           4
        .value_kind:     by_value
      - .offset:         68
        .size:           4
        .value_kind:     by_value
    .group_segment_fixed_size: 0
    .kernarg_segment_align: 8
    .kernarg_segment_size: 72
    .language:       OpenCL C
    .language_version:
      - 2
      - 0
    .max_flat_workgroup_size: 256
    .name:           _ZN4vllm3moe17topkGatingSoftmaxItLi16ELi64ELi8ELi32ELb0ELi1ELNS0_23SharedExpertScoringFuncE1EEEvPKT_PKbPfiPiS9_iiiiii
    .private_segment_fixed_size: 0
    .sgpr_count:     21
    .sgpr_spill_count: 0
    .symbol:         _ZN4vllm3moe17topkGatingSoftmaxItLi16ELi64ELi8ELi32ELb0ELi1ELNS0_23SharedExpertScoringFuncE1EEEvPKT_PKbPfiPiS9_iiiiii.kd
    .uniform_work_group_size: 1
    .uses_dynamic_stack: false
    .vgpr_count:     53
    .vgpr_spill_count: 0
    .wavefront_size: 32
    .workgroup_processor_mode: 1
  - .args:
      - .address_space:  global
        .offset:         0
        .size:           8
        .value_kind:     global_buffer
      - .address_space:  global
        .offset:         8
        .size:           8
        .value_kind:     global_buffer
      - .address_space:  global
        .offset:         16
        .size:           8
        .value_kind:     global_buffer
      - .offset:         24
        .size:           4
        .value_kind:     by_value
      - .address_space:  global
        .offset:         32
        .size:           8
        .value_kind:     global_buffer
      - .address_space:  global
        .offset:         40
        .size:           8
        .value_kind:     global_buffer
      - .offset:         48
        .size:           4
        .value_kind:     by_value
      - .offset:         52
        .size:           4
        .value_kind:     by_value
      - .offset:         56
        .size:           4
        .value_kind:     by_value
      - .offset:         60
        .size:           4
        .value_kind:     by_value
      - .offset:         64
        .size:           4
        .value_kind:     by_value
      - .offset:         68
        .size:           4
        .value_kind:     by_value
    .group_segment_fixed_size: 0
    .kernarg_segment_align: 8
    .kernarg_segment_size: 72
    .language:       OpenCL C
    .language_version:
      - 2
      - 0
    .max_flat_workgroup_size: 256
    .name:           _ZN4vllm3moe17topkGatingSoftmaxItLi16ELi64ELi8ELi32ELb1ELi2ELNS0_23SharedExpertScoringFuncE1EEEvPKT_PKbPfiPiS9_iiiiii
    .private_segment_fixed_size: 0
    .sgpr_count:     21
    .sgpr_spill_count: 0
    .symbol:         _ZN4vllm3moe17topkGatingSoftmaxItLi16ELi64ELi8ELi32ELb1ELi2ELNS0_23SharedExpertScoringFuncE1EEEvPKT_PKbPfiPiS9_iiiiii.kd
    .uniform_work_group_size: 1
    .uses_dynamic_stack: false
    .vgpr_count:     53
    .vgpr_spill_count: 0
    .wavefront_size: 32
    .workgroup_processor_mode: 1
  - .args:
      - .address_space:  global
        .offset:         0
        .size:           8
        .value_kind:     global_buffer
      - .address_space:  global
        .offset:         8
        .size:           8
        .value_kind:     global_buffer
      - .address_space:  global
        .offset:         16
        .size:           8
        .value_kind:     global_buffer
      - .offset:         24
        .size:           4
        .value_kind:     by_value
      - .address_space:  global
        .offset:         32
        .size:           8
        .value_kind:     global_buffer
      - .address_space:  global
        .offset:         40
        .size:           8
        .value_kind:     global_buffer
      - .offset:         48
        .size:           4
        .value_kind:     by_value
      - .offset:         52
        .size:           4
        .value_kind:     by_value
      - .offset:         56
        .size:           4
        .value_kind:     by_value
      - .offset:         60
        .size:           4
        .value_kind:     by_value
      - .offset:         64
        .size:           4
        .value_kind:     by_value
      - .offset:         68
        .size:           4
        .value_kind:     by_value
    .group_segment_fixed_size: 0
    .kernarg_segment_align: 8
    .kernarg_segment_size: 72
    .language:       OpenCL C
    .language_version:
      - 2
      - 0
    .max_flat_workgroup_size: 256
    .name:           _ZN4vllm3moe17topkGatingSoftmaxItLi16ELi64ELi8ELi32ELb0ELi2ELNS0_23SharedExpertScoringFuncE1EEEvPKT_PKbPfiPiS9_iiiiii
    .private_segment_fixed_size: 0
    .sgpr_count:     21
    .sgpr_spill_count: 0
    .symbol:         _ZN4vllm3moe17topkGatingSoftmaxItLi16ELi64ELi8ELi32ELb0ELi2ELNS0_23SharedExpertScoringFuncE1EEEvPKT_PKbPfiPiS9_iiiiii.kd
    .uniform_work_group_size: 1
    .uses_dynamic_stack: false
    .vgpr_count:     53
    .vgpr_spill_count: 0
    .wavefront_size: 32
    .workgroup_processor_mode: 1
  - .args:
      - .address_space:  global
        .offset:         0
        .size:           8
        .value_kind:     global_buffer
      - .address_space:  global
        .offset:         8
        .size:           8
        .value_kind:     global_buffer
      - .address_space:  global
        .offset:         16
        .size:           8
        .value_kind:     global_buffer
      - .offset:         24
        .size:           4
        .value_kind:     by_value
      - .address_space:  global
        .offset:         32
        .size:           8
        .value_kind:     global_buffer
      - .address_space:  global
        .offset:         40
        .size:           8
        .value_kind:     global_buffer
      - .offset:         48
        .size:           4
        .value_kind:     by_value
      - .offset:         52
        .size:           4
        .value_kind:     by_value
      - .offset:         56
        .size:           4
        .value_kind:     by_value
      - .offset:         60
        .size:           4
        .value_kind:     by_value
      - .offset:         64
        .size:           4
        .value_kind:     by_value
      - .offset:         68
        .size:           4
        .value_kind:     by_value
    .group_segment_fixed_size: 0
    .kernarg_segment_align: 8
    .kernarg_segment_size: 72
    .language:       OpenCL C
    .language_version:
      - 2
      - 0
    .max_flat_workgroup_size: 256
    .name:           _ZN4vllm3moe17topkGatingSoftmaxItLi16ELi64ELi8ELi32ELb1ELi4ELNS0_23SharedExpertScoringFuncE1EEEvPKT_PKbPfiPiS9_iiiiii
    .private_segment_fixed_size: 0
    .sgpr_count:     21
    .sgpr_spill_count: 0
    .symbol:         _ZN4vllm3moe17topkGatingSoftmaxItLi16ELi64ELi8ELi32ELb1ELi4ELNS0_23SharedExpertScoringFuncE1EEEvPKT_PKbPfiPiS9_iiiiii.kd
    .uniform_work_group_size: 1
    .uses_dynamic_stack: false
    .vgpr_count:     53
    .vgpr_spill_count: 0
    .wavefront_size: 32
    .workgroup_processor_mode: 1
  - .args:
      - .address_space:  global
        .offset:         0
        .size:           8
        .value_kind:     global_buffer
      - .address_space:  global
        .offset:         8
        .size:           8
        .value_kind:     global_buffer
      - .address_space:  global
        .offset:         16
        .size:           8
        .value_kind:     global_buffer
      - .offset:         24
        .size:           4
        .value_kind:     by_value
      - .address_space:  global
        .offset:         32
        .size:           8
        .value_kind:     global_buffer
      - .address_space:  global
        .offset:         40
        .size:           8
        .value_kind:     global_buffer
      - .offset:         48
        .size:           4
        .value_kind:     by_value
      - .offset:         52
        .size:           4
        .value_kind:     by_value
      - .offset:         56
        .size:           4
        .value_kind:     by_value
      - .offset:         60
        .size:           4
        .value_kind:     by_value
      - .offset:         64
        .size:           4
        .value_kind:     by_value
      - .offset:         68
        .size:           4
        .value_kind:     by_value
    .group_segment_fixed_size: 0
    .kernarg_segment_align: 8
    .kernarg_segment_size: 72
    .language:       OpenCL C
    .language_version:
      - 2
      - 0
    .max_flat_workgroup_size: 256
    .name:           _ZN4vllm3moe17topkGatingSoftmaxItLi16ELi64ELi8ELi32ELb0ELi4ELNS0_23SharedExpertScoringFuncE1EEEvPKT_PKbPfiPiS9_iiiiii
    .private_segment_fixed_size: 0
    .sgpr_count:     21
    .sgpr_spill_count: 0
    .symbol:         _ZN4vllm3moe17topkGatingSoftmaxItLi16ELi64ELi8ELi32ELb0ELi4ELNS0_23SharedExpertScoringFuncE1EEEvPKT_PKbPfiPiS9_iiiiii.kd
    .uniform_work_group_size: 1
    .uses_dynamic_stack: false
    .vgpr_count:     53
    .vgpr_spill_count: 0
    .wavefront_size: 32
    .workgroup_processor_mode: 1
  - .args:
      - .address_space:  global
        .offset:         0
        .size:           8
        .value_kind:     global_buffer
      - .address_space:  global
        .offset:         8
        .size:           8
        .value_kind:     global_buffer
      - .address_space:  global
        .offset:         16
        .size:           8
        .value_kind:     global_buffer
      - .offset:         24
        .size:           4
        .value_kind:     by_value
      - .address_space:  global
        .offset:         32
        .size:           8
        .value_kind:     global_buffer
      - .address_space:  global
        .offset:         40
        .size:           8
        .value_kind:     global_buffer
      - .offset:         48
        .size:           4
        .value_kind:     by_value
      - .offset:         52
        .size:           4
        .value_kind:     by_value
      - .offset:         56
        .size:           4
        .value_kind:     by_value
      - .offset:         60
        .size:           4
        .value_kind:     by_value
      - .offset:         64
        .size:           4
        .value_kind:     by_value
      - .offset:         68
        .size:           4
        .value_kind:     by_value
    .group_segment_fixed_size: 0
    .kernarg_segment_align: 8
    .kernarg_segment_size: 72
    .language:       OpenCL C
    .language_version:
      - 2
      - 0
    .max_flat_workgroup_size: 256
    .name:           _ZN4vllm3moe17topkGatingSoftmaxItLi16ELi64ELi8ELi32ELb1ELi8ELNS0_23SharedExpertScoringFuncE1EEEvPKT_PKbPfiPiS9_iiiiii
    .private_segment_fixed_size: 0
    .sgpr_count:     21
    .sgpr_spill_count: 0
    .symbol:         _ZN4vllm3moe17topkGatingSoftmaxItLi16ELi64ELi8ELi32ELb1ELi8ELNS0_23SharedExpertScoringFuncE1EEEvPKT_PKbPfiPiS9_iiiiii.kd
    .uniform_work_group_size: 1
    .uses_dynamic_stack: false
    .vgpr_count:     52
    .vgpr_spill_count: 0
    .wavefront_size: 32
    .workgroup_processor_mode: 1
  - .args:
      - .address_space:  global
        .offset:         0
        .size:           8
        .value_kind:     global_buffer
      - .address_space:  global
        .offset:         8
        .size:           8
        .value_kind:     global_buffer
      - .address_space:  global
        .offset:         16
        .size:           8
        .value_kind:     global_buffer
      - .offset:         24
        .size:           4
        .value_kind:     by_value
      - .address_space:  global
        .offset:         32
        .size:           8
        .value_kind:     global_buffer
      - .address_space:  global
        .offset:         40
        .size:           8
        .value_kind:     global_buffer
      - .offset:         48
        .size:           4
        .value_kind:     by_value
      - .offset:         52
        .size:           4
        .value_kind:     by_value
      - .offset:         56
        .size:           4
        .value_kind:     by_value
      - .offset:         60
        .size:           4
        .value_kind:     by_value
      - .offset:         64
        .size:           4
        .value_kind:     by_value
      - .offset:         68
        .size:           4
        .value_kind:     by_value
    .group_segment_fixed_size: 0
    .kernarg_segment_align: 8
    .kernarg_segment_size: 72
    .language:       OpenCL C
    .language_version:
      - 2
      - 0
    .max_flat_workgroup_size: 256
    .name:           _ZN4vllm3moe17topkGatingSoftmaxItLi16ELi64ELi8ELi32ELb0ELi8ELNS0_23SharedExpertScoringFuncE1EEEvPKT_PKbPfiPiS9_iiiiii
    .private_segment_fixed_size: 0
    .sgpr_count:     21
    .sgpr_spill_count: 0
    .symbol:         _ZN4vllm3moe17topkGatingSoftmaxItLi16ELi64ELi8ELi32ELb0ELi8ELNS0_23SharedExpertScoringFuncE1EEEvPKT_PKbPfiPiS9_iiiiii.kd
    .uniform_work_group_size: 1
    .uses_dynamic_stack: false
    .vgpr_count:     52
    .vgpr_spill_count: 0
    .wavefront_size: 32
    .workgroup_processor_mode: 1
  - .args:
      - .address_space:  global
        .offset:         0
        .size:           8
        .value_kind:     global_buffer
      - .address_space:  global
        .offset:         8
        .size:           8
        .value_kind:     global_buffer
      - .address_space:  global
        .offset:         16
        .size:           8
        .value_kind:     global_buffer
      - .offset:         24
        .size:           4
        .value_kind:     by_value
      - .address_space:  global
        .offset:         32
        .size:           8
        .value_kind:     global_buffer
      - .address_space:  global
        .offset:         40
        .size:           8
        .value_kind:     global_buffer
      - .offset:         48
        .size:           4
        .value_kind:     by_value
      - .offset:         52
        .size:           4
        .value_kind:     by_value
      - .offset:         56
        .size:           4
        .value_kind:     by_value
      - .offset:         60
        .size:           4
        .value_kind:     by_value
      - .offset:         64
        .size:           4
        .value_kind:     by_value
      - .offset:         68
        .size:           4
        .value_kind:     by_value
    .group_segment_fixed_size: 0
    .kernarg_segment_align: 8
    .kernarg_segment_size: 72
    .language:       OpenCL C
    .language_version:
      - 2
      - 0
    .max_flat_workgroup_size: 256
    .name:           _ZN4vllm3moe17topkGatingSoftmaxItLi16ELi128ELi8ELi32ELb1ELi0ELNS0_23SharedExpertScoringFuncE0EEEvPKT_PKbPfiPiS9_iiiiii
    .private_segment_fixed_size: 0
    .sgpr_count:     21
    .sgpr_spill_count: 0
    .symbol:         _ZN4vllm3moe17topkGatingSoftmaxItLi16ELi128ELi8ELi32ELb1ELi0ELNS0_23SharedExpertScoringFuncE0EEEvPKT_PKbPfiPiS9_iiiiii.kd
    .uniform_work_group_size: 1
    .uses_dynamic_stack: false
    .vgpr_count:     53
    .vgpr_spill_count: 0
    .wavefront_size: 32
    .workgroup_processor_mode: 1
  - .args:
      - .address_space:  global
        .offset:         0
        .size:           8
        .value_kind:     global_buffer
      - .address_space:  global
        .offset:         8
        .size:           8
        .value_kind:     global_buffer
      - .address_space:  global
        .offset:         16
        .size:           8
        .value_kind:     global_buffer
      - .offset:         24
        .size:           4
        .value_kind:     by_value
      - .address_space:  global
        .offset:         32
        .size:           8
        .value_kind:     global_buffer
      - .address_space:  global
        .offset:         40
        .size:           8
        .value_kind:     global_buffer
      - .offset:         48
        .size:           4
        .value_kind:     by_value
      - .offset:         52
        .size:           4
        .value_kind:     by_value
      - .offset:         56
        .size:           4
        .value_kind:     by_value
      - .offset:         60
        .size:           4
        .value_kind:     by_value
      - .offset:         64
        .size:           4
        .value_kind:     by_value
      - .offset:         68
        .size:           4
        .value_kind:     by_value
    .group_segment_fixed_size: 0
    .kernarg_segment_align: 8
    .kernarg_segment_size: 72
    .language:       OpenCL C
    .language_version:
      - 2
      - 0
    .max_flat_workgroup_size: 256
    .name:           _ZN4vllm3moe17topkGatingSoftmaxItLi16ELi128ELi8ELi32ELb0ELi0ELNS0_23SharedExpertScoringFuncE0EEEvPKT_PKbPfiPiS9_iiiiii
    .private_segment_fixed_size: 0
    .sgpr_count:     21
    .sgpr_spill_count: 0
    .symbol:         _ZN4vllm3moe17topkGatingSoftmaxItLi16ELi128ELi8ELi32ELb0ELi0ELNS0_23SharedExpertScoringFuncE0EEEvPKT_PKbPfiPiS9_iiiiii.kd
    .uniform_work_group_size: 1
    .uses_dynamic_stack: false
    .vgpr_count:     53
    .vgpr_spill_count: 0
    .wavefront_size: 32
    .workgroup_processor_mode: 1
  - .args:
      - .address_space:  global
        .offset:         0
        .size:           8
        .value_kind:     global_buffer
      - .address_space:  global
        .offset:         8
        .size:           8
        .value_kind:     global_buffer
      - .address_space:  global
        .offset:         16
        .size:           8
        .value_kind:     global_buffer
      - .offset:         24
        .size:           4
        .value_kind:     by_value
      - .address_space:  global
        .offset:         32
        .size:           8
        .value_kind:     global_buffer
      - .address_space:  global
        .offset:         40
        .size:           8
        .value_kind:     global_buffer
      - .offset:         48
        .size:           4
        .value_kind:     by_value
      - .offset:         52
        .size:           4
        .value_kind:     by_value
      - .offset:         56
        .size:           4
        .value_kind:     by_value
      - .offset:         60
        .size:           4
        .value_kind:     by_value
      - .offset:         64
        .size:           4
        .value_kind:     by_value
      - .offset:         68
        .size:           4
        .value_kind:     by_value
    .group_segment_fixed_size: 0
    .kernarg_segment_align: 8
    .kernarg_segment_size: 72
    .language:       OpenCL C
    .language_version:
      - 2
      - 0
    .max_flat_workgroup_size: 256
    .name:           _ZN4vllm3moe17topkGatingSoftmaxItLi16ELi128ELi8ELi32ELb1ELi1ELNS0_23SharedExpertScoringFuncE1EEEvPKT_PKbPfiPiS9_iiiiii
    .private_segment_fixed_size: 0
    .sgpr_count:     21
    .sgpr_spill_count: 0
    .symbol:         _ZN4vllm3moe17topkGatingSoftmaxItLi16ELi128ELi8ELi32ELb1ELi1ELNS0_23SharedExpertScoringFuncE1EEEvPKT_PKbPfiPiS9_iiiiii.kd
    .uniform_work_group_size: 1
    .uses_dynamic_stack: false
    .vgpr_count:     53
    .vgpr_spill_count: 0
    .wavefront_size: 32
    .workgroup_processor_mode: 1
  - .args:
      - .address_space:  global
        .offset:         0
        .size:           8
        .value_kind:     global_buffer
      - .address_space:  global
        .offset:         8
        .size:           8
        .value_kind:     global_buffer
      - .address_space:  global
        .offset:         16
        .size:           8
        .value_kind:     global_buffer
      - .offset:         24
        .size:           4
        .value_kind:     by_value
      - .address_space:  global
        .offset:         32
        .size:           8
        .value_kind:     global_buffer
      - .address_space:  global
        .offset:         40
        .size:           8
        .value_kind:     global_buffer
      - .offset:         48
        .size:           4
        .value_kind:     by_value
      - .offset:         52
        .size:           4
        .value_kind:     by_value
      - .offset:         56
        .size:           4
        .value_kind:     by_value
      - .offset:         60
        .size:           4
        .value_kind:     by_value
      - .offset:         64
        .size:           4
        .value_kind:     by_value
      - .offset:         68
        .size:           4
        .value_kind:     by_value
    .group_segment_fixed_size: 0
    .kernarg_segment_align: 8
    .kernarg_segment_size: 72
    .language:       OpenCL C
    .language_version:
      - 2
      - 0
    .max_flat_workgroup_size: 256
    .name:           _ZN4vllm3moe17topkGatingSoftmaxItLi16ELi128ELi8ELi32ELb0ELi1ELNS0_23SharedExpertScoringFuncE1EEEvPKT_PKbPfiPiS9_iiiiii
    .private_segment_fixed_size: 0
    .sgpr_count:     21
    .sgpr_spill_count: 0
    .symbol:         _ZN4vllm3moe17topkGatingSoftmaxItLi16ELi128ELi8ELi32ELb0ELi1ELNS0_23SharedExpertScoringFuncE1EEEvPKT_PKbPfiPiS9_iiiiii.kd
    .uniform_work_group_size: 1
    .uses_dynamic_stack: false
    .vgpr_count:     53
    .vgpr_spill_count: 0
    .wavefront_size: 32
    .workgroup_processor_mode: 1
  - .args:
      - .address_space:  global
        .offset:         0
        .size:           8
        .value_kind:     global_buffer
      - .address_space:  global
        .offset:         8
        .size:           8
        .value_kind:     global_buffer
      - .address_space:  global
        .offset:         16
        .size:           8
        .value_kind:     global_buffer
      - .offset:         24
        .size:           4
        .value_kind:     by_value
      - .address_space:  global
        .offset:         32
        .size:           8
        .value_kind:     global_buffer
      - .address_space:  global
        .offset:         40
        .size:           8
        .value_kind:     global_buffer
      - .offset:         48
        .size:           4
        .value_kind:     by_value
      - .offset:         52
        .size:           4
        .value_kind:     by_value
      - .offset:         56
        .size:           4
        .value_kind:     by_value
      - .offset:         60
        .size:           4
        .value_kind:     by_value
      - .offset:         64
        .size:           4
        .value_kind:     by_value
      - .offset:         68
        .size:           4
        .value_kind:     by_value
    .group_segment_fixed_size: 0
    .kernarg_segment_align: 8
    .kernarg_segment_size: 72
    .language:       OpenCL C
    .language_version:
      - 2
      - 0
    .max_flat_workgroup_size: 256
    .name:           _ZN4vllm3moe17topkGatingSoftmaxItLi16ELi128ELi8ELi32ELb1ELi2ELNS0_23SharedExpertScoringFuncE1EEEvPKT_PKbPfiPiS9_iiiiii
    .private_segment_fixed_size: 0
    .sgpr_count:     21
    .sgpr_spill_count: 0
    .symbol:         _ZN4vllm3moe17topkGatingSoftmaxItLi16ELi128ELi8ELi32ELb1ELi2ELNS0_23SharedExpertScoringFuncE1EEEvPKT_PKbPfiPiS9_iiiiii.kd
    .uniform_work_group_size: 1
    .uses_dynamic_stack: false
    .vgpr_count:     53
    .vgpr_spill_count: 0
    .wavefront_size: 32
    .workgroup_processor_mode: 1
  - .args:
      - .address_space:  global
        .offset:         0
        .size:           8
        .value_kind:     global_buffer
      - .address_space:  global
        .offset:         8
        .size:           8
        .value_kind:     global_buffer
      - .address_space:  global
        .offset:         16
        .size:           8
        .value_kind:     global_buffer
      - .offset:         24
        .size:           4
        .value_kind:     by_value
      - .address_space:  global
        .offset:         32
        .size:           8
        .value_kind:     global_buffer
      - .address_space:  global
        .offset:         40
        .size:           8
        .value_kind:     global_buffer
      - .offset:         48
        .size:           4
        .value_kind:     by_value
      - .offset:         52
        .size:           4
        .value_kind:     by_value
      - .offset:         56
        .size:           4
        .value_kind:     by_value
      - .offset:         60
        .size:           4
        .value_kind:     by_value
      - .offset:         64
        .size:           4
        .value_kind:     by_value
      - .offset:         68
        .size:           4
        .value_kind:     by_value
    .group_segment_fixed_size: 0
    .kernarg_segment_align: 8
    .kernarg_segment_size: 72
    .language:       OpenCL C
    .language_version:
      - 2
      - 0
    .max_flat_workgroup_size: 256
    .name:           _ZN4vllm3moe17topkGatingSoftmaxItLi16ELi128ELi8ELi32ELb0ELi2ELNS0_23SharedExpertScoringFuncE1EEEvPKT_PKbPfiPiS9_iiiiii
    .private_segment_fixed_size: 0
    .sgpr_count:     21
    .sgpr_spill_count: 0
    .symbol:         _ZN4vllm3moe17topkGatingSoftmaxItLi16ELi128ELi8ELi32ELb0ELi2ELNS0_23SharedExpertScoringFuncE1EEEvPKT_PKbPfiPiS9_iiiiii.kd
    .uniform_work_group_size: 1
    .uses_dynamic_stack: false
    .vgpr_count:     53
    .vgpr_spill_count: 0
    .wavefront_size: 32
    .workgroup_processor_mode: 1
  - .args:
      - .address_space:  global
        .offset:         0
        .size:           8
        .value_kind:     global_buffer
      - .address_space:  global
        .offset:         8
        .size:           8
        .value_kind:     global_buffer
      - .address_space:  global
        .offset:         16
        .size:           8
        .value_kind:     global_buffer
      - .offset:         24
        .size:           4
        .value_kind:     by_value
      - .address_space:  global
        .offset:         32
        .size:           8
        .value_kind:     global_buffer
      - .address_space:  global
        .offset:         40
        .size:           8
        .value_kind:     global_buffer
      - .offset:         48
        .size:           4
        .value_kind:     by_value
      - .offset:         52
        .size:           4
        .value_kind:     by_value
      - .offset:         56
        .size:           4
        .value_kind:     by_value
      - .offset:         60
        .size:           4
        .value_kind:     by_value
      - .offset:         64
        .size:           4
        .value_kind:     by_value
      - .offset:         68
        .size:           4
        .value_kind:     by_value
    .group_segment_fixed_size: 0
    .kernarg_segment_align: 8
    .kernarg_segment_size: 72
    .language:       OpenCL C
    .language_version:
      - 2
      - 0
    .max_flat_workgroup_size: 256
    .name:           _ZN4vllm3moe17topkGatingSoftmaxItLi16ELi128ELi8ELi32ELb1ELi4ELNS0_23SharedExpertScoringFuncE1EEEvPKT_PKbPfiPiS9_iiiiii
    .private_segment_fixed_size: 0
    .sgpr_count:     21
    .sgpr_spill_count: 0
    .symbol:         _ZN4vllm3moe17topkGatingSoftmaxItLi16ELi128ELi8ELi32ELb1ELi4ELNS0_23SharedExpertScoringFuncE1EEEvPKT_PKbPfiPiS9_iiiiii.kd
    .uniform_work_group_size: 1
    .uses_dynamic_stack: false
    .vgpr_count:     53
    .vgpr_spill_count: 0
    .wavefront_size: 32
    .workgroup_processor_mode: 1
  - .args:
      - .address_space:  global
        .offset:         0
        .size:           8
        .value_kind:     global_buffer
      - .address_space:  global
        .offset:         8
        .size:           8
        .value_kind:     global_buffer
      - .address_space:  global
        .offset:         16
        .size:           8
        .value_kind:     global_buffer
      - .offset:         24
        .size:           4
        .value_kind:     by_value
      - .address_space:  global
        .offset:         32
        .size:           8
        .value_kind:     global_buffer
      - .address_space:  global
        .offset:         40
        .size:           8
        .value_kind:     global_buffer
      - .offset:         48
        .size:           4
        .value_kind:     by_value
      - .offset:         52
        .size:           4
        .value_kind:     by_value
      - .offset:         56
        .size:           4
        .value_kind:     by_value
      - .offset:         60
        .size:           4
        .value_kind:     by_value
      - .offset:         64
        .size:           4
        .value_kind:     by_value
      - .offset:         68
        .size:           4
        .value_kind:     by_value
    .group_segment_fixed_size: 0
    .kernarg_segment_align: 8
    .kernarg_segment_size: 72
    .language:       OpenCL C
    .language_version:
      - 2
      - 0
    .max_flat_workgroup_size: 256
    .name:           _ZN4vllm3moe17topkGatingSoftmaxItLi16ELi128ELi8ELi32ELb0ELi4ELNS0_23SharedExpertScoringFuncE1EEEvPKT_PKbPfiPiS9_iiiiii
    .private_segment_fixed_size: 0
    .sgpr_count:     21
    .sgpr_spill_count: 0
    .symbol:         _ZN4vllm3moe17topkGatingSoftmaxItLi16ELi128ELi8ELi32ELb0ELi4ELNS0_23SharedExpertScoringFuncE1EEEvPKT_PKbPfiPiS9_iiiiii.kd
    .uniform_work_group_size: 1
    .uses_dynamic_stack: false
    .vgpr_count:     53
    .vgpr_spill_count: 0
    .wavefront_size: 32
    .workgroup_processor_mode: 1
  - .args:
      - .address_space:  global
        .offset:         0
        .size:           8
        .value_kind:     global_buffer
      - .address_space:  global
        .offset:         8
        .size:           8
        .value_kind:     global_buffer
      - .address_space:  global
        .offset:         16
        .size:           8
        .value_kind:     global_buffer
      - .offset:         24
        .size:           4
        .value_kind:     by_value
      - .address_space:  global
        .offset:         32
        .size:           8
        .value_kind:     global_buffer
      - .address_space:  global
        .offset:         40
        .size:           8
        .value_kind:     global_buffer
      - .offset:         48
        .size:           4
        .value_kind:     by_value
      - .offset:         52
        .size:           4
        .value_kind:     by_value
      - .offset:         56
        .size:           4
        .value_kind:     by_value
      - .offset:         60
        .size:           4
        .value_kind:     by_value
      - .offset:         64
        .size:           4
        .value_kind:     by_value
      - .offset:         68
        .size:           4
        .value_kind:     by_value
    .group_segment_fixed_size: 0
    .kernarg_segment_align: 8
    .kernarg_segment_size: 72
    .language:       OpenCL C
    .language_version:
      - 2
      - 0
    .max_flat_workgroup_size: 256
    .name:           _ZN4vllm3moe17topkGatingSoftmaxItLi16ELi128ELi8ELi32ELb1ELi8ELNS0_23SharedExpertScoringFuncE1EEEvPKT_PKbPfiPiS9_iiiiii
    .private_segment_fixed_size: 0
    .sgpr_count:     21
    .sgpr_spill_count: 0
    .symbol:         _ZN4vllm3moe17topkGatingSoftmaxItLi16ELi128ELi8ELi32ELb1ELi8ELNS0_23SharedExpertScoringFuncE1EEEvPKT_PKbPfiPiS9_iiiiii.kd
    .uniform_work_group_size: 1
    .uses_dynamic_stack: false
    .vgpr_count:     53
    .vgpr_spill_count: 0
    .wavefront_size: 32
    .workgroup_processor_mode: 1
  - .args:
      - .address_space:  global
        .offset:         0
        .size:           8
        .value_kind:     global_buffer
      - .address_space:  global
        .offset:         8
        .size:           8
        .value_kind:     global_buffer
      - .address_space:  global
        .offset:         16
        .size:           8
        .value_kind:     global_buffer
      - .offset:         24
        .size:           4
        .value_kind:     by_value
      - .address_space:  global
        .offset:         32
        .size:           8
        .value_kind:     global_buffer
      - .address_space:  global
        .offset:         40
        .size:           8
        .value_kind:     global_buffer
      - .offset:         48
        .size:           4
        .value_kind:     by_value
      - .offset:         52
        .size:           4
        .value_kind:     by_value
      - .offset:         56
        .size:           4
        .value_kind:     by_value
      - .offset:         60
        .size:           4
        .value_kind:     by_value
      - .offset:         64
        .size:           4
        .value_kind:     by_value
      - .offset:         68
        .size:           4
        .value_kind:     by_value
    .group_segment_fixed_size: 0
    .kernarg_segment_align: 8
    .kernarg_segment_size: 72
    .language:       OpenCL C
    .language_version:
      - 2
      - 0
    .max_flat_workgroup_size: 256
    .name:           _ZN4vllm3moe17topkGatingSoftmaxItLi16ELi128ELi8ELi32ELb0ELi8ELNS0_23SharedExpertScoringFuncE1EEEvPKT_PKbPfiPiS9_iiiiii
    .private_segment_fixed_size: 0
    .sgpr_count:     21
    .sgpr_spill_count: 0
    .symbol:         _ZN4vllm3moe17topkGatingSoftmaxItLi16ELi128ELi8ELi32ELb0ELi8ELNS0_23SharedExpertScoringFuncE1EEEvPKT_PKbPfiPiS9_iiiiii.kd
    .uniform_work_group_size: 1
    .uses_dynamic_stack: false
    .vgpr_count:     53
    .vgpr_spill_count: 0
    .wavefront_size: 32
    .workgroup_processor_mode: 1
  - .args:
      - .address_space:  global
        .offset:         0
        .size:           8
        .value_kind:     global_buffer
      - .address_space:  global
        .offset:         8
        .size:           8
        .value_kind:     global_buffer
      - .address_space:  global
        .offset:         16
        .size:           8
        .value_kind:     global_buffer
      - .offset:         24
        .size:           4
        .value_kind:     by_value
      - .address_space:  global
        .offset:         32
        .size:           8
        .value_kind:     global_buffer
      - .address_space:  global
        .offset:         40
        .size:           8
        .value_kind:     global_buffer
      - .offset:         48
        .size:           4
        .value_kind:     by_value
      - .offset:         52
        .size:           4
        .value_kind:     by_value
      - .offset:         56
        .size:           4
        .value_kind:     by_value
      - .offset:         60
        .size:           4
        .value_kind:     by_value
      - .offset:         64
        .size:           4
        .value_kind:     by_value
      - .offset:         68
        .size:           4
        .value_kind:     by_value
    .group_segment_fixed_size: 0
    .kernarg_segment_align: 8
    .kernarg_segment_size: 72
    .language:       OpenCL C
    .language_version:
      - 2
      - 0
    .max_flat_workgroup_size: 256
    .name:           _ZN4vllm3moe17topkGatingSoftmaxItLi16ELi256ELi8ELi32ELb1ELi0ELNS0_23SharedExpertScoringFuncE0EEEvPKT_PKbPfiPiS9_iiiiii
    .private_segment_fixed_size: 0
    .sgpr_count:     21
    .sgpr_spill_count: 0
    .symbol:         _ZN4vllm3moe17topkGatingSoftmaxItLi16ELi256ELi8ELi32ELb1ELi0ELNS0_23SharedExpertScoringFuncE0EEEvPKT_PKbPfiPiS9_iiiiii.kd
    .uniform_work_group_size: 1
    .uses_dynamic_stack: false
    .vgpr_count:     53
    .vgpr_spill_count: 0
    .wavefront_size: 32
    .workgroup_processor_mode: 1
  - .args:
      - .address_space:  global
        .offset:         0
        .size:           8
        .value_kind:     global_buffer
      - .address_space:  global
        .offset:         8
        .size:           8
        .value_kind:     global_buffer
      - .address_space:  global
        .offset:         16
        .size:           8
        .value_kind:     global_buffer
      - .offset:         24
        .size:           4
        .value_kind:     by_value
      - .address_space:  global
        .offset:         32
        .size:           8
        .value_kind:     global_buffer
      - .address_space:  global
        .offset:         40
        .size:           8
        .value_kind:     global_buffer
      - .offset:         48
        .size:           4
        .value_kind:     by_value
      - .offset:         52
        .size:           4
        .value_kind:     by_value
      - .offset:         56
        .size:           4
        .value_kind:     by_value
      - .offset:         60
        .size:           4
        .value_kind:     by_value
      - .offset:         64
        .size:           4
        .value_kind:     by_value
      - .offset:         68
        .size:           4
        .value_kind:     by_value
    .group_segment_fixed_size: 0
    .kernarg_segment_align: 8
    .kernarg_segment_size: 72
    .language:       OpenCL C
    .language_version:
      - 2
      - 0
    .max_flat_workgroup_size: 256
    .name:           _ZN4vllm3moe17topkGatingSoftmaxItLi16ELi256ELi8ELi32ELb0ELi0ELNS0_23SharedExpertScoringFuncE0EEEvPKT_PKbPfiPiS9_iiiiii
    .private_segment_fixed_size: 0
    .sgpr_count:     21
    .sgpr_spill_count: 0
    .symbol:         _ZN4vllm3moe17topkGatingSoftmaxItLi16ELi256ELi8ELi32ELb0ELi0ELNS0_23SharedExpertScoringFuncE0EEEvPKT_PKbPfiPiS9_iiiiii.kd
    .uniform_work_group_size: 1
    .uses_dynamic_stack: false
    .vgpr_count:     53
    .vgpr_spill_count: 0
    .wavefront_size: 32
    .workgroup_processor_mode: 1
  - .args:
      - .address_space:  global
        .offset:         0
        .size:           8
        .value_kind:     global_buffer
      - .address_space:  global
        .offset:         8
        .size:           8
        .value_kind:     global_buffer
      - .address_space:  global
        .offset:         16
        .size:           8
        .value_kind:     global_buffer
      - .offset:         24
        .size:           4
        .value_kind:     by_value
      - .address_space:  global
        .offset:         32
        .size:           8
        .value_kind:     global_buffer
      - .address_space:  global
        .offset:         40
        .size:           8
        .value_kind:     global_buffer
      - .offset:         48
        .size:           4
        .value_kind:     by_value
      - .offset:         52
        .size:           4
        .value_kind:     by_value
      - .offset:         56
        .size:           4
        .value_kind:     by_value
      - .offset:         60
        .size:           4
        .value_kind:     by_value
      - .offset:         64
        .size:           4
        .value_kind:     by_value
      - .offset:         68
        .size:           4
        .value_kind:     by_value
    .group_segment_fixed_size: 0
    .kernarg_segment_align: 8
    .kernarg_segment_size: 72
    .language:       OpenCL C
    .language_version:
      - 2
      - 0
    .max_flat_workgroup_size: 256
    .name:           _ZN4vllm3moe17topkGatingSoftmaxItLi16ELi256ELi8ELi32ELb1ELi1ELNS0_23SharedExpertScoringFuncE1EEEvPKT_PKbPfiPiS9_iiiiii
    .private_segment_fixed_size: 0
    .sgpr_count:     21
    .sgpr_spill_count: 0
    .symbol:         _ZN4vllm3moe17topkGatingSoftmaxItLi16ELi256ELi8ELi32ELb1ELi1ELNS0_23SharedExpertScoringFuncE1EEEvPKT_PKbPfiPiS9_iiiiii.kd
    .uniform_work_group_size: 1
    .uses_dynamic_stack: false
    .vgpr_count:     53
    .vgpr_spill_count: 0
    .wavefront_size: 32
    .workgroup_processor_mode: 1
  - .args:
      - .address_space:  global
        .offset:         0
        .size:           8
        .value_kind:     global_buffer
      - .address_space:  global
        .offset:         8
        .size:           8
        .value_kind:     global_buffer
      - .address_space:  global
        .offset:         16
        .size:           8
        .value_kind:     global_buffer
      - .offset:         24
        .size:           4
        .value_kind:     by_value
      - .address_space:  global
        .offset:         32
        .size:           8
        .value_kind:     global_buffer
      - .address_space:  global
        .offset:         40
        .size:           8
        .value_kind:     global_buffer
      - .offset:         48
        .size:           4
        .value_kind:     by_value
      - .offset:         52
        .size:           4
        .value_kind:     by_value
      - .offset:         56
        .size:           4
        .value_kind:     by_value
      - .offset:         60
        .size:           4
        .value_kind:     by_value
      - .offset:         64
        .size:           4
        .value_kind:     by_value
      - .offset:         68
        .size:           4
        .value_kind:     by_value
    .group_segment_fixed_size: 0
    .kernarg_segment_align: 8
    .kernarg_segment_size: 72
    .language:       OpenCL C
    .language_version:
      - 2
      - 0
    .max_flat_workgroup_size: 256
    .name:           _ZN4vllm3moe17topkGatingSoftmaxItLi16ELi256ELi8ELi32ELb0ELi1ELNS0_23SharedExpertScoringFuncE1EEEvPKT_PKbPfiPiS9_iiiiii
    .private_segment_fixed_size: 0
    .sgpr_count:     21
    .sgpr_spill_count: 0
    .symbol:         _ZN4vllm3moe17topkGatingSoftmaxItLi16ELi256ELi8ELi32ELb0ELi1ELNS0_23SharedExpertScoringFuncE1EEEvPKT_PKbPfiPiS9_iiiiii.kd
    .uniform_work_group_size: 1
    .uses_dynamic_stack: false
    .vgpr_count:     53
    .vgpr_spill_count: 0
    .wavefront_size: 32
    .workgroup_processor_mode: 1
  - .args:
      - .address_space:  global
        .offset:         0
        .size:           8
        .value_kind:     global_buffer
      - .address_space:  global
        .offset:         8
        .size:           8
        .value_kind:     global_buffer
      - .address_space:  global
        .offset:         16
        .size:           8
        .value_kind:     global_buffer
      - .offset:         24
        .size:           4
        .value_kind:     by_value
      - .address_space:  global
        .offset:         32
        .size:           8
        .value_kind:     global_buffer
      - .address_space:  global
        .offset:         40
        .size:           8
        .value_kind:     global_buffer
      - .offset:         48
        .size:           4
        .value_kind:     by_value
      - .offset:         52
        .size:           4
        .value_kind:     by_value
      - .offset:         56
        .size:           4
        .value_kind:     by_value
      - .offset:         60
        .size:           4
        .value_kind:     by_value
      - .offset:         64
        .size:           4
        .value_kind:     by_value
      - .offset:         68
        .size:           4
        .value_kind:     by_value
    .group_segment_fixed_size: 0
    .kernarg_segment_align: 8
    .kernarg_segment_size: 72
    .language:       OpenCL C
    .language_version:
      - 2
      - 0
    .max_flat_workgroup_size: 256
    .name:           _ZN4vllm3moe17topkGatingSoftmaxItLi16ELi256ELi8ELi32ELb1ELi2ELNS0_23SharedExpertScoringFuncE1EEEvPKT_PKbPfiPiS9_iiiiii
    .private_segment_fixed_size: 0
    .sgpr_count:     21
    .sgpr_spill_count: 0
    .symbol:         _ZN4vllm3moe17topkGatingSoftmaxItLi16ELi256ELi8ELi32ELb1ELi2ELNS0_23SharedExpertScoringFuncE1EEEvPKT_PKbPfiPiS9_iiiiii.kd
    .uniform_work_group_size: 1
    .uses_dynamic_stack: false
    .vgpr_count:     53
    .vgpr_spill_count: 0
    .wavefront_size: 32
    .workgroup_processor_mode: 1
  - .args:
      - .address_space:  global
        .offset:         0
        .size:           8
        .value_kind:     global_buffer
      - .address_space:  global
        .offset:         8
        .size:           8
        .value_kind:     global_buffer
      - .address_space:  global
        .offset:         16
        .size:           8
        .value_kind:     global_buffer
      - .offset:         24
        .size:           4
        .value_kind:     by_value
      - .address_space:  global
        .offset:         32
        .size:           8
        .value_kind:     global_buffer
      - .address_space:  global
        .offset:         40
        .size:           8
        .value_kind:     global_buffer
      - .offset:         48
        .size:           4
        .value_kind:     by_value
      - .offset:         52
        .size:           4
        .value_kind:     by_value
      - .offset:         56
        .size:           4
        .value_kind:     by_value
      - .offset:         60
        .size:           4
        .value_kind:     by_value
      - .offset:         64
        .size:           4
        .value_kind:     by_value
      - .offset:         68
        .size:           4
        .value_kind:     by_value
    .group_segment_fixed_size: 0
    .kernarg_segment_align: 8
    .kernarg_segment_size: 72
    .language:       OpenCL C
    .language_version:
      - 2
      - 0
    .max_flat_workgroup_size: 256
    .name:           _ZN4vllm3moe17topkGatingSoftmaxItLi16ELi256ELi8ELi32ELb0ELi2ELNS0_23SharedExpertScoringFuncE1EEEvPKT_PKbPfiPiS9_iiiiii
    .private_segment_fixed_size: 0
    .sgpr_count:     21
    .sgpr_spill_count: 0
    .symbol:         _ZN4vllm3moe17topkGatingSoftmaxItLi16ELi256ELi8ELi32ELb0ELi2ELNS0_23SharedExpertScoringFuncE1EEEvPKT_PKbPfiPiS9_iiiiii.kd
    .uniform_work_group_size: 1
    .uses_dynamic_stack: false
    .vgpr_count:     53
    .vgpr_spill_count: 0
    .wavefront_size: 32
    .workgroup_processor_mode: 1
  - .args:
      - .address_space:  global
        .offset:         0
        .size:           8
        .value_kind:     global_buffer
      - .address_space:  global
        .offset:         8
        .size:           8
        .value_kind:     global_buffer
      - .address_space:  global
        .offset:         16
        .size:           8
        .value_kind:     global_buffer
      - .offset:         24
        .size:           4
        .value_kind:     by_value
      - .address_space:  global
        .offset:         32
        .size:           8
        .value_kind:     global_buffer
      - .address_space:  global
        .offset:         40
        .size:           8
        .value_kind:     global_buffer
      - .offset:         48
        .size:           4
        .value_kind:     by_value
      - .offset:         52
        .size:           4
        .value_kind:     by_value
      - .offset:         56
        .size:           4
        .value_kind:     by_value
      - .offset:         60
        .size:           4
        .value_kind:     by_value
      - .offset:         64
        .size:           4
        .value_kind:     by_value
      - .offset:         68
        .size:           4
        .value_kind:     by_value
    .group_segment_fixed_size: 0
    .kernarg_segment_align: 8
    .kernarg_segment_size: 72
    .language:       OpenCL C
    .language_version:
      - 2
      - 0
    .max_flat_workgroup_size: 256
    .name:           _ZN4vllm3moe17topkGatingSoftmaxItLi16ELi256ELi8ELi32ELb1ELi4ELNS0_23SharedExpertScoringFuncE1EEEvPKT_PKbPfiPiS9_iiiiii
    .private_segment_fixed_size: 0
    .sgpr_count:     21
    .sgpr_spill_count: 0
    .symbol:         _ZN4vllm3moe17topkGatingSoftmaxItLi16ELi256ELi8ELi32ELb1ELi4ELNS0_23SharedExpertScoringFuncE1EEEvPKT_PKbPfiPiS9_iiiiii.kd
    .uniform_work_group_size: 1
    .uses_dynamic_stack: false
    .vgpr_count:     53
    .vgpr_spill_count: 0
    .wavefront_size: 32
    .workgroup_processor_mode: 1
  - .args:
      - .address_space:  global
        .offset:         0
        .size:           8
        .value_kind:     global_buffer
      - .address_space:  global
        .offset:         8
        .size:           8
        .value_kind:     global_buffer
      - .address_space:  global
        .offset:         16
        .size:           8
        .value_kind:     global_buffer
      - .offset:         24
        .size:           4
        .value_kind:     by_value
      - .address_space:  global
        .offset:         32
        .size:           8
        .value_kind:     global_buffer
      - .address_space:  global
        .offset:         40
        .size:           8
        .value_kind:     global_buffer
      - .offset:         48
        .size:           4
        .value_kind:     by_value
      - .offset:         52
        .size:           4
        .value_kind:     by_value
      - .offset:         56
        .size:           4
        .value_kind:     by_value
      - .offset:         60
        .size:           4
        .value_kind:     by_value
      - .offset:         64
        .size:           4
        .value_kind:     by_value
      - .offset:         68
        .size:           4
        .value_kind:     by_value
    .group_segment_fixed_size: 0
    .kernarg_segment_align: 8
    .kernarg_segment_size: 72
    .language:       OpenCL C
    .language_version:
      - 2
      - 0
    .max_flat_workgroup_size: 256
    .name:           _ZN4vllm3moe17topkGatingSoftmaxItLi16ELi256ELi8ELi32ELb0ELi4ELNS0_23SharedExpertScoringFuncE1EEEvPKT_PKbPfiPiS9_iiiiii
    .private_segment_fixed_size: 0
    .sgpr_count:     21
    .sgpr_spill_count: 0
    .symbol:         _ZN4vllm3moe17topkGatingSoftmaxItLi16ELi256ELi8ELi32ELb0ELi4ELNS0_23SharedExpertScoringFuncE1EEEvPKT_PKbPfiPiS9_iiiiii.kd
    .uniform_work_group_size: 1
    .uses_dynamic_stack: false
    .vgpr_count:     53
    .vgpr_spill_count: 0
    .wavefront_size: 32
    .workgroup_processor_mode: 1
  - .args:
      - .address_space:  global
        .offset:         0
        .size:           8
        .value_kind:     global_buffer
      - .address_space:  global
        .offset:         8
        .size:           8
        .value_kind:     global_buffer
      - .address_space:  global
        .offset:         16
        .size:           8
        .value_kind:     global_buffer
      - .offset:         24
        .size:           4
        .value_kind:     by_value
      - .address_space:  global
        .offset:         32
        .size:           8
        .value_kind:     global_buffer
      - .address_space:  global
        .offset:         40
        .size:           8
        .value_kind:     global_buffer
      - .offset:         48
        .size:           4
        .value_kind:     by_value
      - .offset:         52
        .size:           4
        .value_kind:     by_value
      - .offset:         56
        .size:           4
        .value_kind:     by_value
      - .offset:         60
        .size:           4
        .value_kind:     by_value
      - .offset:         64
        .size:           4
        .value_kind:     by_value
      - .offset:         68
        .size:           4
        .value_kind:     by_value
    .group_segment_fixed_size: 0
    .kernarg_segment_align: 8
    .kernarg_segment_size: 72
    .language:       OpenCL C
    .language_version:
      - 2
      - 0
    .max_flat_workgroup_size: 256
    .name:           _ZN4vllm3moe17topkGatingSoftmaxItLi16ELi256ELi8ELi32ELb1ELi8ELNS0_23SharedExpertScoringFuncE1EEEvPKT_PKbPfiPiS9_iiiiii
    .private_segment_fixed_size: 0
    .sgpr_count:     21
    .sgpr_spill_count: 0
    .symbol:         _ZN4vllm3moe17topkGatingSoftmaxItLi16ELi256ELi8ELi32ELb1ELi8ELNS0_23SharedExpertScoringFuncE1EEEvPKT_PKbPfiPiS9_iiiiii.kd
    .uniform_work_group_size: 1
    .uses_dynamic_stack: false
    .vgpr_count:     53
    .vgpr_spill_count: 0
    .wavefront_size: 32
    .workgroup_processor_mode: 1
  - .args:
      - .address_space:  global
        .offset:         0
        .size:           8
        .value_kind:     global_buffer
      - .address_space:  global
        .offset:         8
        .size:           8
        .value_kind:     global_buffer
      - .address_space:  global
        .offset:         16
        .size:           8
        .value_kind:     global_buffer
      - .offset:         24
        .size:           4
        .value_kind:     by_value
      - .address_space:  global
        .offset:         32
        .size:           8
        .value_kind:     global_buffer
      - .address_space:  global
        .offset:         40
        .size:           8
        .value_kind:     global_buffer
      - .offset:         48
        .size:           4
        .value_kind:     by_value
      - .offset:         52
        .size:           4
        .value_kind:     by_value
      - .offset:         56
        .size:           4
        .value_kind:     by_value
      - .offset:         60
        .size:           4
        .value_kind:     by_value
      - .offset:         64
        .size:           4
        .value_kind:     by_value
      - .offset:         68
        .size:           4
        .value_kind:     by_value
    .group_segment_fixed_size: 0
    .kernarg_segment_align: 8
    .kernarg_segment_size: 72
    .language:       OpenCL C
    .language_version:
      - 2
      - 0
    .max_flat_workgroup_size: 256
    .name:           _ZN4vllm3moe17topkGatingSoftmaxItLi16ELi256ELi8ELi32ELb0ELi8ELNS0_23SharedExpertScoringFuncE1EEEvPKT_PKbPfiPiS9_iiiiii
    .private_segment_fixed_size: 0
    .sgpr_count:     21
    .sgpr_spill_count: 0
    .symbol:         _ZN4vllm3moe17topkGatingSoftmaxItLi16ELi256ELi8ELi32ELb0ELi8ELNS0_23SharedExpertScoringFuncE1EEEvPKT_PKbPfiPiS9_iiiiii.kd
    .uniform_work_group_size: 1
    .uses_dynamic_stack: false
    .vgpr_count:     53
    .vgpr_spill_count: 0
    .wavefront_size: 32
    .workgroup_processor_mode: 1
  - .args:
      - .address_space:  global
        .offset:         0
        .size:           8
        .value_kind:     global_buffer
      - .address_space:  global
        .offset:         8
        .size:           8
        .value_kind:     global_buffer
      - .address_space:  global
        .offset:         16
        .size:           8
        .value_kind:     global_buffer
      - .offset:         24
        .size:           4
        .value_kind:     by_value
      - .address_space:  global
        .offset:         32
        .size:           8
        .value_kind:     global_buffer
      - .address_space:  global
        .offset:         40
        .size:           8
        .value_kind:     global_buffer
      - .offset:         48
        .size:           4
        .value_kind:     by_value
      - .offset:         52
        .size:           4
        .value_kind:     by_value
      - .offset:         56
        .size:           4
        .value_kind:     by_value
      - .offset:         60
        .size:           4
        .value_kind:     by_value
      - .offset:         64
        .size:           4
        .value_kind:     by_value
      - .offset:         68
        .size:           4
        .value_kind:     by_value
    .group_segment_fixed_size: 0
    .kernarg_segment_align: 8
    .kernarg_segment_size: 72
    .language:       OpenCL C
    .language_version:
      - 2
      - 0
    .max_flat_workgroup_size: 64
    .name:           _ZN4vllm3moe17topkGatingSoftmaxItLi32ELi512ELi2ELi64ELb1ELi0ELNS0_23SharedExpertScoringFuncE0EEEvPKT_PKbPfiPiS9_iiiiii
    .private_segment_fixed_size: 144
    .sgpr_count:     21
    .sgpr_spill_count: 0
    .symbol:         _ZN4vllm3moe17topkGatingSoftmaxItLi32ELi512ELi2ELi64ELb1ELi0ELNS0_23SharedExpertScoringFuncE0EEEvPKT_PKbPfiPiS9_iiiiii.kd
    .uniform_work_group_size: 1
    .uses_dynamic_stack: false
    .vgpr_count:     76
    .vgpr_spill_count: 0
    .wavefront_size: 32
    .workgroup_processor_mode: 1
  - .args:
      - .address_space:  global
        .offset:         0
        .size:           8
        .value_kind:     global_buffer
      - .address_space:  global
        .offset:         8
        .size:           8
        .value_kind:     global_buffer
      - .address_space:  global
        .offset:         16
        .size:           8
        .value_kind:     global_buffer
      - .offset:         24
        .size:           4
        .value_kind:     by_value
      - .address_space:  global
        .offset:         32
        .size:           8
        .value_kind:     global_buffer
      - .address_space:  global
        .offset:         40
        .size:           8
        .value_kind:     global_buffer
      - .offset:         48
        .size:           4
        .value_kind:     by_value
      - .offset:         52
        .size:           4
        .value_kind:     by_value
      - .offset:         56
        .size:           4
        .value_kind:     by_value
      - .offset:         60
        .size:           4
        .value_kind:     by_value
      - .offset:         64
        .size:           4
        .value_kind:     by_value
      - .offset:         68
        .size:           4
        .value_kind:     by_value
    .group_segment_fixed_size: 0
    .kernarg_segment_align: 8
    .kernarg_segment_size: 72
    .language:       OpenCL C
    .language_version:
      - 2
      - 0
    .max_flat_workgroup_size: 64
    .name:           _ZN4vllm3moe17topkGatingSoftmaxItLi32ELi512ELi2ELi64ELb0ELi0ELNS0_23SharedExpertScoringFuncE0EEEvPKT_PKbPfiPiS9_iiiiii
    .private_segment_fixed_size: 144
    .sgpr_count:     21
    .sgpr_spill_count: 0
    .symbol:         _ZN4vllm3moe17topkGatingSoftmaxItLi32ELi512ELi2ELi64ELb0ELi0ELNS0_23SharedExpertScoringFuncE0EEEvPKT_PKbPfiPiS9_iiiiii.kd
    .uniform_work_group_size: 1
    .uses_dynamic_stack: false
    .vgpr_count:     77
    .vgpr_spill_count: 0
    .wavefront_size: 32
    .workgroup_processor_mode: 1
  - .args:
      - .address_space:  global
        .offset:         0
        .size:           8
        .value_kind:     global_buffer
      - .address_space:  global
        .offset:         8
        .size:           8
        .value_kind:     global_buffer
      - .address_space:  global
        .offset:         16
        .size:           8
        .value_kind:     global_buffer
      - .offset:         24
        .size:           4
        .value_kind:     by_value
      - .address_space:  global
        .offset:         32
        .size:           8
        .value_kind:     global_buffer
      - .address_space:  global
        .offset:         40
        .size:           8
        .value_kind:     global_buffer
      - .offset:         48
        .size:           4
        .value_kind:     by_value
      - .offset:         52
        .size:           4
        .value_kind:     by_value
      - .offset:         56
        .size:           4
        .value_kind:     by_value
      - .offset:         60
        .size:           4
        .value_kind:     by_value
      - .offset:         64
        .size:           4
        .value_kind:     by_value
      - .offset:         68
        .size:           4
        .value_kind:     by_value
    .group_segment_fixed_size: 0
    .kernarg_segment_align: 8
    .kernarg_segment_size: 72
    .language:       OpenCL C
    .language_version:
      - 2
      - 0
    .max_flat_workgroup_size: 64
    .name:           _ZN4vllm3moe17topkGatingSoftmaxItLi32ELi512ELi2ELi64ELb1ELi1ELNS0_23SharedExpertScoringFuncE1EEEvPKT_PKbPfiPiS9_iiiiii
    .private_segment_fixed_size: 144
    .sgpr_count:     21
    .sgpr_spill_count: 0
    .symbol:         _ZN4vllm3moe17topkGatingSoftmaxItLi32ELi512ELi2ELi64ELb1ELi1ELNS0_23SharedExpertScoringFuncE1EEEvPKT_PKbPfiPiS9_iiiiii.kd
    .uniform_work_group_size: 1
    .uses_dynamic_stack: false
    .vgpr_count:     77
    .vgpr_spill_count: 0
    .wavefront_size: 32
    .workgroup_processor_mode: 1
  - .args:
      - .address_space:  global
        .offset:         0
        .size:           8
        .value_kind:     global_buffer
      - .address_space:  global
        .offset:         8
        .size:           8
        .value_kind:     global_buffer
      - .address_space:  global
        .offset:         16
        .size:           8
        .value_kind:     global_buffer
      - .offset:         24
        .size:           4
        .value_kind:     by_value
      - .address_space:  global
        .offset:         32
        .size:           8
        .value_kind:     global_buffer
      - .address_space:  global
        .offset:         40
        .size:           8
        .value_kind:     global_buffer
      - .offset:         48
        .size:           4
        .value_kind:     by_value
      - .offset:         52
        .size:           4
        .value_kind:     by_value
      - .offset:         56
        .size:           4
        .value_kind:     by_value
      - .offset:         60
        .size:           4
        .value_kind:     by_value
      - .offset:         64
        .size:           4
        .value_kind:     by_value
      - .offset:         68
        .size:           4
        .value_kind:     by_value
    .group_segment_fixed_size: 0
    .kernarg_segment_align: 8
    .kernarg_segment_size: 72
    .language:       OpenCL C
    .language_version:
      - 2
      - 0
    .max_flat_workgroup_size: 64
    .name:           _ZN4vllm3moe17topkGatingSoftmaxItLi32ELi512ELi2ELi64ELb0ELi1ELNS0_23SharedExpertScoringFuncE1EEEvPKT_PKbPfiPiS9_iiiiii
    .private_segment_fixed_size: 144
    .sgpr_count:     21
    .sgpr_spill_count: 0
    .symbol:         _ZN4vllm3moe17topkGatingSoftmaxItLi32ELi512ELi2ELi64ELb0ELi1ELNS0_23SharedExpertScoringFuncE1EEEvPKT_PKbPfiPiS9_iiiiii.kd
    .uniform_work_group_size: 1
    .uses_dynamic_stack: false
    .vgpr_count:     77
    .vgpr_spill_count: 0
    .wavefront_size: 32
    .workgroup_processor_mode: 1
  - .args:
      - .address_space:  global
        .offset:         0
        .size:           8
        .value_kind:     global_buffer
      - .address_space:  global
        .offset:         8
        .size:           8
        .value_kind:     global_buffer
      - .address_space:  global
        .offset:         16
        .size:           8
        .value_kind:     global_buffer
      - .offset:         24
        .size:           4
        .value_kind:     by_value
      - .address_space:  global
        .offset:         32
        .size:           8
        .value_kind:     global_buffer
      - .address_space:  global
        .offset:         40
        .size:           8
        .value_kind:     global_buffer
      - .offset:         48
        .size:           4
        .value_kind:     by_value
      - .offset:         52
        .size:           4
        .value_kind:     by_value
      - .offset:         56
        .size:           4
        .value_kind:     by_value
      - .offset:         60
        .size:           4
        .value_kind:     by_value
      - .offset:         64
        .size:           4
        .value_kind:     by_value
      - .offset:         68
        .size:           4
        .value_kind:     by_value
    .group_segment_fixed_size: 0
    .kernarg_segment_align: 8
    .kernarg_segment_size: 72
    .language:       OpenCL C
    .language_version:
      - 2
      - 0
    .max_flat_workgroup_size: 64
    .name:           _ZN4vllm3moe17topkGatingSoftmaxItLi32ELi512ELi2ELi64ELb1ELi2ELNS0_23SharedExpertScoringFuncE1EEEvPKT_PKbPfiPiS9_iiiiii
    .private_segment_fixed_size: 144
    .sgpr_count:     21
    .sgpr_spill_count: 0
    .symbol:         _ZN4vllm3moe17topkGatingSoftmaxItLi32ELi512ELi2ELi64ELb1ELi2ELNS0_23SharedExpertScoringFuncE1EEEvPKT_PKbPfiPiS9_iiiiii.kd
    .uniform_work_group_size: 1
    .uses_dynamic_stack: false
    .vgpr_count:     77
    .vgpr_spill_count: 0
    .wavefront_size: 32
    .workgroup_processor_mode: 1
  - .args:
      - .address_space:  global
        .offset:         0
        .size:           8
        .value_kind:     global_buffer
      - .address_space:  global
        .offset:         8
        .size:           8
        .value_kind:     global_buffer
      - .address_space:  global
        .offset:         16
        .size:           8
        .value_kind:     global_buffer
      - .offset:         24
        .size:           4
        .value_kind:     by_value
      - .address_space:  global
        .offset:         32
        .size:           8
        .value_kind:     global_buffer
      - .address_space:  global
        .offset:         40
        .size:           8
        .value_kind:     global_buffer
      - .offset:         48
        .size:           4
        .value_kind:     by_value
      - .offset:         52
        .size:           4
        .value_kind:     by_value
      - .offset:         56
        .size:           4
        .value_kind:     by_value
      - .offset:         60
        .size:           4
        .value_kind:     by_value
      - .offset:         64
        .size:           4
        .value_kind:     by_value
      - .offset:         68
        .size:           4
        .value_kind:     by_value
    .group_segment_fixed_size: 0
    .kernarg_segment_align: 8
    .kernarg_segment_size: 72
    .language:       OpenCL C
    .language_version:
      - 2
      - 0
    .max_flat_workgroup_size: 64
    .name:           _ZN4vllm3moe17topkGatingSoftmaxItLi32ELi512ELi2ELi64ELb0ELi2ELNS0_23SharedExpertScoringFuncE1EEEvPKT_PKbPfiPiS9_iiiiii
    .private_segment_fixed_size: 144
    .sgpr_count:     21
    .sgpr_spill_count: 0
    .symbol:         _ZN4vllm3moe17topkGatingSoftmaxItLi32ELi512ELi2ELi64ELb0ELi2ELNS0_23SharedExpertScoringFuncE1EEEvPKT_PKbPfiPiS9_iiiiii.kd
    .uniform_work_group_size: 1
    .uses_dynamic_stack: false
    .vgpr_count:     77
    .vgpr_spill_count: 0
    .wavefront_size: 32
    .workgroup_processor_mode: 1
  - .args:
      - .address_space:  global
        .offset:         0
        .size:           8
        .value_kind:     global_buffer
      - .address_space:  global
        .offset:         8
        .size:           8
        .value_kind:     global_buffer
      - .address_space:  global
        .offset:         16
        .size:           8
        .value_kind:     global_buffer
      - .offset:         24
        .size:           4
        .value_kind:     by_value
      - .address_space:  global
        .offset:         32
        .size:           8
        .value_kind:     global_buffer
      - .address_space:  global
        .offset:         40
        .size:           8
        .value_kind:     global_buffer
      - .offset:         48
        .size:           4
        .value_kind:     by_value
      - .offset:         52
        .size:           4
        .value_kind:     by_value
      - .offset:         56
        .size:           4
        .value_kind:     by_value
      - .offset:         60
        .size:           4
        .value_kind:     by_value
      - .offset:         64
        .size:           4
        .value_kind:     by_value
      - .offset:         68
        .size:           4
        .value_kind:     by_value
    .group_segment_fixed_size: 0
    .kernarg_segment_align: 8
    .kernarg_segment_size: 72
    .language:       OpenCL C
    .language_version:
      - 2
      - 0
    .max_flat_workgroup_size: 64
    .name:           _ZN4vllm3moe17topkGatingSoftmaxItLi32ELi512ELi2ELi64ELb1ELi4ELNS0_23SharedExpertScoringFuncE1EEEvPKT_PKbPfiPiS9_iiiiii
    .private_segment_fixed_size: 144
    .sgpr_count:     21
    .sgpr_spill_count: 0
    .symbol:         _ZN4vllm3moe17topkGatingSoftmaxItLi32ELi512ELi2ELi64ELb1ELi4ELNS0_23SharedExpertScoringFuncE1EEEvPKT_PKbPfiPiS9_iiiiii.kd
    .uniform_work_group_size: 1
    .uses_dynamic_stack: false
    .vgpr_count:     77
    .vgpr_spill_count: 0
    .wavefront_size: 32
    .workgroup_processor_mode: 1
  - .args:
      - .address_space:  global
        .offset:         0
        .size:           8
        .value_kind:     global_buffer
      - .address_space:  global
        .offset:         8
        .size:           8
        .value_kind:     global_buffer
      - .address_space:  global
        .offset:         16
        .size:           8
        .value_kind:     global_buffer
      - .offset:         24
        .size:           4
        .value_kind:     by_value
      - .address_space:  global
        .offset:         32
        .size:           8
        .value_kind:     global_buffer
      - .address_space:  global
        .offset:         40
        .size:           8
        .value_kind:     global_buffer
      - .offset:         48
        .size:           4
        .value_kind:     by_value
      - .offset:         52
        .size:           4
        .value_kind:     by_value
      - .offset:         56
        .size:           4
        .value_kind:     by_value
      - .offset:         60
        .size:           4
        .value_kind:     by_value
      - .offset:         64
        .size:           4
        .value_kind:     by_value
      - .offset:         68
        .size:           4
        .value_kind:     by_value
    .group_segment_fixed_size: 0
    .kernarg_segment_align: 8
    .kernarg_segment_size: 72
    .language:       OpenCL C
    .language_version:
      - 2
      - 0
    .max_flat_workgroup_size: 64
    .name:           _ZN4vllm3moe17topkGatingSoftmaxItLi32ELi512ELi2ELi64ELb0ELi4ELNS0_23SharedExpertScoringFuncE1EEEvPKT_PKbPfiPiS9_iiiiii
    .private_segment_fixed_size: 144
    .sgpr_count:     21
    .sgpr_spill_count: 0
    .symbol:         _ZN4vllm3moe17topkGatingSoftmaxItLi32ELi512ELi2ELi64ELb0ELi4ELNS0_23SharedExpertScoringFuncE1EEEvPKT_PKbPfiPiS9_iiiiii.kd
    .uniform_work_group_size: 1
    .uses_dynamic_stack: false
    .vgpr_count:     77
    .vgpr_spill_count: 0
    .wavefront_size: 32
    .workgroup_processor_mode: 1
  - .args:
      - .address_space:  global
        .offset:         0
        .size:           8
        .value_kind:     global_buffer
      - .address_space:  global
        .offset:         8
        .size:           8
        .value_kind:     global_buffer
      - .address_space:  global
        .offset:         16
        .size:           8
        .value_kind:     global_buffer
      - .offset:         24
        .size:           4
        .value_kind:     by_value
      - .address_space:  global
        .offset:         32
        .size:           8
        .value_kind:     global_buffer
      - .address_space:  global
        .offset:         40
        .size:           8
        .value_kind:     global_buffer
      - .offset:         48
        .size:           4
        .value_kind:     by_value
      - .offset:         52
        .size:           4
        .value_kind:     by_value
      - .offset:         56
        .size:           4
        .value_kind:     by_value
      - .offset:         60
        .size:           4
        .value_kind:     by_value
      - .offset:         64
        .size:           4
        .value_kind:     by_value
      - .offset:         68
        .size:           4
        .value_kind:     by_value
    .group_segment_fixed_size: 0
    .kernarg_segment_align: 8
    .kernarg_segment_size: 72
    .language:       OpenCL C
    .language_version:
      - 2
      - 0
    .max_flat_workgroup_size: 64
    .name:           _ZN4vllm3moe17topkGatingSoftmaxItLi32ELi512ELi2ELi64ELb1ELi8ELNS0_23SharedExpertScoringFuncE1EEEvPKT_PKbPfiPiS9_iiiiii
    .private_segment_fixed_size: 144
    .sgpr_count:     21
    .sgpr_spill_count: 0
    .symbol:         _ZN4vllm3moe17topkGatingSoftmaxItLi32ELi512ELi2ELi64ELb1ELi8ELNS0_23SharedExpertScoringFuncE1EEEvPKT_PKbPfiPiS9_iiiiii.kd
    .uniform_work_group_size: 1
    .uses_dynamic_stack: false
    .vgpr_count:     77
    .vgpr_spill_count: 0
    .wavefront_size: 32
    .workgroup_processor_mode: 1
  - .args:
      - .address_space:  global
        .offset:         0
        .size:           8
        .value_kind:     global_buffer
      - .address_space:  global
        .offset:         8
        .size:           8
        .value_kind:     global_buffer
      - .address_space:  global
        .offset:         16
        .size:           8
        .value_kind:     global_buffer
      - .offset:         24
        .size:           4
        .value_kind:     by_value
      - .address_space:  global
        .offset:         32
        .size:           8
        .value_kind:     global_buffer
      - .address_space:  global
        .offset:         40
        .size:           8
        .value_kind:     global_buffer
      - .offset:         48
        .size:           4
        .value_kind:     by_value
      - .offset:         52
        .size:           4
        .value_kind:     by_value
      - .offset:         56
        .size:           4
        .value_kind:     by_value
      - .offset:         60
        .size:           4
        .value_kind:     by_value
      - .offset:         64
        .size:           4
        .value_kind:     by_value
      - .offset:         68
        .size:           4
        .value_kind:     by_value
    .group_segment_fixed_size: 0
    .kernarg_segment_align: 8
    .kernarg_segment_size: 72
    .language:       OpenCL C
    .language_version:
      - 2
      - 0
    .max_flat_workgroup_size: 64
    .name:           _ZN4vllm3moe17topkGatingSoftmaxItLi32ELi512ELi2ELi64ELb0ELi8ELNS0_23SharedExpertScoringFuncE1EEEvPKT_PKbPfiPiS9_iiiiii
    .private_segment_fixed_size: 144
    .sgpr_count:     21
    .sgpr_spill_count: 0
    .symbol:         _ZN4vllm3moe17topkGatingSoftmaxItLi32ELi512ELi2ELi64ELb0ELi8ELNS0_23SharedExpertScoringFuncE1EEEvPKT_PKbPfiPiS9_iiiiii.kd
    .uniform_work_group_size: 1
    .uses_dynamic_stack: false
    .vgpr_count:     77
    .vgpr_spill_count: 0
    .wavefront_size: 32
    .workgroup_processor_mode: 1
  - .args:
      - .address_space:  global
        .offset:         0
        .size:           8
        .value_kind:     global_buffer
      - .address_space:  global
        .offset:         8
        .size:           8
        .value_kind:     global_buffer
      - .address_space:  global
        .offset:         16
        .size:           8
        .value_kind:     global_buffer
      - .offset:         24
        .size:           4
        .value_kind:     by_value
    .group_segment_fixed_size: 40
    .kernarg_segment_align: 8
    .kernarg_segment_size: 28
    .language:       OpenCL C
    .language_version:
      - 2
      - 0
    .max_flat_workgroup_size: 256
    .name:           _ZN4vllm3moe10moeSoftmaxItLi256EEEvPKT_PKbPfi
    .private_segment_fixed_size: 0
    .sgpr_count:     18
    .sgpr_spill_count: 0
    .symbol:         _ZN4vllm3moe10moeSoftmaxItLi256EEEvPKT_PKbPfi.kd
    .uniform_work_group_size: 1
    .uses_dynamic_stack: false
    .vgpr_count:     15
    .vgpr_spill_count: 0
    .wavefront_size: 32
    .workgroup_processor_mode: 1
  - .args:
      - .address_space:  global
        .offset:         0
        .size:           8
        .value_kind:     global_buffer
      - .address_space:  global
        .offset:         8
        .size:           8
        .value_kind:     global_buffer
      - .offset:         16
        .size:           4
        .value_kind:     by_value
      - .offset:         20
        .size:           4
        .value_kind:     by_value
      - .offset:         24
        .size:           4
        .value_kind:     by_value
      - .offset:         28
        .size:           4
        .value_kind:     by_value
      - .offset:         32
        .size:           4
        .value_kind:     by_value
    .group_segment_fixed_size: 0
    .kernarg_segment_align: 8
    .kernarg_segment_size: 36
    .language:       OpenCL C
    .language_version:
      - 2
      - 0
    .max_flat_workgroup_size: 256
    .name:           _ZN4vllm3moe24applySharedExpertSigmoidItLi256EEEvPKT_Pfiiiii
    .private_segment_fixed_size: 0
    .sgpr_count:     18
    .sgpr_spill_count: 0
    .symbol:         _ZN4vllm3moe24applySharedExpertSigmoidItLi256EEEvPKT_Pfiiiii.kd
    .uniform_work_group_size: 1
    .uses_dynamic_stack: false
    .vgpr_count:     9
    .vgpr_spill_count: 0
    .wavefront_size: 32
    .workgroup_processor_mode: 1
  - .args:
      - .actual_access:  write_only
        .address_space:  global
        .offset:         0
        .size:           8
        .value_kind:     global_buffer
      - .actual_access:  read_only
        .address_space:  global
        .offset:         8
        .size:           8
        .value_kind:     global_buffer
      - .offset:         16
        .size:           4
        .value_kind:     by_value
      - .offset:         24
        .size:           4
        .value_kind:     hidden_block_count_x
      - .offset:         28
        .size:           4
        .value_kind:     hidden_block_count_y
      - .offset:         32
        .size:           4
        .value_kind:     hidden_block_count_z
      - .offset:         36
        .size:           2
        .value_kind:     hidden_group_size_x
      - .offset:         38
        .size:           2
        .value_kind:     hidden_group_size_y
      - .offset:         40
        .size:           2
        .value_kind:     hidden_group_size_z
      - .offset:         42
        .size:           2
        .value_kind:     hidden_remainder_x
      - .offset:         44
        .size:           2
        .value_kind:     hidden_remainder_y
      - .offset:         46
        .size:           2
        .value_kind:     hidden_remainder_z
      - .offset:         64
        .size:           8
        .value_kind:     hidden_global_offset_x
      - .offset:         72
        .size:           8
        .value_kind:     hidden_global_offset_y
      - .offset:         80
        .size:           8
        .value_kind:     hidden_global_offset_z
      - .offset:         88
        .size:           2
        .value_kind:     hidden_grid_dims
    .group_segment_fixed_size: 0
    .kernarg_segment_align: 8
    .kernarg_segment_size: 280
    .language:       OpenCL C
    .language_version:
      - 2
      - 0
    .max_flat_workgroup_size: 1024
    .name:           _ZN4vllm3moe14moe_sum_kernelIfLi2EEEvPT_PKS2_i
    .private_segment_fixed_size: 0
    .sgpr_count:     18
    .sgpr_spill_count: 0
    .symbol:         _ZN4vllm3moe14moe_sum_kernelIfLi2EEEvPT_PKS2_i.kd
    .uniform_work_group_size: 1
    .uses_dynamic_stack: false
    .vgpr_count:     9
    .vgpr_spill_count: 0
    .wavefront_size: 32
    .workgroup_processor_mode: 1
  - .args:
      - .actual_access:  write_only
        .address_space:  global
        .offset:         0
        .size:           8
        .value_kind:     global_buffer
      - .actual_access:  read_only
        .address_space:  global
        .offset:         8
        .size:           8
        .value_kind:     global_buffer
      - .offset:         16
        .size:           4
        .value_kind:     by_value
      - .offset:         24
        .size:           4
        .value_kind:     hidden_block_count_x
      - .offset:         28
        .size:           4
        .value_kind:     hidden_block_count_y
      - .offset:         32
        .size:           4
        .value_kind:     hidden_block_count_z
      - .offset:         36
        .size:           2
        .value_kind:     hidden_group_size_x
      - .offset:         38
        .size:           2
        .value_kind:     hidden_group_size_y
      - .offset:         40
        .size:           2
        .value_kind:     hidden_group_size_z
      - .offset:         42
        .size:           2
        .value_kind:     hidden_remainder_x
      - .offset:         44
        .size:           2
        .value_kind:     hidden_remainder_y
      - .offset:         46
        .size:           2
        .value_kind:     hidden_remainder_z
      - .offset:         64
        .size:           8
        .value_kind:     hidden_global_offset_x
      - .offset:         72
        .size:           8
        .value_kind:     hidden_global_offset_y
      - .offset:         80
        .size:           8
        .value_kind:     hidden_global_offset_z
      - .offset:         88
        .size:           2
        .value_kind:     hidden_grid_dims
    .group_segment_fixed_size: 0
    .kernarg_segment_align: 8
    .kernarg_segment_size: 280
    .language:       OpenCL C
    .language_version:
      - 2
      - 0
    .max_flat_workgroup_size: 1024
    .name:           _ZN4vllm3moe14moe_sum_kernelIN3c104HalfELi2EEEvPT_PKS4_i
    .private_segment_fixed_size: 0
    .sgpr_count:     24
    .sgpr_spill_count: 0
    .symbol:         _ZN4vllm3moe14moe_sum_kernelIN3c104HalfELi2EEEvPT_PKS4_i.kd
    .uniform_work_group_size: 1
    .uses_dynamic_stack: false
    .vgpr_count:     16
    .vgpr_spill_count: 0
    .wavefront_size: 32
    .workgroup_processor_mode: 1
  - .args:
      - .actual_access:  write_only
        .address_space:  global
        .offset:         0
        .size:           8
        .value_kind:     global_buffer
      - .actual_access:  read_only
        .address_space:  global
        .offset:         8
        .size:           8
        .value_kind:     global_buffer
      - .offset:         16
        .size:           4
        .value_kind:     by_value
      - .offset:         24
        .size:           4
        .value_kind:     hidden_block_count_x
      - .offset:         28
        .size:           4
        .value_kind:     hidden_block_count_y
      - .offset:         32
        .size:           4
        .value_kind:     hidden_block_count_z
      - .offset:         36
        .size:           2
        .value_kind:     hidden_group_size_x
      - .offset:         38
        .size:           2
        .value_kind:     hidden_group_size_y
      - .offset:         40
        .size:           2
        .value_kind:     hidden_group_size_z
      - .offset:         42
        .size:           2
        .value_kind:     hidden_remainder_x
      - .offset:         44
        .size:           2
        .value_kind:     hidden_remainder_y
      - .offset:         46
        .size:           2
        .value_kind:     hidden_remainder_z
      - .offset:         64
        .size:           8
        .value_kind:     hidden_global_offset_x
      - .offset:         72
        .size:           8
        .value_kind:     hidden_global_offset_y
      - .offset:         80
        .size:           8
        .value_kind:     hidden_global_offset_z
      - .offset:         88
        .size:           2
        .value_kind:     hidden_grid_dims
    .group_segment_fixed_size: 0
    .kernarg_segment_align: 8
    .kernarg_segment_size: 280
    .language:       OpenCL C
    .language_version:
      - 2
      - 0
    .max_flat_workgroup_size: 1024
    .name:           _ZN4vllm3moe14moe_sum_kernelIN3c108BFloat16ELi2EEEvPT_PKS4_i
    .private_segment_fixed_size: 0
    .sgpr_count:     20
    .sgpr_spill_count: 0
    .symbol:         _ZN4vllm3moe14moe_sum_kernelIN3c108BFloat16ELi2EEEvPT_PKS4_i.kd
    .uniform_work_group_size: 1
    .uses_dynamic_stack: false
    .vgpr_count:     18
    .vgpr_spill_count: 0
    .wavefront_size: 32
    .workgroup_processor_mode: 1
  - .args:
      - .actual_access:  write_only
        .address_space:  global
        .offset:         0
        .size:           8
        .value_kind:     global_buffer
      - .actual_access:  read_only
        .address_space:  global
        .offset:         8
        .size:           8
        .value_kind:     global_buffer
      - .offset:         16
        .size:           4
        .value_kind:     by_value
      - .offset:         24
        .size:           4
        .value_kind:     hidden_block_count_x
      - .offset:         28
        .size:           4
        .value_kind:     hidden_block_count_y
      - .offset:         32
        .size:           4
        .value_kind:     hidden_block_count_z
      - .offset:         36
        .size:           2
        .value_kind:     hidden_group_size_x
      - .offset:         38
        .size:           2
        .value_kind:     hidden_group_size_y
      - .offset:         40
        .size:           2
        .value_kind:     hidden_group_size_z
      - .offset:         42
        .size:           2
        .value_kind:     hidden_remainder_x
      - .offset:         44
        .size:           2
        .value_kind:     hidden_remainder_y
      - .offset:         46
        .size:           2
        .value_kind:     hidden_remainder_z
      - .offset:         64
        .size:           8
        .value_kind:     hidden_global_offset_x
      - .offset:         72
        .size:           8
        .value_kind:     hidden_global_offset_y
      - .offset:         80
        .size:           8
        .value_kind:     hidden_global_offset_z
      - .offset:         88
        .size:           2
        .value_kind:     hidden_grid_dims
    .group_segment_fixed_size: 0
    .kernarg_segment_align: 8
    .kernarg_segment_size: 280
    .language:       OpenCL C
    .language_version:
      - 2
      - 0
    .max_flat_workgroup_size: 1024
    .name:           _ZN4vllm3moe14moe_sum_kernelIfLi4EEEvPT_PKS2_i
    .private_segment_fixed_size: 0
    .sgpr_count:     21
    .sgpr_spill_count: 0
    .symbol:         _ZN4vllm3moe14moe_sum_kernelIfLi4EEEvPT_PKS2_i.kd
    .uniform_work_group_size: 1
    .uses_dynamic_stack: false
    .vgpr_count:     11
    .vgpr_spill_count: 0
    .wavefront_size: 32
    .workgroup_processor_mode: 1
  - .args:
      - .actual_access:  write_only
        .address_space:  global
        .offset:         0
        .size:           8
        .value_kind:     global_buffer
      - .actual_access:  read_only
        .address_space:  global
        .offset:         8
        .size:           8
        .value_kind:     global_buffer
      - .offset:         16
        .size:           4
        .value_kind:     by_value
      - .offset:         24
        .size:           4
        .value_kind:     hidden_block_count_x
      - .offset:         28
        .size:           4
        .value_kind:     hidden_block_count_y
      - .offset:         32
        .size:           4
        .value_kind:     hidden_block_count_z
      - .offset:         36
        .size:           2
        .value_kind:     hidden_group_size_x
      - .offset:         38
        .size:           2
        .value_kind:     hidden_group_size_y
      - .offset:         40
        .size:           2
        .value_kind:     hidden_group_size_z
      - .offset:         42
        .size:           2
        .value_kind:     hidden_remainder_x
      - .offset:         44
        .size:           2
        .value_kind:     hidden_remainder_y
      - .offset:         46
        .size:           2
        .value_kind:     hidden_remainder_z
      - .offset:         64
        .size:           8
        .value_kind:     hidden_global_offset_x
      - .offset:         72
        .size:           8
        .value_kind:     hidden_global_offset_y
      - .offset:         80
        .size:           8
        .value_kind:     hidden_global_offset_z
      - .offset:         88
        .size:           2
        .value_kind:     hidden_grid_dims
    .group_segment_fixed_size: 0
    .kernarg_segment_align: 8
    .kernarg_segment_size: 280
    .language:       OpenCL C
    .language_version:
      - 2
      - 0
    .max_flat_workgroup_size: 1024
    .name:           _ZN4vllm3moe14moe_sum_kernelIN3c104HalfELi4EEEvPT_PKS4_i
    .private_segment_fixed_size: 0
    .sgpr_count:     28
    .sgpr_spill_count: 0
    .symbol:         _ZN4vllm3moe14moe_sum_kernelIN3c104HalfELi4EEEvPT_PKS4_i.kd
    .uniform_work_group_size: 1
    .uses_dynamic_stack: false
    .vgpr_count:     17
    .vgpr_spill_count: 0
    .wavefront_size: 32
    .workgroup_processor_mode: 1
  - .args:
      - .actual_access:  write_only
        .address_space:  global
        .offset:         0
        .size:           8
        .value_kind:     global_buffer
      - .actual_access:  read_only
        .address_space:  global
        .offset:         8
        .size:           8
        .value_kind:     global_buffer
      - .offset:         16
        .size:           4
        .value_kind:     by_value
      - .offset:         24
        .size:           4
        .value_kind:     hidden_block_count_x
      - .offset:         28
        .size:           4
        .value_kind:     hidden_block_count_y
      - .offset:         32
        .size:           4
        .value_kind:     hidden_block_count_z
      - .offset:         36
        .size:           2
        .value_kind:     hidden_group_size_x
      - .offset:         38
        .size:           2
        .value_kind:     hidden_group_size_y
      - .offset:         40
        .size:           2
        .value_kind:     hidden_group_size_z
      - .offset:         42
        .size:           2
        .value_kind:     hidden_remainder_x
      - .offset:         44
        .size:           2
        .value_kind:     hidden_remainder_y
      - .offset:         46
        .size:           2
        .value_kind:     hidden_remainder_z
      - .offset:         64
        .size:           8
        .value_kind:     hidden_global_offset_x
      - .offset:         72
        .size:           8
        .value_kind:     hidden_global_offset_y
      - .offset:         80
        .size:           8
        .value_kind:     hidden_global_offset_z
      - .offset:         88
        .size:           2
        .value_kind:     hidden_grid_dims
    .group_segment_fixed_size: 0
    .kernarg_segment_align: 8
    .kernarg_segment_size: 280
    .language:       OpenCL C
    .language_version:
      - 2
      - 0
    .max_flat_workgroup_size: 1024
    .name:           _ZN4vllm3moe14moe_sum_kernelIN3c108BFloat16ELi4EEEvPT_PKS4_i
    .private_segment_fixed_size: 0
    .sgpr_count:     28
    .sgpr_spill_count: 0
    .symbol:         _ZN4vllm3moe14moe_sum_kernelIN3c108BFloat16ELi4EEEvPT_PKS4_i.kd
    .uniform_work_group_size: 1
    .uses_dynamic_stack: false
    .vgpr_count:     24
    .vgpr_spill_count: 0
    .wavefront_size: 32
    .workgroup_processor_mode: 1
  - .args:
      - .actual_access:  write_only
        .address_space:  global
        .offset:         0
        .size:           8
        .value_kind:     global_buffer
      - .actual_access:  read_only
        .address_space:  global
        .offset:         8
        .size:           8
        .value_kind:     global_buffer
      - .offset:         16
        .size:           4
        .value_kind:     by_value
      - .offset:         24
        .size:           4
        .value_kind:     hidden_block_count_x
      - .offset:         28
        .size:           4
        .value_kind:     hidden_block_count_y
      - .offset:         32
        .size:           4
        .value_kind:     hidden_block_count_z
      - .offset:         36
        .size:           2
        .value_kind:     hidden_group_size_x
      - .offset:         38
        .size:           2
        .value_kind:     hidden_group_size_y
      - .offset:         40
        .size:           2
        .value_kind:     hidden_group_size_z
      - .offset:         42
        .size:           2
        .value_kind:     hidden_remainder_x
      - .offset:         44
        .size:           2
        .value_kind:     hidden_remainder_y
      - .offset:         46
        .size:           2
        .value_kind:     hidden_remainder_z
      - .offset:         64
        .size:           8
        .value_kind:     hidden_global_offset_x
      - .offset:         72
        .size:           8
        .value_kind:     hidden_global_offset_y
      - .offset:         80
        .size:           8
        .value_kind:     hidden_global_offset_z
      - .offset:         88
        .size:           2
        .value_kind:     hidden_grid_dims
    .group_segment_fixed_size: 0
    .kernarg_segment_align: 8
    .kernarg_segment_size: 280
    .language:       OpenCL C
    .language_version:
      - 2
      - 0
    .max_flat_workgroup_size: 1024
    .name:           _ZN4vllm3moe14moe_sum_kernelIfLi5EEEvPT_PKS2_i
    .private_segment_fixed_size: 0
    .sgpr_count:     18
    .sgpr_spill_count: 0
    .symbol:         _ZN4vllm3moe14moe_sum_kernelIfLi5EEEvPT_PKS2_i.kd
    .uniform_work_group_size: 1
    .uses_dynamic_stack: false
    .vgpr_count:     11
    .vgpr_spill_count: 0
    .wavefront_size: 32
    .workgroup_processor_mode: 1
  - .args:
      - .actual_access:  write_only
        .address_space:  global
        .offset:         0
        .size:           8
        .value_kind:     global_buffer
      - .actual_access:  read_only
        .address_space:  global
        .offset:         8
        .size:           8
        .value_kind:     global_buffer
      - .offset:         16
        .size:           4
        .value_kind:     by_value
      - .offset:         24
        .size:           4
        .value_kind:     hidden_block_count_x
      - .offset:         28
        .size:           4
        .value_kind:     hidden_block_count_y
      - .offset:         32
        .size:           4
        .value_kind:     hidden_block_count_z
      - .offset:         36
        .size:           2
        .value_kind:     hidden_group_size_x
      - .offset:         38
        .size:           2
        .value_kind:     hidden_group_size_y
      - .offset:         40
        .size:           2
        .value_kind:     hidden_group_size_z
      - .offset:         42
        .size:           2
        .value_kind:     hidden_remainder_x
      - .offset:         44
        .size:           2
        .value_kind:     hidden_remainder_y
      - .offset:         46
        .size:           2
        .value_kind:     hidden_remainder_z
      - .offset:         64
        .size:           8
        .value_kind:     hidden_global_offset_x
      - .offset:         72
        .size:           8
        .value_kind:     hidden_global_offset_y
      - .offset:         80
        .size:           8
        .value_kind:     hidden_global_offset_z
      - .offset:         88
        .size:           2
        .value_kind:     hidden_grid_dims
    .group_segment_fixed_size: 0
    .kernarg_segment_align: 8
    .kernarg_segment_size: 280
    .language:       OpenCL C
    .language_version:
      - 2
      - 0
    .max_flat_workgroup_size: 1024
    .name:           _ZN4vllm3moe14moe_sum_kernelIN3c104HalfELi5EEEvPT_PKS4_i
    .private_segment_fixed_size: 0
    .sgpr_count:     18
    .sgpr_spill_count: 0
    .symbol:         _ZN4vllm3moe14moe_sum_kernelIN3c104HalfELi5EEEvPT_PKS4_i.kd
    .uniform_work_group_size: 1
    .uses_dynamic_stack: false
    .vgpr_count:     17
    .vgpr_spill_count: 0
    .wavefront_size: 32
    .workgroup_processor_mode: 1
  - .args:
      - .actual_access:  write_only
        .address_space:  global
        .offset:         0
        .size:           8
        .value_kind:     global_buffer
      - .actual_access:  read_only
        .address_space:  global
        .offset:         8
        .size:           8
        .value_kind:     global_buffer
      - .offset:         16
        .size:           4
        .value_kind:     by_value
      - .offset:         24
        .size:           4
        .value_kind:     hidden_block_count_x
      - .offset:         28
        .size:           4
        .value_kind:     hidden_block_count_y
      - .offset:         32
        .size:           4
        .value_kind:     hidden_block_count_z
      - .offset:         36
        .size:           2
        .value_kind:     hidden_group_size_x
      - .offset:         38
        .size:           2
        .value_kind:     hidden_group_size_y
      - .offset:         40
        .size:           2
        .value_kind:     hidden_group_size_z
      - .offset:         42
        .size:           2
        .value_kind:     hidden_remainder_x
      - .offset:         44
        .size:           2
        .value_kind:     hidden_remainder_y
      - .offset:         46
        .size:           2
        .value_kind:     hidden_remainder_z
      - .offset:         64
        .size:           8
        .value_kind:     hidden_global_offset_x
      - .offset:         72
        .size:           8
        .value_kind:     hidden_global_offset_y
      - .offset:         80
        .size:           8
        .value_kind:     hidden_global_offset_z
      - .offset:         88
        .size:           2
        .value_kind:     hidden_grid_dims
    .group_segment_fixed_size: 0
    .kernarg_segment_align: 8
    .kernarg_segment_size: 280
    .language:       OpenCL C
    .language_version:
      - 2
      - 0
    .max_flat_workgroup_size: 1024
    .name:           _ZN4vllm3moe14moe_sum_kernelIN3c108BFloat16ELi5EEEvPT_PKS4_i
    .private_segment_fixed_size: 0
    .sgpr_count:     18
    .sgpr_spill_count: 0
    .symbol:         _ZN4vllm3moe14moe_sum_kernelIN3c108BFloat16ELi5EEEvPT_PKS4_i.kd
    .uniform_work_group_size: 1
    .uses_dynamic_stack: false
    .vgpr_count:     26
    .vgpr_spill_count: 0
    .wavefront_size: 32
    .workgroup_processor_mode: 1
amdhsa.target:   amdgcn-amd-amdhsa--gfx1100
amdhsa.version:
  - 1
  - 2
...

	.end_amdgpu_metadata
